;; amdgpu-corpus repo=ROCm/rocSPARSE kind=compiled arch=gfx1100 opt=O3
	.text
	.amdgcn_target "amdgcn-amd-amdhsa--gfx1100"
	.amdhsa_code_object_version 6
	.section	.text._ZN9rocsparseL18bsrxmvn_4x4_kernelILj128ELj4EfiifffEEvT3_20rocsparse_direction_NS_24const_host_device_scalarIT1_EES1_PKS1_PKT2_SA_S7_PKT4_PKT5_S5_PT6_21rocsparse_index_base_b,"axG",@progbits,_ZN9rocsparseL18bsrxmvn_4x4_kernelILj128ELj4EfiifffEEvT3_20rocsparse_direction_NS_24const_host_device_scalarIT1_EES1_PKS1_PKT2_SA_S7_PKT4_PKT5_S5_PT6_21rocsparse_index_base_b,comdat
	.globl	_ZN9rocsparseL18bsrxmvn_4x4_kernelILj128ELj4EfiifffEEvT3_20rocsparse_direction_NS_24const_host_device_scalarIT1_EES1_PKS1_PKT2_SA_S7_PKT4_PKT5_S5_PT6_21rocsparse_index_base_b ; -- Begin function _ZN9rocsparseL18bsrxmvn_4x4_kernelILj128ELj4EfiifffEEvT3_20rocsparse_direction_NS_24const_host_device_scalarIT1_EES1_PKS1_PKT2_SA_S7_PKT4_PKT5_S5_PT6_21rocsparse_index_base_b
	.p2align	8
	.type	_ZN9rocsparseL18bsrxmvn_4x4_kernelILj128ELj4EfiifffEEvT3_20rocsparse_direction_NS_24const_host_device_scalarIT1_EES1_PKS1_PKT2_SA_S7_PKT4_PKT5_S5_PT6_21rocsparse_index_base_b,@function
_ZN9rocsparseL18bsrxmvn_4x4_kernelILj128ELj4EfiifffEEvT3_20rocsparse_direction_NS_24const_host_device_scalarIT1_EES1_PKS1_PKT2_SA_S7_PKT4_PKT5_S5_PT6_21rocsparse_index_base_b: ; @_ZN9rocsparseL18bsrxmvn_4x4_kernelILj128ELj4EfiifffEEvT3_20rocsparse_direction_NS_24const_host_device_scalarIT1_EES1_PKS1_PKT2_SA_S7_PKT4_PKT5_S5_PT6_21rocsparse_index_base_b
; %bb.0:
	s_clause 0x2
	s_load_b64 s[18:19], s[0:1], 0x58
	s_load_b64 s[16:17], s[0:1], 0x8
	;; [unrolled: 1-line block ×3, first 2 shown]
	s_waitcnt lgkmcnt(0)
	s_bitcmp1_b32 s19, 0
	s_cselect_b32 s2, -1, 0
	s_delay_alu instid0(SALU_CYCLE_1)
	s_and_b32 vcc_lo, exec_lo, s2
	s_xor_b32 s2, s2, -1
	s_cbranch_vccnz .LBB0_2
; %bb.1:
	s_load_b32 s16, s[16:17], 0x0
.LBB0_2:
	s_and_not1_b32 vcc_lo, exec_lo, s2
	s_cbranch_vccnz .LBB0_4
; %bb.3:
	s_load_b32 s12, s[12:13], 0x0
.LBB0_4:
	s_waitcnt lgkmcnt(0)
	v_cmp_neq_f32_e64 s2, s16, 0
	v_cmp_neq_f32_e64 s3, s12, 1.0
	s_mov_b32 s6, 0
	s_delay_alu instid0(VALU_DEP_1) | instskip(NEXT) | instid1(SALU_CYCLE_1)
	s_or_b32 s2, s2, s3
	s_and_not1_b32 vcc_lo, exec_lo, s2
	s_cbranch_vccnz .LBB0_10
; %bb.5:
	s_clause 0x1
	s_load_b64 s[4:5], s[0:1], 0x18
	s_load_b64 s[2:3], s[0:1], 0x0
	v_lshrrev_b32_e32 v1, 2, v0
	s_delay_alu instid0(VALU_DEP_1)
	v_lshl_or_b32 v4, s15, 5, v1
	s_waitcnt lgkmcnt(0)
	s_cmp_lg_u64 s[4:5], 0
	s_cbranch_scc0 .LBB0_11
; %bb.6:
	s_load_b32 s6, s[0:1], 0x10
	s_mov_b32 s7, 0
                                        ; implicit-def: $vgpr1
	s_waitcnt lgkmcnt(0)
	v_cmp_gt_i32_e32 vcc_lo, s6, v4
	s_mov_b32 s6, 0
	s_and_saveexec_b32 s8, vcc_lo
	s_delay_alu instid0(SALU_CYCLE_1)
	s_xor_b32 s8, exec_lo, s8
	s_cbranch_execz .LBB0_8
; %bb.7:
	v_ashrrev_i32_e32 v5, 31, v4
	s_mov_b32 s6, exec_lo
	s_delay_alu instid0(VALU_DEP_1) | instskip(NEXT) | instid1(VALU_DEP_1)
	v_lshlrev_b64 v[1:2], 2, v[4:5]
	v_add_co_u32 v1, vcc_lo, s4, v1
	s_delay_alu instid0(VALU_DEP_2)
	v_add_co_ci_u32_e32 v2, vcc_lo, s5, v2, vcc_lo
	global_load_b32 v1, v[1:2], off
	s_waitcnt vmcnt(0)
	v_subrev_nc_u32_e32 v1, s18, v1
.LBB0_8:
	s_or_b32 exec_lo, exec_lo, s8
	s_delay_alu instid0(SALU_CYCLE_1)
	s_and_b32 vcc_lo, exec_lo, s7
	s_cbranch_vccz .LBB0_12
.LBB0_9:
	v_cmp_gt_i32_e32 vcc_lo, s2, v4
	s_and_not1_b32 s2, s6, exec_lo
	s_and_b32 s4, vcc_lo, exec_lo
	s_delay_alu instid0(SALU_CYCLE_1) | instskip(NEXT) | instid1(SALU_CYCLE_1)
	s_or_b32 s6, s2, s4
	s_and_saveexec_b32 s2, s6
	s_cbranch_execnz .LBB0_13
.LBB0_10:
	s_nop 0
	s_sendmsg sendmsg(MSG_DEALLOC_VGPRS)
	s_endpgm
.LBB0_11:
                                        ; implicit-def: $vgpr1
	s_cbranch_execnz .LBB0_9
.LBB0_12:
	s_delay_alu instid0(VALU_DEP_1)
	v_mov_b32_e32 v4, v1
	s_and_saveexec_b32 s2, s6
	s_cbranch_execz .LBB0_10
.LBB0_13:
	s_load_b256 s[4:11], s[0:1], 0x20
	s_delay_alu instid0(VALU_DEP_1) | instskip(SKIP_1) | instid1(VALU_DEP_2)
	v_ashrrev_i32_e32 v5, 31, v4
	v_and_b32_e32 v9, 3, v0
	v_lshlrev_b64 v[1:2], 2, v[4:5]
	s_waitcnt lgkmcnt(0)
	s_delay_alu instid0(VALU_DEP_1) | instskip(NEXT) | instid1(VALU_DEP_2)
	v_add_co_u32 v5, vcc_lo, s4, v1
	v_add_co_ci_u32_e32 v6, vcc_lo, s5, v2, vcc_lo
	v_add_co_u32 v1, vcc_lo, s6, v1
	v_add_co_ci_u32_e32 v2, vcc_lo, s7, v2, vcc_lo
	global_load_b32 v15, v[5:6], off
	v_add_co_u32 v3, vcc_lo, v5, 4
	v_add_co_ci_u32_e32 v5, vcc_lo, 0, v6, vcc_lo
	s_cmp_eq_u64 s[6:7], 0
	s_load_b64 s[4:5], s[0:1], 0x40
	s_cselect_b32 vcc_lo, -1, 0
	s_cmp_eq_u32 s3, 1
	v_dual_cndmask_b32 v2, v2, v5 :: v_dual_cndmask_b32 v1, v1, v3
	global_load_b32 v5, v[1:2], off
	s_waitcnt vmcnt(1)
	v_subrev_nc_u32_e32 v0, s18, v15
	s_delay_alu instid0(VALU_DEP_1) | instskip(NEXT) | instid1(VALU_DEP_1)
	v_add_nc_u32_e32 v0, v0, v9
	v_ashrrev_i32_e32 v1, 31, v0
	s_waitcnt vmcnt(0)
	v_subrev_nc_u32_e32 v10, s18, v5
	s_delay_alu instid0(VALU_DEP_2) | instskip(NEXT) | instid1(VALU_DEP_2)
	v_lshlrev_b64 v[2:3], 6, v[0:1]
	v_cmp_lt_i32_e64 s2, v0, v10
	s_delay_alu instid0(VALU_DEP_2) | instskip(NEXT) | instid1(VALU_DEP_3)
	v_add_co_u32 v2, vcc_lo, s10, v2
	v_add_co_ci_u32_e32 v3, vcc_lo, s11, v3, vcc_lo
	s_cbranch_scc1 .LBB0_25
; %bb.14:
	v_dual_mov_b32 v11, 0 :: v_dual_mov_b32 v14, 0
	v_dual_mov_b32 v13, 0 :: v_dual_mov_b32 v12, 0
	s_mov_b32 s3, 0
	s_and_saveexec_b32 s6, s2
	s_cbranch_execz .LBB0_24
; %bb.15:
	v_dual_mov_b32 v12, 0 :: v_dual_add_nc_u32 v1, v15, v9
	v_not_b32_e32 v5, v15
	v_mov_b32_e32 v11, 0
	s_mov_b32 s10, 0
	s_delay_alu instid0(VALU_DEP_3) | instskip(SKIP_3) | instid1(VALU_DEP_3)
	v_subrev_nc_u32_e32 v1, s18, v1
	s_mov_b32 s7, exec_lo
	v_mov_b32_e32 v14, 0
	v_dual_mov_b32 v8, v3 :: v_dual_mov_b32 v7, v2
	v_add_nc_u32_e32 v1, 4, v1
	v_mov_b32_e32 v13, 0
	s_delay_alu instid0(VALU_DEP_2) | instskip(NEXT) | instid1(VALU_DEP_1)
	v_max_i32_e32 v1, v1, v10
	v_add3_u32 v1, v1, s18, v5
	s_delay_alu instid0(VALU_DEP_1) | instskip(NEXT) | instid1(VALU_DEP_1)
	v_sub_nc_u32_e32 v1, v1, v9
	v_lshrrev_b32_e32 v5, 2, v1
	s_delay_alu instid0(VALU_DEP_1) | instskip(NEXT) | instid1(VALU_DEP_1)
	v_add_nc_u32_e32 v5, 1, v5
	v_dual_mov_b32 v5, v0 :: v_dual_and_b32 v6, 3, v5
	s_delay_alu instid0(VALU_DEP_1)
	v_cmpx_ne_u32_e32 0, v6
	s_cbranch_execz .LBB0_19
; %bb.16:
	v_dual_mov_b32 v11, 0 :: v_dual_lshlrev_b32 v16, 6, v6
	v_dual_mov_b32 v8, v3 :: v_dual_mov_b32 v7, v2
	v_dual_mov_b32 v5, v0 :: v_dual_mov_b32 v14, 0
	;; [unrolled: 1-line block ×3, first 2 shown]
.LBB0_17:                               ; =>This Inner Loop Header: Depth=1
	s_delay_alu instid0(VALU_DEP_2) | instskip(SKIP_1) | instid1(VALU_DEP_2)
	v_ashrrev_i32_e32 v6, 31, v5
	v_subrev_nc_u32_e32 v16, 64, v16
	v_lshlrev_b64 v[17:18], 2, v[5:6]
	s_delay_alu instid0(VALU_DEP_1) | instskip(NEXT) | instid1(VALU_DEP_2)
	v_add_co_u32 v17, vcc_lo, s8, v17
	v_add_co_ci_u32_e32 v18, vcc_lo, s9, v18, vcc_lo
	global_load_b32 v6, v[17:18], off
	s_clause 0x2
	global_load_b128 v[17:20], v[7:8], off offset:48
	global_load_b128 v[21:24], v[7:8], off offset:32
	global_load_b128 v[25:28], v[7:8], off offset:16
	s_waitcnt vmcnt(3)
	v_subrev_nc_u32_e32 v6, s18, v6
	s_delay_alu instid0(VALU_DEP_1) | instskip(NEXT) | instid1(VALU_DEP_1)
	v_lshlrev_b32_e32 v29, 2, v6
	v_ashrrev_i32_e32 v30, 31, v29
	s_delay_alu instid0(VALU_DEP_1) | instskip(SKIP_1) | instid1(VALU_DEP_1)
	v_lshlrev_b64 v[29:30], 2, v[29:30]
	s_waitcnt lgkmcnt(0)
	v_add_co_u32 v33, vcc_lo, s4, v29
	s_delay_alu instid0(VALU_DEP_2)
	v_add_co_ci_u32_e32 v34, vcc_lo, s5, v30, vcc_lo
	global_load_b128 v[29:32], v[7:8], off
	global_load_b128 v[33:36], v[33:34], off
	v_add_co_u32 v7, vcc_lo, 0x100, v7
	v_add_co_ci_u32_e32 v8, vcc_lo, 0, v8, vcc_lo
	v_cmp_eq_u32_e32 vcc_lo, 0, v16
	s_or_b32 s10, vcc_lo, s10
	s_waitcnt vmcnt(0)
	v_fmac_f32_e32 v14, v25, v33
	v_fmac_f32_e32 v13, v21, v33
	;; [unrolled: 1-line block ×3, first 2 shown]
	s_delay_alu instid0(VALU_DEP_3) | instskip(NEXT) | instid1(VALU_DEP_3)
	v_dual_fmac_f32 v11, v17, v33 :: v_dual_fmac_f32 v14, v26, v34
	v_fmac_f32_e32 v13, v22, v34
	s_delay_alu instid0(VALU_DEP_3) | instskip(NEXT) | instid1(VALU_DEP_3)
	v_fmac_f32_e32 v12, v30, v34
	v_fmac_f32_e32 v11, v18, v34
	s_delay_alu instid0(VALU_DEP_4) | instskip(NEXT) | instid1(VALU_DEP_3)
	v_dual_fmac_f32 v14, v27, v35 :: v_dual_add_nc_u32 v5, 4, v5
	v_fmac_f32_e32 v12, v31, v35
	v_fmac_f32_e32 v13, v23, v35
	s_delay_alu instid0(VALU_DEP_3) | instskip(NEXT) | instid1(VALU_DEP_3)
	v_dual_fmac_f32 v11, v19, v35 :: v_dual_fmac_f32 v14, v28, v36
	v_fmac_f32_e32 v12, v32, v36
	s_delay_alu instid0(VALU_DEP_3) | instskip(NEXT) | instid1(VALU_DEP_3)
	v_fmac_f32_e32 v13, v24, v36
	v_fmac_f32_e32 v11, v20, v36
	s_and_not1_b32 exec_lo, exec_lo, s10
	s_cbranch_execnz .LBB0_17
; %bb.18:
	s_or_b32 exec_lo, exec_lo, s10
.LBB0_19:
	s_delay_alu instid0(SALU_CYCLE_1) | instskip(NEXT) | instid1(SALU_CYCLE_1)
	s_or_b32 exec_lo, exec_lo, s7
	s_mov_b32 s7, exec_lo
	v_cmpx_lt_u32_e32 11, v1
	s_cbranch_execz .LBB0_23
; %bb.20:
	s_mov_b32 s10, 0
.LBB0_21:                               ; =>This Inner Loop Header: Depth=1
	v_ashrrev_i32_e32 v6, 31, v5
	s_delay_alu instid0(VALU_DEP_1) | instskip(SKIP_1) | instid1(VALU_DEP_2)
	v_lshlrev_b64 v[16:17], 2, v[5:6]
	v_add_nc_u32_e32 v5, 16, v5
	v_add_co_u32 v16, vcc_lo, s8, v16
	s_delay_alu instid0(VALU_DEP_3)
	v_add_co_ci_u32_e32 v17, vcc_lo, s9, v17, vcc_lo
	s_clause 0x3
	global_load_b32 v1, v[16:17], off
	global_load_b32 v6, v[16:17], off offset:16
	global_load_b32 v80, v[16:17], off offset:32
	;; [unrolled: 1-line block ×3, first 2 shown]
	s_clause 0xf
	global_load_b128 v[16:19], v[7:8], off offset:48
	global_load_b128 v[20:23], v[7:8], off offset:32
	;; [unrolled: 1-line block ×3, first 2 shown]
	global_load_b128 v[28:31], v[7:8], off
	global_load_b128 v[32:35], v[7:8], off offset:304
	global_load_b128 v[36:39], v[7:8], off offset:288
	;; [unrolled: 1-line block ×12, first 2 shown]
	s_waitcnt vmcnt(19)
	v_subrev_nc_u32_e32 v1, s18, v1
	s_waitcnt vmcnt(18)
	v_subrev_nc_u32_e32 v6, s18, v6
	;; [unrolled: 2-line block ×4, first 2 shown]
	v_lshlrev_b32_e32 v80, 2, v1
	s_delay_alu instid0(VALU_DEP_3) | instskip(NEXT) | instid1(VALU_DEP_3)
	v_lshlrev_b32_e32 v88, 2, v82
	v_lshlrev_b32_e32 v92, 2, v81
	s_delay_alu instid0(VALU_DEP_3) | instskip(NEXT) | instid1(VALU_DEP_1)
	v_ashrrev_i32_e32 v81, 31, v80
	v_lshlrev_b64 v[80:81], 2, v[80:81]
	s_waitcnt lgkmcnt(0)
	s_delay_alu instid0(VALU_DEP_1) | instskip(NEXT) | instid1(VALU_DEP_2)
	v_add_co_u32 v80, vcc_lo, s4, v80
	v_add_co_ci_u32_e32 v81, vcc_lo, s5, v81, vcc_lo
	global_load_b128 v[80:83], v[80:81], off
	v_lshlrev_b32_e32 v84, 2, v6
	s_delay_alu instid0(VALU_DEP_1) | instskip(NEXT) | instid1(VALU_DEP_1)
	v_ashrrev_i32_e32 v85, 31, v84
	v_lshlrev_b64 v[84:85], 2, v[84:85]
	s_delay_alu instid0(VALU_DEP_1) | instskip(NEXT) | instid1(VALU_DEP_2)
	v_add_co_u32 v84, vcc_lo, s4, v84
	v_add_co_ci_u32_e32 v85, vcc_lo, s5, v85, vcc_lo
	global_load_b128 v[84:87], v[84:85], off
	s_waitcnt vmcnt(1)
	v_fmac_f32_e32 v13, v20, v80
	v_fmac_f32_e32 v11, v16, v80
	v_ashrrev_i32_e32 v89, 31, v88
	v_fmac_f32_e32 v14, v24, v80
	s_delay_alu instid0(VALU_DEP_4) | instskip(NEXT) | instid1(VALU_DEP_4)
	v_dual_fmac_f32 v12, v28, v80 :: v_dual_fmac_f32 v13, v21, v81
	v_fmac_f32_e32 v11, v17, v81
	s_delay_alu instid0(VALU_DEP_4) | instskip(NEXT) | instid1(VALU_DEP_3)
	v_lshlrev_b64 v[88:89], 2, v[88:89]
	v_fmac_f32_e32 v13, v22, v82
	s_delay_alu instid0(VALU_DEP_3) | instskip(SKIP_1) | instid1(VALU_DEP_4)
	v_fmac_f32_e32 v11, v18, v82
	v_ashrrev_i32_e32 v93, 31, v92
	v_add_co_u32 v88, vcc_lo, s4, v88
	v_add_co_ci_u32_e32 v89, vcc_lo, s5, v89, vcc_lo
	s_delay_alu instid0(VALU_DEP_3)
	v_lshlrev_b64 v[92:93], 2, v[92:93]
	v_dual_fmac_f32 v12, v29, v81 :: v_dual_fmac_f32 v13, v23, v83
	global_load_b128 v[88:91], v[88:89], off
	v_dual_fmac_f32 v14, v25, v81 :: v_dual_fmac_f32 v11, v19, v83
	v_add_co_u32 v92, vcc_lo, s4, v92
	v_add_co_ci_u32_e32 v93, vcc_lo, s5, v93, vcc_lo
	s_waitcnt vmcnt(1)
	v_dual_fmac_f32 v12, v30, v82 :: v_dual_fmac_f32 v13, v36, v84
	v_dual_fmac_f32 v14, v26, v82 :: v_dual_fmac_f32 v11, v32, v84
	global_load_b128 v[92:95], v[92:93], off
	v_dual_fmac_f32 v12, v31, v83 :: v_dual_fmac_f32 v13, v37, v85
	v_dual_fmac_f32 v14, v27, v83 :: v_dual_fmac_f32 v11, v33, v85
	v_add_co_u32 v7, vcc_lo, 0x400, v7
	s_delay_alu instid0(VALU_DEP_3) | instskip(NEXT) | instid1(VALU_DEP_3)
	v_dual_fmac_f32 v12, v44, v84 :: v_dual_fmac_f32 v13, v38, v86
	v_dual_fmac_f32 v14, v40, v84 :: v_dual_fmac_f32 v11, v34, v86
	v_add_co_ci_u32_e32 v8, vcc_lo, 0, v8, vcc_lo
	s_delay_alu instid0(VALU_DEP_3) | instskip(NEXT) | instid1(VALU_DEP_3)
	v_dual_fmac_f32 v12, v45, v85 :: v_dual_fmac_f32 v13, v39, v87
	v_dual_fmac_f32 v14, v41, v85 :: v_dual_fmac_f32 v11, v35, v87
	v_cmp_ge_i32_e32 vcc_lo, v5, v10
	s_delay_alu instid0(VALU_DEP_3) | instskip(NEXT) | instid1(VALU_DEP_3)
	v_fmac_f32_e32 v12, v46, v86
	v_fmac_f32_e32 v14, v42, v86
	s_or_b32 s10, vcc_lo, s10
	s_waitcnt vmcnt(1)
	s_delay_alu instid0(VALU_DEP_1) | instskip(SKIP_1) | instid1(VALU_DEP_2)
	v_dual_fmac_f32 v11, v48, v88 :: v_dual_fmac_f32 v14, v43, v87
	v_dual_fmac_f32 v13, v52, v88 :: v_dual_fmac_f32 v12, v47, v87
	;; [unrolled: 1-line block ×3, first 2 shown]
	s_delay_alu instid0(VALU_DEP_2) | instskip(NEXT) | instid1(VALU_DEP_2)
	v_dual_fmac_f32 v13, v53, v89 :: v_dual_fmac_f32 v12, v60, v88
	v_dual_fmac_f32 v11, v50, v90 :: v_dual_fmac_f32 v14, v57, v89
	s_delay_alu instid0(VALU_DEP_2) | instskip(NEXT) | instid1(VALU_DEP_2)
	v_dual_fmac_f32 v13, v54, v90 :: v_dual_fmac_f32 v12, v61, v89
	v_dual_fmac_f32 v11, v51, v91 :: v_dual_fmac_f32 v14, v58, v90
	s_delay_alu instid0(VALU_DEP_2) | instskip(SKIP_1) | instid1(VALU_DEP_2)
	v_dual_fmac_f32 v13, v55, v91 :: v_dual_fmac_f32 v12, v62, v90
	s_waitcnt vmcnt(0)
	v_dual_fmac_f32 v11, v64, v92 :: v_dual_fmac_f32 v14, v59, v91
	s_delay_alu instid0(VALU_DEP_2) | instskip(NEXT) | instid1(VALU_DEP_2)
	v_dual_fmac_f32 v13, v68, v92 :: v_dual_fmac_f32 v12, v63, v91
	v_fmac_f32_e32 v11, v65, v93
	s_delay_alu instid0(VALU_DEP_2) | instskip(NEXT) | instid1(VALU_DEP_2)
	v_dual_fmac_f32 v13, v69, v93 :: v_dual_fmac_f32 v12, v76, v92
	v_dual_fmac_f32 v14, v72, v92 :: v_dual_fmac_f32 v11, v66, v94
	s_delay_alu instid0(VALU_DEP_2) | instskip(NEXT) | instid1(VALU_DEP_2)
	v_dual_fmac_f32 v13, v70, v94 :: v_dual_fmac_f32 v12, v77, v93
	v_dual_fmac_f32 v14, v73, v93 :: v_dual_fmac_f32 v11, v67, v95
	s_delay_alu instid0(VALU_DEP_2) | instskip(NEXT) | instid1(VALU_DEP_2)
	v_dual_fmac_f32 v13, v71, v95 :: v_dual_fmac_f32 v12, v78, v94
	v_fmac_f32_e32 v14, v74, v94
	s_delay_alu instid0(VALU_DEP_2) | instskip(NEXT) | instid1(VALU_DEP_2)
	v_fmac_f32_e32 v12, v79, v95
	v_fmac_f32_e32 v14, v75, v95
	s_and_not1_b32 exec_lo, exec_lo, s10
	s_cbranch_execnz .LBB0_21
; %bb.22:
	s_or_b32 exec_lo, exec_lo, s10
.LBB0_23:
	s_delay_alu instid0(SALU_CYCLE_1)
	s_or_b32 exec_lo, exec_lo, s7
.LBB0_24:
	s_delay_alu instid0(SALU_CYCLE_1) | instskip(NEXT) | instid1(SALU_CYCLE_1)
	s_or_b32 exec_lo, exec_lo, s6
	s_and_not1_b32 vcc_lo, exec_lo, s3
	s_cbranch_vccz .LBB0_26
	s_branch .LBB0_37
.LBB0_25:
                                        ; implicit-def: $vgpr11
                                        ; implicit-def: $vgpr13
                                        ; implicit-def: $vgpr14
                                        ; implicit-def: $vgpr12
.LBB0_26:
	v_dual_mov_b32 v11, 0 :: v_dual_mov_b32 v14, 0
	v_dual_mov_b32 v13, 0 :: v_dual_mov_b32 v12, 0
	s_and_saveexec_b32 s3, s2
	s_cbranch_execz .LBB0_36
; %bb.27:
	v_dual_mov_b32 v12, 0 :: v_dual_add_nc_u32 v1, v15, v9
	v_not_b32_e32 v5, v15
	v_mov_b32_e32 v13, 0
	v_mov_b32_e32 v11, 0
	s_delay_alu instid0(VALU_DEP_4) | instskip(SKIP_2) | instid1(VALU_DEP_1)
	v_subrev_nc_u32_e32 v1, s18, v1
	s_mov_b32 s6, 0
	s_mov_b32 s2, exec_lo
	v_dual_mov_b32 v14, 0 :: v_dual_add_nc_u32 v1, 4, v1
	s_delay_alu instid0(VALU_DEP_1) | instskip(NEXT) | instid1(VALU_DEP_1)
	v_max_i32_e32 v1, v1, v10
	v_add3_u32 v1, v1, s18, v5
	s_delay_alu instid0(VALU_DEP_1) | instskip(NEXT) | instid1(VALU_DEP_1)
	v_sub_nc_u32_e32 v5, v1, v9
	v_lshrrev_b32_e32 v1, 2, v5
	s_delay_alu instid0(VALU_DEP_1) | instskip(NEXT) | instid1(VALU_DEP_1)
	v_add_nc_u32_e32 v1, 1, v1
	v_and_b32_e32 v1, 3, v1
	s_delay_alu instid0(VALU_DEP_1)
	v_cmpx_ne_u32_e32 0, v1
	s_cbranch_execz .LBB0_31
; %bb.28:
	v_dual_mov_b32 v11, 0 :: v_dual_lshlrev_b32 v6, 6, v1
	v_dual_mov_b32 v13, 0 :: v_dual_mov_b32 v14, 0
	v_mov_b32_e32 v12, 0
.LBB0_29:                               ; =>This Inner Loop Header: Depth=1
	v_ashrrev_i32_e32 v1, 31, v0
	s_delay_alu instid0(VALU_DEP_4) | instskip(NEXT) | instid1(VALU_DEP_2)
	v_subrev_nc_u32_e32 v6, 64, v6
	v_lshlrev_b64 v[7:8], 2, v[0:1]
	s_delay_alu instid0(VALU_DEP_1) | instskip(NEXT) | instid1(VALU_DEP_2)
	v_add_co_u32 v7, vcc_lo, s8, v7
	v_add_co_ci_u32_e32 v8, vcc_lo, s9, v8, vcc_lo
	global_load_b32 v1, v[7:8], off
	global_load_b128 v[15:18], v[2:3], off offset:16
	s_waitcnt vmcnt(1)
	v_subrev_nc_u32_e32 v1, s18, v1
	s_delay_alu instid0(VALU_DEP_1) | instskip(NEXT) | instid1(VALU_DEP_1)
	v_lshlrev_b32_e32 v7, 2, v1
	v_ashrrev_i32_e32 v8, 31, v7
	s_delay_alu instid0(VALU_DEP_1) | instskip(SKIP_1) | instid1(VALU_DEP_1)
	v_lshlrev_b64 v[7:8], 2, v[7:8]
	s_waitcnt lgkmcnt(0)
	v_add_co_u32 v7, vcc_lo, s4, v7
	s_delay_alu instid0(VALU_DEP_2)
	v_add_co_ci_u32_e32 v8, vcc_lo, s5, v8, vcc_lo
	global_load_b128 v[19:22], v[2:3], off
	global_load_b128 v[23:26], v[7:8], off
	s_clause 0x1
	global_load_b128 v[27:30], v[2:3], off offset:32
	global_load_b128 v[31:34], v[2:3], off offset:48
	v_add_co_u32 v2, vcc_lo, 0x100, v2
	v_add_co_ci_u32_e32 v3, vcc_lo, 0, v3, vcc_lo
	v_cmp_eq_u32_e32 vcc_lo, 0, v6
	s_or_b32 s6, vcc_lo, s6
	s_waitcnt vmcnt(2)
	v_fmac_f32_e32 v12, v19, v23
	s_delay_alu instid0(VALU_DEP_1) | instskip(NEXT) | instid1(VALU_DEP_1)
	v_dual_fmac_f32 v13, v21, v23 :: v_dual_fmac_f32 v12, v15, v24
	v_dual_fmac_f32 v14, v20, v23 :: v_dual_fmac_f32 v13, v17, v24
	v_dual_fmac_f32 v11, v22, v23 :: v_dual_add_nc_u32 v0, 4, v0
	s_waitcnt vmcnt(1)
	s_delay_alu instid0(VALU_DEP_3) | instskip(NEXT) | instid1(VALU_DEP_3)
	v_fmac_f32_e32 v12, v27, v25
	v_dual_fmac_f32 v14, v16, v24 :: v_dual_fmac_f32 v13, v29, v25
	s_waitcnt vmcnt(0)
	s_delay_alu instid0(VALU_DEP_2) | instskip(NEXT) | instid1(VALU_DEP_2)
	v_dual_fmac_f32 v11, v18, v24 :: v_dual_fmac_f32 v12, v31, v26
	v_dual_fmac_f32 v14, v28, v25 :: v_dual_fmac_f32 v13, v33, v26
	s_delay_alu instid0(VALU_DEP_1) | instskip(NEXT) | instid1(VALU_DEP_1)
	v_dual_fmac_f32 v11, v30, v25 :: v_dual_fmac_f32 v14, v32, v26
	v_fmac_f32_e32 v11, v34, v26
	s_and_not1_b32 exec_lo, exec_lo, s6
	s_cbranch_execnz .LBB0_29
; %bb.30:
	s_or_b32 exec_lo, exec_lo, s6
.LBB0_31:
	s_delay_alu instid0(SALU_CYCLE_1) | instskip(NEXT) | instid1(SALU_CYCLE_1)
	s_or_b32 exec_lo, exec_lo, s2
	s_mov_b32 s2, exec_lo
	v_cmpx_lt_u32_e32 11, v5
	s_cbranch_execz .LBB0_35
; %bb.32:
	s_mov_b32 s6, 0
.LBB0_33:                               ; =>This Inner Loop Header: Depth=1
	v_ashrrev_i32_e32 v1, 31, v0
	s_delay_alu instid0(VALU_DEP_1) | instskip(SKIP_1) | instid1(VALU_DEP_2)
	v_lshlrev_b64 v[5:6], 2, v[0:1]
	v_add_nc_u32_e32 v0, 16, v0
	v_add_co_u32 v5, vcc_lo, s8, v5
	s_delay_alu instid0(VALU_DEP_3)
	v_add_co_ci_u32_e32 v6, vcc_lo, s9, v6, vcc_lo
	s_clause 0x3
	global_load_b32 v1, v[5:6], off
	global_load_b32 v67, v[5:6], off offset:16
	global_load_b32 v68, v[5:6], off offset:32
	global_load_b32 v69, v[5:6], off offset:48
	s_clause 0xd
	global_load_b128 v[5:8], v[2:3], off offset:48
	global_load_b128 v[15:18], v[2:3], off offset:32
	;; [unrolled: 1-line block ×3, first 2 shown]
	global_load_b128 v[23:26], v[2:3], off
	global_load_b128 v[27:30], v[2:3], off offset:304
	global_load_b128 v[31:34], v[2:3], off offset:288
	;; [unrolled: 1-line block ×10, first 2 shown]
	s_waitcnt vmcnt(17)
	v_subrev_nc_u32_e32 v1, s18, v1
	s_waitcnt vmcnt(16)
	v_subrev_nc_u32_e32 v70, s18, v67
	;; [unrolled: 2-line block ×4, first 2 shown]
	v_lshlrev_b32_e32 v67, 2, v1
	v_lshlrev_b32_e32 v71, 2, v70
	;; [unrolled: 1-line block ×3, first 2 shown]
	s_delay_alu instid0(VALU_DEP_4) | instskip(NEXT) | instid1(VALU_DEP_4)
	v_lshlrev_b32_e32 v79, 2, v69
	v_ashrrev_i32_e32 v68, 31, v67
	s_delay_alu instid0(VALU_DEP_4) | instskip(NEXT) | instid1(VALU_DEP_2)
	v_ashrrev_i32_e32 v72, 31, v71
	v_lshlrev_b64 v[67:68], 2, v[67:68]
	s_delay_alu instid0(VALU_DEP_2) | instskip(SKIP_1) | instid1(VALU_DEP_2)
	v_lshlrev_b64 v[71:72], 2, v[71:72]
	s_waitcnt lgkmcnt(0)
	v_add_co_u32 v67, vcc_lo, s4, v67
	s_delay_alu instid0(VALU_DEP_3) | instskip(NEXT) | instid1(VALU_DEP_3)
	v_add_co_ci_u32_e32 v68, vcc_lo, s5, v68, vcc_lo
	v_add_co_u32 v71, vcc_lo, s4, v71
	s_delay_alu instid0(VALU_DEP_4)
	v_add_co_ci_u32_e32 v72, vcc_lo, s5, v72, vcc_lo
	s_clause 0x1
	global_load_b128 v[67:70], v[67:68], off
	global_load_b128 v[71:74], v[71:72], off
	s_waitcnt vmcnt(1)
	v_fmac_f32_e32 v14, v24, v67
	v_ashrrev_i32_e32 v76, 31, v75
	v_fmac_f32_e32 v12, v23, v67
	s_delay_alu instid0(VALU_DEP_3) | instskip(NEXT) | instid1(VALU_DEP_3)
	v_fmac_f32_e32 v14, v20, v68
	v_lshlrev_b64 v[75:76], 2, v[75:76]
	v_ashrrev_i32_e32 v80, 31, v79
	s_delay_alu instid0(VALU_DEP_4) | instskip(NEXT) | instid1(VALU_DEP_4)
	v_dual_fmac_f32 v11, v26, v67 :: v_dual_fmac_f32 v12, v19, v68
	v_dual_fmac_f32 v14, v16, v69 :: v_dual_fmac_f32 v13, v25, v67
	s_delay_alu instid0(VALU_DEP_4) | instskip(NEXT) | instid1(VALU_DEP_3)
	v_add_co_u32 v75, vcc_lo, s4, v75
	v_fmac_f32_e32 v12, v15, v69
	v_add_co_ci_u32_e32 v76, vcc_lo, s5, v76, vcc_lo
	v_lshlrev_b64 v[79:80], 2, v[79:80]
	v_dual_fmac_f32 v13, v21, v68 :: v_dual_fmac_f32 v14, v6, v70
	global_load_b128 v[75:78], v[75:76], off
	v_dual_fmac_f32 v11, v22, v68 :: v_dual_fmac_f32 v12, v5, v70
	v_add_co_u32 v79, vcc_lo, s4, v79
	v_add_co_ci_u32_e32 v80, vcc_lo, s5, v80, vcc_lo
	global_load_b128 v[79:82], v[79:80], off
	s_clause 0x1
	global_load_b128 v[83:86], v[2:3], off offset:800
	global_load_b128 v[87:90], v[2:3], off offset:816
	s_waitcnt vmcnt(4)
	v_dual_fmac_f32 v13, v17, v69 :: v_dual_fmac_f32 v12, v39, v71
	v_dual_fmac_f32 v11, v18, v69 :: v_dual_fmac_f32 v14, v40, v71
	v_add_co_u32 v2, vcc_lo, 0x400, v2
	s_delay_alu instid0(VALU_DEP_3) | instskip(NEXT) | instid1(VALU_DEP_3)
	v_fmac_f32_e32 v13, v7, v70
	v_dual_fmac_f32 v11, v8, v70 :: v_dual_fmac_f32 v12, v35, v72
	s_delay_alu instid0(VALU_DEP_4) | instskip(SKIP_1) | instid1(VALU_DEP_3)
	v_fmac_f32_e32 v14, v36, v72
	v_add_co_ci_u32_e32 v3, vcc_lo, 0, v3, vcc_lo
	v_dual_fmac_f32 v13, v41, v71 :: v_dual_fmac_f32 v12, v31, v73
	s_delay_alu instid0(VALU_DEP_3) | instskip(SKIP_1) | instid1(VALU_DEP_3)
	v_dual_fmac_f32 v11, v42, v71 :: v_dual_fmac_f32 v14, v32, v73
	v_cmp_ge_i32_e32 vcc_lo, v0, v10
	v_dual_fmac_f32 v13, v37, v72 :: v_dual_fmac_f32 v12, v27, v74
	s_delay_alu instid0(VALU_DEP_3) | instskip(SKIP_1) | instid1(VALU_DEP_2)
	v_dual_fmac_f32 v11, v38, v72 :: v_dual_fmac_f32 v14, v28, v74
	s_or_b32 s6, vcc_lo, s6
	v_fmac_f32_e32 v13, v33, v73
	s_waitcnt vmcnt(3)
	s_delay_alu instid0(VALU_DEP_2) | instskip(NEXT) | instid1(VALU_DEP_1)
	v_dual_fmac_f32 v11, v34, v73 :: v_dual_fmac_f32 v14, v56, v75
	v_dual_fmac_f32 v11, v30, v74 :: v_dual_fmac_f32 v12, v55, v75
	s_delay_alu instid0(VALU_DEP_2) | instskip(NEXT) | instid1(VALU_DEP_2)
	v_dual_fmac_f32 v13, v29, v74 :: v_dual_fmac_f32 v14, v52, v76
	v_dual_fmac_f32 v11, v58, v75 :: v_dual_fmac_f32 v12, v51, v76
	s_delay_alu instid0(VALU_DEP_2) | instskip(NEXT) | instid1(VALU_DEP_2)
	;; [unrolled: 3-line block ×3, first 2 shown]
	v_dual_fmac_f32 v13, v53, v76 :: v_dual_fmac_f32 v14, v44, v78
	v_dual_fmac_f32 v11, v50, v77 :: v_dual_fmac_f32 v12, v43, v78
	s_waitcnt vmcnt(2)
	s_delay_alu instid0(VALU_DEP_2) | instskip(NEXT) | instid1(VALU_DEP_2)
	v_dual_fmac_f32 v13, v49, v77 :: v_dual_fmac_f32 v14, v64, v79
	v_dual_fmac_f32 v11, v46, v78 :: v_dual_fmac_f32 v12, v63, v79
	s_delay_alu instid0(VALU_DEP_2) | instskip(NEXT) | instid1(VALU_DEP_1)
	v_dual_fmac_f32 v13, v45, v78 :: v_dual_fmac_f32 v14, v60, v80
	v_dual_fmac_f32 v12, v59, v80 :: v_dual_fmac_f32 v13, v65, v79
	s_waitcnt vmcnt(1)
	s_delay_alu instid0(VALU_DEP_2) | instskip(NEXT) | instid1(VALU_DEP_2)
	v_dual_fmac_f32 v11, v66, v79 :: v_dual_fmac_f32 v14, v84, v81
	v_dual_fmac_f32 v12, v83, v81 :: v_dual_fmac_f32 v13, v61, v80
	s_waitcnt vmcnt(0)
	s_delay_alu instid0(VALU_DEP_2) | instskip(NEXT) | instid1(VALU_DEP_2)
	v_dual_fmac_f32 v11, v62, v80 :: v_dual_fmac_f32 v14, v88, v82
	v_dual_fmac_f32 v12, v87, v82 :: v_dual_fmac_f32 v13, v85, v81
	s_delay_alu instid0(VALU_DEP_2) | instskip(NEXT) | instid1(VALU_DEP_2)
	v_fmac_f32_e32 v11, v86, v81
	v_fmac_f32_e32 v13, v89, v82
	s_delay_alu instid0(VALU_DEP_2)
	v_fmac_f32_e32 v11, v90, v82
	s_and_not1_b32 exec_lo, exec_lo, s6
	s_cbranch_execnz .LBB0_33
; %bb.34:
	s_or_b32 exec_lo, exec_lo, s6
.LBB0_35:
	s_delay_alu instid0(SALU_CYCLE_1)
	s_or_b32 exec_lo, exec_lo, s2
.LBB0_36:
	s_delay_alu instid0(SALU_CYCLE_1)
	s_or_b32 exec_lo, exec_lo, s3
.LBB0_37:
	v_mbcnt_lo_u32_b32 v0, -1, 0
	s_mov_b32 s2, -1
	s_delay_alu instid0(VALU_DEP_1) | instskip(NEXT) | instid1(VALU_DEP_1)
	v_xor_b32_e32 v1, 2, v0
	v_cmp_gt_i32_e32 vcc_lo, 32, v1
	v_cndmask_b32_e32 v1, v0, v1, vcc_lo
	s_delay_alu instid0(VALU_DEP_1)
	v_lshlrev_b32_e32 v1, 2, v1
	ds_bpermute_b32 v2, v1, v12
	ds_bpermute_b32 v3, v1, v14
	;; [unrolled: 1-line block ×4, first 2 shown]
	v_xor_b32_e32 v1, 1, v0
	s_delay_alu instid0(VALU_DEP_1) | instskip(SKIP_3) | instid1(VALU_DEP_2)
	v_cmp_gt_i32_e32 vcc_lo, 32, v1
	v_cndmask_b32_e32 v0, v0, v1, vcc_lo
	v_cmp_eq_u32_e32 vcc_lo, 3, v9
	s_waitcnt lgkmcnt(0)
	v_dual_add_f32 v1, v14, v3 :: v_dual_lshlrev_b32 v8, 2, v0
	v_add_f32_e32 v0, v12, v2
	v_dual_add_f32 v2, v13, v5 :: v_dual_add_f32 v3, v11, v6
	ds_bpermute_b32 v6, v8, v1
	ds_bpermute_b32 v5, v8, v0
	;; [unrolled: 1-line block ×4, first 2 shown]
	s_and_b32 exec_lo, exec_lo, vcc_lo
	s_cbranch_execz .LBB0_10
; %bb.38:
	s_load_b64 s[0:1], s[0:1], 0x50
	s_waitcnt lgkmcnt(0)
	v_dual_add_f32 v0, v0, v5 :: v_dual_add_f32 v1, v1, v6
	v_dual_add_f32 v2, v2, v7 :: v_dual_add_f32 v3, v3, v8
	v_cmp_eq_f32_e64 s3, s12, 0
	s_delay_alu instid0(VALU_DEP_3) | instskip(NEXT) | instid1(VALU_DEP_3)
	v_dual_mul_f32 v0, s16, v0 :: v_dual_mul_f32 v1, s16, v1
	v_dual_mul_f32 v2, s16, v2 :: v_dual_mul_f32 v3, s16, v3
	v_lshlrev_b32_e32 v4, 2, v4
	s_delay_alu instid0(VALU_DEP_4)
	s_and_b32 vcc_lo, exec_lo, s3
	s_cbranch_vccz .LBB0_40
; %bb.39:
	s_delay_alu instid0(VALU_DEP_1) | instskip(SKIP_1) | instid1(VALU_DEP_1)
	v_ashrrev_i32_e32 v5, 31, v4
	s_mov_b32 s2, 0
	v_lshlrev_b64 v[5:6], 2, v[4:5]
	s_delay_alu instid0(VALU_DEP_1) | instskip(NEXT) | instid1(VALU_DEP_2)
	v_add_co_u32 v5, vcc_lo, s0, v5
	v_add_co_ci_u32_e32 v6, vcc_lo, s1, v6, vcc_lo
	global_store_b128 v[5:6], v[0:3], off
.LBB0_40:
	s_and_not1_b32 vcc_lo, exec_lo, s2
	s_cbranch_vccnz .LBB0_10
; %bb.41:
	v_ashrrev_i32_e32 v5, 31, v4
	s_delay_alu instid0(VALU_DEP_1) | instskip(NEXT) | instid1(VALU_DEP_1)
	v_lshlrev_b64 v[4:5], 2, v[4:5]
	v_add_co_u32 v8, vcc_lo, s0, v4
	s_delay_alu instid0(VALU_DEP_2)
	v_add_co_ci_u32_e32 v9, vcc_lo, s1, v5, vcc_lo
	global_load_b128 v[4:7], v[8:9], off
	s_waitcnt vmcnt(0)
	v_dual_fmac_f32 v0, s12, v4 :: v_dual_fmac_f32 v1, s12, v5
	v_dual_fmac_f32 v2, s12, v6 :: v_dual_fmac_f32 v3, s12, v7
	global_store_b128 v[8:9], v[0:3], off
	s_nop 0
	s_sendmsg sendmsg(MSG_DEALLOC_VGPRS)
	s_endpgm
	.section	.rodata,"a",@progbits
	.p2align	6, 0x0
	.amdhsa_kernel _ZN9rocsparseL18bsrxmvn_4x4_kernelILj128ELj4EfiifffEEvT3_20rocsparse_direction_NS_24const_host_device_scalarIT1_EES1_PKS1_PKT2_SA_S7_PKT4_PKT5_S5_PT6_21rocsparse_index_base_b
		.amdhsa_group_segment_fixed_size 0
		.amdhsa_private_segment_fixed_size 0
		.amdhsa_kernarg_size 96
		.amdhsa_user_sgpr_count 15
		.amdhsa_user_sgpr_dispatch_ptr 0
		.amdhsa_user_sgpr_queue_ptr 0
		.amdhsa_user_sgpr_kernarg_segment_ptr 1
		.amdhsa_user_sgpr_dispatch_id 0
		.amdhsa_user_sgpr_private_segment_size 0
		.amdhsa_wavefront_size32 1
		.amdhsa_uses_dynamic_stack 0
		.amdhsa_enable_private_segment 0
		.amdhsa_system_sgpr_workgroup_id_x 1
		.amdhsa_system_sgpr_workgroup_id_y 0
		.amdhsa_system_sgpr_workgroup_id_z 0
		.amdhsa_system_sgpr_workgroup_info 0
		.amdhsa_system_vgpr_workitem_id 0
		.amdhsa_next_free_vgpr 96
		.amdhsa_next_free_sgpr 20
		.amdhsa_reserve_vcc 1
		.amdhsa_float_round_mode_32 0
		.amdhsa_float_round_mode_16_64 0
		.amdhsa_float_denorm_mode_32 3
		.amdhsa_float_denorm_mode_16_64 3
		.amdhsa_dx10_clamp 1
		.amdhsa_ieee_mode 1
		.amdhsa_fp16_overflow 0
		.amdhsa_workgroup_processor_mode 1
		.amdhsa_memory_ordered 1
		.amdhsa_forward_progress 0
		.amdhsa_shared_vgpr_count 0
		.amdhsa_exception_fp_ieee_invalid_op 0
		.amdhsa_exception_fp_denorm_src 0
		.amdhsa_exception_fp_ieee_div_zero 0
		.amdhsa_exception_fp_ieee_overflow 0
		.amdhsa_exception_fp_ieee_underflow 0
		.amdhsa_exception_fp_ieee_inexact 0
		.amdhsa_exception_int_div_zero 0
	.end_amdhsa_kernel
	.section	.text._ZN9rocsparseL18bsrxmvn_4x4_kernelILj128ELj4EfiifffEEvT3_20rocsparse_direction_NS_24const_host_device_scalarIT1_EES1_PKS1_PKT2_SA_S7_PKT4_PKT5_S5_PT6_21rocsparse_index_base_b,"axG",@progbits,_ZN9rocsparseL18bsrxmvn_4x4_kernelILj128ELj4EfiifffEEvT3_20rocsparse_direction_NS_24const_host_device_scalarIT1_EES1_PKS1_PKT2_SA_S7_PKT4_PKT5_S5_PT6_21rocsparse_index_base_b,comdat
.Lfunc_end0:
	.size	_ZN9rocsparseL18bsrxmvn_4x4_kernelILj128ELj4EfiifffEEvT3_20rocsparse_direction_NS_24const_host_device_scalarIT1_EES1_PKS1_PKT2_SA_S7_PKT4_PKT5_S5_PT6_21rocsparse_index_base_b, .Lfunc_end0-_ZN9rocsparseL18bsrxmvn_4x4_kernelILj128ELj4EfiifffEEvT3_20rocsparse_direction_NS_24const_host_device_scalarIT1_EES1_PKS1_PKT2_SA_S7_PKT4_PKT5_S5_PT6_21rocsparse_index_base_b
                                        ; -- End function
	.section	.AMDGPU.csdata,"",@progbits
; Kernel info:
; codeLenInByte = 3388
; NumSgprs: 22
; NumVgprs: 96
; ScratchSize: 0
; MemoryBound: 0
; FloatMode: 240
; IeeeMode: 1
; LDSByteSize: 0 bytes/workgroup (compile time only)
; SGPRBlocks: 2
; VGPRBlocks: 11
; NumSGPRsForWavesPerEU: 22
; NumVGPRsForWavesPerEU: 96
; Occupancy: 16
; WaveLimiterHint : 1
; COMPUTE_PGM_RSRC2:SCRATCH_EN: 0
; COMPUTE_PGM_RSRC2:USER_SGPR: 15
; COMPUTE_PGM_RSRC2:TRAP_HANDLER: 0
; COMPUTE_PGM_RSRC2:TGID_X_EN: 1
; COMPUTE_PGM_RSRC2:TGID_Y_EN: 0
; COMPUTE_PGM_RSRC2:TGID_Z_EN: 0
; COMPUTE_PGM_RSRC2:TIDIG_COMP_CNT: 0
	.section	.text._ZN9rocsparseL18bsrxmvn_4x4_kernelILj128ELj8EfiifffEEvT3_20rocsparse_direction_NS_24const_host_device_scalarIT1_EES1_PKS1_PKT2_SA_S7_PKT4_PKT5_S5_PT6_21rocsparse_index_base_b,"axG",@progbits,_ZN9rocsparseL18bsrxmvn_4x4_kernelILj128ELj8EfiifffEEvT3_20rocsparse_direction_NS_24const_host_device_scalarIT1_EES1_PKS1_PKT2_SA_S7_PKT4_PKT5_S5_PT6_21rocsparse_index_base_b,comdat
	.globl	_ZN9rocsparseL18bsrxmvn_4x4_kernelILj128ELj8EfiifffEEvT3_20rocsparse_direction_NS_24const_host_device_scalarIT1_EES1_PKS1_PKT2_SA_S7_PKT4_PKT5_S5_PT6_21rocsparse_index_base_b ; -- Begin function _ZN9rocsparseL18bsrxmvn_4x4_kernelILj128ELj8EfiifffEEvT3_20rocsparse_direction_NS_24const_host_device_scalarIT1_EES1_PKS1_PKT2_SA_S7_PKT4_PKT5_S5_PT6_21rocsparse_index_base_b
	.p2align	8
	.type	_ZN9rocsparseL18bsrxmvn_4x4_kernelILj128ELj8EfiifffEEvT3_20rocsparse_direction_NS_24const_host_device_scalarIT1_EES1_PKS1_PKT2_SA_S7_PKT4_PKT5_S5_PT6_21rocsparse_index_base_b,@function
_ZN9rocsparseL18bsrxmvn_4x4_kernelILj128ELj8EfiifffEEvT3_20rocsparse_direction_NS_24const_host_device_scalarIT1_EES1_PKS1_PKT2_SA_S7_PKT4_PKT5_S5_PT6_21rocsparse_index_base_b: ; @_ZN9rocsparseL18bsrxmvn_4x4_kernelILj128ELj8EfiifffEEvT3_20rocsparse_direction_NS_24const_host_device_scalarIT1_EES1_PKS1_PKT2_SA_S7_PKT4_PKT5_S5_PT6_21rocsparse_index_base_b
; %bb.0:
	s_clause 0x2
	s_load_b64 s[18:19], s[0:1], 0x58
	s_load_b64 s[16:17], s[0:1], 0x8
	s_load_b64 s[12:13], s[0:1], 0x48
	s_waitcnt lgkmcnt(0)
	s_bitcmp1_b32 s19, 0
	s_cselect_b32 s2, -1, 0
	s_delay_alu instid0(SALU_CYCLE_1)
	s_and_b32 vcc_lo, exec_lo, s2
	s_xor_b32 s2, s2, -1
	s_cbranch_vccnz .LBB1_2
; %bb.1:
	s_load_b32 s16, s[16:17], 0x0
.LBB1_2:
	s_and_not1_b32 vcc_lo, exec_lo, s2
	s_cbranch_vccnz .LBB1_4
; %bb.3:
	s_load_b32 s12, s[12:13], 0x0
.LBB1_4:
	s_waitcnt lgkmcnt(0)
	v_cmp_neq_f32_e64 s2, s16, 0
	v_cmp_neq_f32_e64 s3, s12, 1.0
	s_mov_b32 s6, 0
	s_delay_alu instid0(VALU_DEP_1) | instskip(NEXT) | instid1(SALU_CYCLE_1)
	s_or_b32 s2, s2, s3
	s_and_not1_b32 vcc_lo, exec_lo, s2
	s_cbranch_vccnz .LBB1_10
; %bb.5:
	s_clause 0x1
	s_load_b64 s[4:5], s[0:1], 0x18
	s_load_b64 s[2:3], s[0:1], 0x0
	v_lshrrev_b32_e32 v1, 3, v0
	s_delay_alu instid0(VALU_DEP_1)
	v_lshl_or_b32 v4, s15, 4, v1
	s_waitcnt lgkmcnt(0)
	s_cmp_lg_u64 s[4:5], 0
	s_cbranch_scc0 .LBB1_11
; %bb.6:
	s_load_b32 s6, s[0:1], 0x10
	s_mov_b32 s7, 0
                                        ; implicit-def: $vgpr1
	s_waitcnt lgkmcnt(0)
	v_cmp_gt_i32_e32 vcc_lo, s6, v4
	s_mov_b32 s6, 0
	s_and_saveexec_b32 s8, vcc_lo
	s_delay_alu instid0(SALU_CYCLE_1)
	s_xor_b32 s8, exec_lo, s8
	s_cbranch_execz .LBB1_8
; %bb.7:
	v_ashrrev_i32_e32 v5, 31, v4
	s_mov_b32 s6, exec_lo
	s_delay_alu instid0(VALU_DEP_1) | instskip(NEXT) | instid1(VALU_DEP_1)
	v_lshlrev_b64 v[1:2], 2, v[4:5]
	v_add_co_u32 v1, vcc_lo, s4, v1
	s_delay_alu instid0(VALU_DEP_2)
	v_add_co_ci_u32_e32 v2, vcc_lo, s5, v2, vcc_lo
	global_load_b32 v1, v[1:2], off
	s_waitcnt vmcnt(0)
	v_subrev_nc_u32_e32 v1, s18, v1
.LBB1_8:
	s_or_b32 exec_lo, exec_lo, s8
	s_delay_alu instid0(SALU_CYCLE_1)
	s_and_b32 vcc_lo, exec_lo, s7
	s_cbranch_vccz .LBB1_12
.LBB1_9:
	v_cmp_gt_i32_e32 vcc_lo, s2, v4
	s_and_not1_b32 s2, s6, exec_lo
	s_and_b32 s4, vcc_lo, exec_lo
	s_delay_alu instid0(SALU_CYCLE_1) | instskip(NEXT) | instid1(SALU_CYCLE_1)
	s_or_b32 s6, s2, s4
	s_and_saveexec_b32 s2, s6
	s_cbranch_execnz .LBB1_13
.LBB1_10:
	s_nop 0
	s_sendmsg sendmsg(MSG_DEALLOC_VGPRS)
	s_endpgm
.LBB1_11:
                                        ; implicit-def: $vgpr1
	s_cbranch_execnz .LBB1_9
.LBB1_12:
	s_delay_alu instid0(VALU_DEP_1)
	v_mov_b32_e32 v4, v1
	s_and_saveexec_b32 s2, s6
	s_cbranch_execz .LBB1_10
.LBB1_13:
	s_load_b256 s[4:11], s[0:1], 0x20
	s_delay_alu instid0(VALU_DEP_1) | instskip(SKIP_1) | instid1(VALU_DEP_2)
	v_ashrrev_i32_e32 v5, 31, v4
	v_and_b32_e32 v9, 7, v0
	v_lshlrev_b64 v[1:2], 2, v[4:5]
	s_waitcnt lgkmcnt(0)
	s_delay_alu instid0(VALU_DEP_1) | instskip(NEXT) | instid1(VALU_DEP_2)
	v_add_co_u32 v5, vcc_lo, s4, v1
	v_add_co_ci_u32_e32 v6, vcc_lo, s5, v2, vcc_lo
	v_add_co_u32 v1, vcc_lo, s6, v1
	v_add_co_ci_u32_e32 v2, vcc_lo, s7, v2, vcc_lo
	global_load_b32 v15, v[5:6], off
	v_add_co_u32 v3, vcc_lo, v5, 4
	v_add_co_ci_u32_e32 v5, vcc_lo, 0, v6, vcc_lo
	s_cmp_eq_u64 s[6:7], 0
	s_load_b64 s[4:5], s[0:1], 0x40
	s_cselect_b32 vcc_lo, -1, 0
	s_cmp_eq_u32 s3, 1
	v_dual_cndmask_b32 v2, v2, v5 :: v_dual_cndmask_b32 v1, v1, v3
	global_load_b32 v5, v[1:2], off
	s_waitcnt vmcnt(1)
	v_subrev_nc_u32_e32 v0, s18, v15
	s_delay_alu instid0(VALU_DEP_1) | instskip(NEXT) | instid1(VALU_DEP_1)
	v_add_nc_u32_e32 v0, v0, v9
	v_ashrrev_i32_e32 v1, 31, v0
	s_waitcnt vmcnt(0)
	v_subrev_nc_u32_e32 v11, s18, v5
	s_delay_alu instid0(VALU_DEP_2) | instskip(NEXT) | instid1(VALU_DEP_2)
	v_lshlrev_b64 v[2:3], 6, v[0:1]
	v_cmp_lt_i32_e64 s2, v0, v11
	s_delay_alu instid0(VALU_DEP_2) | instskip(NEXT) | instid1(VALU_DEP_3)
	v_add_co_u32 v2, vcc_lo, s10, v2
	v_add_co_ci_u32_e32 v3, vcc_lo, s11, v3, vcc_lo
	s_cbranch_scc1 .LBB1_25
; %bb.14:
	v_dual_mov_b32 v10, 0 :: v_dual_mov_b32 v13, 0
	v_mov_b32_e32 v14, 0
	v_mov_b32_e32 v12, 0
	s_mov_b32 s3, 0
	s_and_saveexec_b32 s6, s2
	s_cbranch_execz .LBB1_24
; %bb.15:
	v_dual_mov_b32 v12, 0 :: v_dual_add_nc_u32 v1, v15, v9
	v_not_b32_e32 v5, v15
	s_mov_b32 s10, 0
	s_mov_b32 s7, exec_lo
	s_delay_alu instid0(VALU_DEP_2) | instskip(SKIP_3) | instid1(VALU_DEP_4)
	v_subrev_nc_u32_e32 v1, s18, v1
	v_mov_b32_e32 v14, 0
	v_mov_b32_e32 v10, 0
	v_dual_mov_b32 v8, v3 :: v_dual_mov_b32 v13, 0
	v_add_nc_u32_e32 v1, 8, v1
	v_mov_b32_e32 v7, v2
	s_delay_alu instid0(VALU_DEP_2) | instskip(NEXT) | instid1(VALU_DEP_1)
	v_max_i32_e32 v1, v1, v11
	v_add3_u32 v1, v1, s18, v5
	s_delay_alu instid0(VALU_DEP_1) | instskip(NEXT) | instid1(VALU_DEP_1)
	v_sub_nc_u32_e32 v1, v1, v9
	v_lshrrev_b32_e32 v5, 3, v1
	s_delay_alu instid0(VALU_DEP_1) | instskip(NEXT) | instid1(VALU_DEP_1)
	v_add_nc_u32_e32 v5, 1, v5
	v_dual_mov_b32 v5, v0 :: v_dual_and_b32 v6, 3, v5
	s_delay_alu instid0(VALU_DEP_1)
	v_cmpx_ne_u32_e32 0, v6
	s_cbranch_execz .LBB1_19
; %bb.16:
	v_dual_mov_b32 v8, v3 :: v_dual_mov_b32 v13, 0
	v_dual_mov_b32 v7, v2 :: v_dual_lshlrev_b32 v16, 6, v6
	v_dual_mov_b32 v10, 0 :: v_dual_mov_b32 v5, v0
	v_mov_b32_e32 v14, 0
	v_mov_b32_e32 v12, 0
.LBB1_17:                               ; =>This Inner Loop Header: Depth=1
	s_delay_alu instid0(VALU_DEP_3) | instskip(SKIP_1) | instid1(VALU_DEP_2)
	v_ashrrev_i32_e32 v6, 31, v5
	v_subrev_nc_u32_e32 v16, 64, v16
	v_lshlrev_b64 v[17:18], 2, v[5:6]
	v_add_nc_u32_e32 v5, 8, v5
	s_delay_alu instid0(VALU_DEP_2) | instskip(NEXT) | instid1(VALU_DEP_3)
	v_add_co_u32 v17, vcc_lo, s8, v17
	v_add_co_ci_u32_e32 v18, vcc_lo, s9, v18, vcc_lo
	global_load_b32 v6, v[17:18], off
	s_clause 0x2
	global_load_b128 v[17:20], v[7:8], off offset:48
	global_load_b128 v[21:24], v[7:8], off offset:32
	;; [unrolled: 1-line block ×3, first 2 shown]
	s_waitcnt vmcnt(3)
	v_subrev_nc_u32_e32 v6, s18, v6
	s_delay_alu instid0(VALU_DEP_1) | instskip(NEXT) | instid1(VALU_DEP_1)
	v_lshlrev_b32_e32 v29, 2, v6
	v_ashrrev_i32_e32 v30, 31, v29
	s_delay_alu instid0(VALU_DEP_1) | instskip(SKIP_1) | instid1(VALU_DEP_1)
	v_lshlrev_b64 v[29:30], 2, v[29:30]
	s_waitcnt lgkmcnt(0)
	v_add_co_u32 v33, vcc_lo, s4, v29
	s_delay_alu instid0(VALU_DEP_2)
	v_add_co_ci_u32_e32 v34, vcc_lo, s5, v30, vcc_lo
	global_load_b128 v[29:32], v[7:8], off
	global_load_b128 v[33:36], v[33:34], off
	v_add_co_u32 v7, vcc_lo, 0x200, v7
	v_add_co_ci_u32_e32 v8, vcc_lo, 0, v8, vcc_lo
	v_cmp_eq_u32_e32 vcc_lo, 0, v16
	s_or_b32 s10, vcc_lo, s10
	s_waitcnt vmcnt(0)
	v_fmac_f32_e32 v14, v25, v33
	v_fmac_f32_e32 v13, v21, v33
	;; [unrolled: 1-line block ×3, first 2 shown]
	s_delay_alu instid0(VALU_DEP_3) | instskip(NEXT) | instid1(VALU_DEP_3)
	v_fmac_f32_e32 v14, v26, v34
	v_dual_fmac_f32 v13, v22, v34 :: v_dual_fmac_f32 v10, v17, v33
	s_delay_alu instid0(VALU_DEP_3) | instskip(NEXT) | instid1(VALU_DEP_3)
	v_fmac_f32_e32 v12, v30, v34
	v_fmac_f32_e32 v14, v27, v35
	s_delay_alu instid0(VALU_DEP_3) | instskip(NEXT) | instid1(VALU_DEP_3)
	v_dual_fmac_f32 v13, v23, v35 :: v_dual_fmac_f32 v10, v18, v34
	v_fmac_f32_e32 v12, v31, v35
	s_delay_alu instid0(VALU_DEP_3) | instskip(NEXT) | instid1(VALU_DEP_3)
	v_fmac_f32_e32 v14, v28, v36
	v_dual_fmac_f32 v13, v24, v36 :: v_dual_fmac_f32 v10, v19, v35
	s_delay_alu instid0(VALU_DEP_3) | instskip(NEXT) | instid1(VALU_DEP_2)
	v_fmac_f32_e32 v12, v32, v36
	v_fmac_f32_e32 v10, v20, v36
	s_and_not1_b32 exec_lo, exec_lo, s10
	s_cbranch_execnz .LBB1_17
; %bb.18:
	s_or_b32 exec_lo, exec_lo, s10
.LBB1_19:
	s_delay_alu instid0(SALU_CYCLE_1) | instskip(NEXT) | instid1(SALU_CYCLE_1)
	s_or_b32 exec_lo, exec_lo, s7
	s_mov_b32 s7, exec_lo
	v_cmpx_lt_u32_e32 23, v1
	s_cbranch_execz .LBB1_23
; %bb.20:
	s_mov_b32 s10, 0
.LBB1_21:                               ; =>This Inner Loop Header: Depth=1
	v_ashrrev_i32_e32 v6, 31, v5
	s_delay_alu instid0(VALU_DEP_1) | instskip(SKIP_1) | instid1(VALU_DEP_2)
	v_lshlrev_b64 v[16:17], 2, v[5:6]
	v_add_nc_u32_e32 v5, 32, v5
	v_add_co_u32 v16, vcc_lo, s8, v16
	s_delay_alu instid0(VALU_DEP_3)
	v_add_co_ci_u32_e32 v17, vcc_lo, s9, v17, vcc_lo
	s_clause 0x3
	global_load_b32 v1, v[16:17], off
	global_load_b32 v6, v[16:17], off offset:32
	global_load_b32 v80, v[16:17], off offset:64
	;; [unrolled: 1-line block ×3, first 2 shown]
	s_clause 0xf
	global_load_b128 v[16:19], v[7:8], off offset:48
	global_load_b128 v[20:23], v[7:8], off offset:32
	;; [unrolled: 1-line block ×3, first 2 shown]
	global_load_b128 v[28:31], v[7:8], off
	global_load_b128 v[32:35], v[7:8], off offset:560
	global_load_b128 v[36:39], v[7:8], off offset:544
	;; [unrolled: 1-line block ×12, first 2 shown]
	s_waitcnt vmcnt(19)
	v_subrev_nc_u32_e32 v1, s18, v1
	s_waitcnt vmcnt(18)
	v_subrev_nc_u32_e32 v6, s18, v6
	;; [unrolled: 2-line block ×4, first 2 shown]
	v_lshlrev_b32_e32 v80, 2, v1
	s_delay_alu instid0(VALU_DEP_3) | instskip(NEXT) | instid1(VALU_DEP_3)
	v_lshlrev_b32_e32 v88, 2, v82
	v_lshlrev_b32_e32 v92, 2, v81
	s_delay_alu instid0(VALU_DEP_3) | instskip(NEXT) | instid1(VALU_DEP_1)
	v_ashrrev_i32_e32 v81, 31, v80
	v_lshlrev_b64 v[80:81], 2, v[80:81]
	s_waitcnt lgkmcnt(0)
	s_delay_alu instid0(VALU_DEP_1) | instskip(NEXT) | instid1(VALU_DEP_2)
	v_add_co_u32 v80, vcc_lo, s4, v80
	v_add_co_ci_u32_e32 v81, vcc_lo, s5, v81, vcc_lo
	global_load_b128 v[80:83], v[80:81], off
	v_lshlrev_b32_e32 v84, 2, v6
	s_delay_alu instid0(VALU_DEP_1) | instskip(NEXT) | instid1(VALU_DEP_1)
	v_ashrrev_i32_e32 v85, 31, v84
	v_lshlrev_b64 v[84:85], 2, v[84:85]
	s_delay_alu instid0(VALU_DEP_1) | instskip(NEXT) | instid1(VALU_DEP_2)
	v_add_co_u32 v84, vcc_lo, s4, v84
	v_add_co_ci_u32_e32 v85, vcc_lo, s5, v85, vcc_lo
	global_load_b128 v[84:87], v[84:85], off
	s_waitcnt vmcnt(1)
	v_fmac_f32_e32 v13, v20, v80
	s_delay_alu instid0(VALU_DEP_1) | instskip(SKIP_1) | instid1(VALU_DEP_2)
	v_fmac_f32_e32 v13, v21, v81
	v_ashrrev_i32_e32 v89, 31, v88
	v_fmac_f32_e32 v13, v22, v82
	s_delay_alu instid0(VALU_DEP_2) | instskip(NEXT) | instid1(VALU_DEP_2)
	v_lshlrev_b64 v[88:89], 2, v[88:89]
	v_fmac_f32_e32 v13, v23, v83
	v_ashrrev_i32_e32 v93, 31, v92
	s_delay_alu instid0(VALU_DEP_3) | instskip(NEXT) | instid1(VALU_DEP_4)
	v_add_co_u32 v88, vcc_lo, s4, v88
	v_add_co_ci_u32_e32 v89, vcc_lo, s5, v89, vcc_lo
	s_delay_alu instid0(VALU_DEP_3)
	v_lshlrev_b64 v[92:93], 2, v[92:93]
	global_load_b128 v[88:91], v[88:89], off
	s_waitcnt vmcnt(1)
	v_fmac_f32_e32 v13, v36, v84
	v_fmac_f32_e32 v12, v28, v80
	v_add_co_u32 v92, vcc_lo, s4, v92
	v_add_co_ci_u32_e32 v93, vcc_lo, s5, v93, vcc_lo
	s_delay_alu instid0(VALU_DEP_4)
	v_dual_fmac_f32 v13, v37, v85 :: v_dual_fmac_f32 v14, v24, v80
	v_add_co_u32 v7, vcc_lo, 0x800, v7
	global_load_b128 v[92:95], v[92:93], off
	v_dual_fmac_f32 v13, v38, v86 :: v_dual_fmac_f32 v10, v16, v80
	v_add_co_ci_u32_e32 v8, vcc_lo, 0, v8, vcc_lo
	v_cmp_ge_i32_e32 vcc_lo, v5, v11
	s_delay_alu instid0(VALU_DEP_3) | instskip(SKIP_2) | instid1(VALU_DEP_1)
	v_dual_fmac_f32 v13, v39, v87 :: v_dual_fmac_f32 v12, v29, v81
	s_or_b32 s10, vcc_lo, s10
	s_waitcnt vmcnt(1)
	v_dual_fmac_f32 v13, v52, v88 :: v_dual_fmac_f32 v12, v30, v82
	s_delay_alu instid0(VALU_DEP_1) | instskip(SKIP_1) | instid1(VALU_DEP_2)
	v_fmac_f32_e32 v13, v53, v89
	v_fmac_f32_e32 v14, v25, v81
	v_dual_fmac_f32 v12, v31, v83 :: v_dual_fmac_f32 v13, v54, v90
	s_delay_alu instid0(VALU_DEP_1) | instskip(SKIP_1) | instid1(VALU_DEP_1)
	v_dual_fmac_f32 v10, v17, v81 :: v_dual_fmac_f32 v13, v55, v91
	s_waitcnt vmcnt(0)
	v_dual_fmac_f32 v14, v26, v82 :: v_dual_fmac_f32 v13, v68, v92
	s_delay_alu instid0(VALU_DEP_1) | instskip(NEXT) | instid1(VALU_DEP_2)
	v_dual_fmac_f32 v10, v18, v82 :: v_dual_fmac_f32 v13, v69, v93
	v_fmac_f32_e32 v14, v27, v83
	s_delay_alu instid0(VALU_DEP_2) | instskip(SKIP_1) | instid1(VALU_DEP_3)
	v_dual_fmac_f32 v10, v19, v83 :: v_dual_fmac_f32 v13, v70, v94
	v_fmac_f32_e32 v12, v44, v84
	v_fmac_f32_e32 v14, v40, v84
	s_delay_alu instid0(VALU_DEP_3) | instskip(NEXT) | instid1(VALU_DEP_3)
	v_dual_fmac_f32 v10, v32, v84 :: v_dual_fmac_f32 v13, v71, v95
	v_fmac_f32_e32 v12, v45, v85
	s_delay_alu instid0(VALU_DEP_3) | instskip(NEXT) | instid1(VALU_DEP_3)
	v_fmac_f32_e32 v14, v41, v85
	v_fmac_f32_e32 v10, v33, v85
	s_delay_alu instid0(VALU_DEP_3) | instskip(NEXT) | instid1(VALU_DEP_3)
	v_fmac_f32_e32 v12, v46, v86
	;; [unrolled: 3-line block ×16, first 2 shown]
	v_fmac_f32_e32 v10, v67, v95
	s_and_not1_b32 exec_lo, exec_lo, s10
	s_cbranch_execnz .LBB1_21
; %bb.22:
	s_or_b32 exec_lo, exec_lo, s10
.LBB1_23:
	s_delay_alu instid0(SALU_CYCLE_1)
	s_or_b32 exec_lo, exec_lo, s7
.LBB1_24:
	s_delay_alu instid0(SALU_CYCLE_1) | instskip(NEXT) | instid1(SALU_CYCLE_1)
	s_or_b32 exec_lo, exec_lo, s6
	s_and_not1_b32 vcc_lo, exec_lo, s3
	s_cbranch_vccz .LBB1_26
	s_branch .LBB1_37
.LBB1_25:
                                        ; implicit-def: $vgpr10
                                        ; implicit-def: $vgpr13
                                        ; implicit-def: $vgpr14
                                        ; implicit-def: $vgpr12
.LBB1_26:
	v_dual_mov_b32 v10, 0 :: v_dual_mov_b32 v13, 0
	v_mov_b32_e32 v14, 0
	v_mov_b32_e32 v12, 0
	s_and_saveexec_b32 s3, s2
	s_cbranch_execz .LBB1_36
; %bb.27:
	v_dual_mov_b32 v12, 0 :: v_dual_add_nc_u32 v1, v15, v9
	v_not_b32_e32 v5, v15
	v_mov_b32_e32 v13, 0
	s_mov_b32 s6, 0
	s_delay_alu instid0(VALU_DEP_3) | instskip(SKIP_2) | instid1(VALU_DEP_2)
	v_subrev_nc_u32_e32 v1, s18, v1
	s_mov_b32 s2, exec_lo
	v_mov_b32_e32 v14, 0
	v_dual_mov_b32 v10, 0 :: v_dual_add_nc_u32 v1, 8, v1
	s_delay_alu instid0(VALU_DEP_1) | instskip(NEXT) | instid1(VALU_DEP_1)
	v_max_i32_e32 v1, v1, v11
	v_add3_u32 v1, v1, s18, v5
	s_delay_alu instid0(VALU_DEP_1) | instskip(NEXT) | instid1(VALU_DEP_1)
	v_sub_nc_u32_e32 v5, v1, v9
	v_lshrrev_b32_e32 v1, 3, v5
	s_delay_alu instid0(VALU_DEP_1) | instskip(NEXT) | instid1(VALU_DEP_1)
	v_add_nc_u32_e32 v1, 1, v1
	v_and_b32_e32 v1, 3, v1
	s_delay_alu instid0(VALU_DEP_1)
	v_cmpx_ne_u32_e32 0, v1
	s_cbranch_execz .LBB1_31
; %bb.28:
	v_dual_mov_b32 v13, 0 :: v_dual_lshlrev_b32 v6, 6, v1
	v_mov_b32_e32 v10, 0
	v_mov_b32_e32 v14, 0
	;; [unrolled: 1-line block ×3, first 2 shown]
.LBB1_29:                               ; =>This Inner Loop Header: Depth=1
	v_ashrrev_i32_e32 v1, 31, v0
	v_subrev_nc_u32_e32 v6, 64, v6
	s_delay_alu instid0(VALU_DEP_2) | instskip(SKIP_1) | instid1(VALU_DEP_2)
	v_lshlrev_b64 v[7:8], 2, v[0:1]
	v_add_nc_u32_e32 v0, 8, v0
	v_add_co_u32 v7, vcc_lo, s8, v7
	s_delay_alu instid0(VALU_DEP_3) | instskip(SKIP_4) | instid1(VALU_DEP_1)
	v_add_co_ci_u32_e32 v8, vcc_lo, s9, v8, vcc_lo
	global_load_b32 v1, v[7:8], off
	global_load_b128 v[15:18], v[2:3], off offset:16
	s_waitcnt vmcnt(1)
	v_subrev_nc_u32_e32 v1, s18, v1
	v_lshlrev_b32_e32 v7, 2, v1
	s_delay_alu instid0(VALU_DEP_1) | instskip(NEXT) | instid1(VALU_DEP_1)
	v_ashrrev_i32_e32 v8, 31, v7
	v_lshlrev_b64 v[7:8], 2, v[7:8]
	s_waitcnt lgkmcnt(0)
	s_delay_alu instid0(VALU_DEP_1) | instskip(NEXT) | instid1(VALU_DEP_2)
	v_add_co_u32 v7, vcc_lo, s4, v7
	v_add_co_ci_u32_e32 v8, vcc_lo, s5, v8, vcc_lo
	global_load_b128 v[19:22], v[2:3], off
	global_load_b128 v[23:26], v[7:8], off
	s_clause 0x1
	global_load_b128 v[27:30], v[2:3], off offset:32
	global_load_b128 v[31:34], v[2:3], off offset:48
	v_add_co_u32 v2, vcc_lo, 0x200, v2
	v_add_co_ci_u32_e32 v3, vcc_lo, 0, v3, vcc_lo
	v_cmp_eq_u32_e32 vcc_lo, 0, v6
	s_or_b32 s6, vcc_lo, s6
	s_waitcnt vmcnt(2)
	v_fmac_f32_e32 v12, v19, v23
	s_delay_alu instid0(VALU_DEP_1) | instskip(NEXT) | instid1(VALU_DEP_1)
	v_dual_fmac_f32 v13, v21, v23 :: v_dual_fmac_f32 v12, v15, v24
	v_dual_fmac_f32 v14, v20, v23 :: v_dual_fmac_f32 v13, v17, v24
	v_fmac_f32_e32 v10, v22, v23
	s_waitcnt vmcnt(1)
	s_delay_alu instid0(VALU_DEP_3) | instskip(NEXT) | instid1(VALU_DEP_3)
	v_fmac_f32_e32 v12, v27, v25
	v_dual_fmac_f32 v13, v29, v25 :: v_dual_fmac_f32 v14, v16, v24
	s_delay_alu instid0(VALU_DEP_3) | instskip(SKIP_1) | instid1(VALU_DEP_3)
	v_fmac_f32_e32 v10, v18, v24
	s_waitcnt vmcnt(0)
	v_fmac_f32_e32 v12, v31, v26
	s_delay_alu instid0(VALU_DEP_3) | instskip(NEXT) | instid1(VALU_DEP_3)
	v_dual_fmac_f32 v13, v33, v26 :: v_dual_fmac_f32 v14, v28, v25
	v_fmac_f32_e32 v10, v30, v25
	s_delay_alu instid0(VALU_DEP_2) | instskip(NEXT) | instid1(VALU_DEP_2)
	v_fmac_f32_e32 v14, v32, v26
	v_fmac_f32_e32 v10, v34, v26
	s_and_not1_b32 exec_lo, exec_lo, s6
	s_cbranch_execnz .LBB1_29
; %bb.30:
	s_or_b32 exec_lo, exec_lo, s6
.LBB1_31:
	s_delay_alu instid0(SALU_CYCLE_1) | instskip(NEXT) | instid1(SALU_CYCLE_1)
	s_or_b32 exec_lo, exec_lo, s2
	s_mov_b32 s2, exec_lo
	v_cmpx_lt_u32_e32 23, v5
	s_cbranch_execz .LBB1_35
; %bb.32:
	s_mov_b32 s6, 0
.LBB1_33:                               ; =>This Inner Loop Header: Depth=1
	v_ashrrev_i32_e32 v1, 31, v0
	s_delay_alu instid0(VALU_DEP_1) | instskip(SKIP_1) | instid1(VALU_DEP_2)
	v_lshlrev_b64 v[5:6], 2, v[0:1]
	v_add_nc_u32_e32 v0, 32, v0
	v_add_co_u32 v5, vcc_lo, s8, v5
	s_delay_alu instid0(VALU_DEP_3)
	v_add_co_ci_u32_e32 v6, vcc_lo, s9, v6, vcc_lo
	s_clause 0x3
	global_load_b32 v1, v[5:6], off
	global_load_b32 v67, v[5:6], off offset:32
	global_load_b32 v68, v[5:6], off offset:64
	global_load_b32 v69, v[5:6], off offset:96
	s_clause 0xd
	global_load_b128 v[5:8], v[2:3], off offset:48
	global_load_b128 v[15:18], v[2:3], off offset:32
	;; [unrolled: 1-line block ×3, first 2 shown]
	global_load_b128 v[23:26], v[2:3], off
	global_load_b128 v[27:30], v[2:3], off offset:560
	global_load_b128 v[31:34], v[2:3], off offset:544
	;; [unrolled: 1-line block ×10, first 2 shown]
	s_waitcnt vmcnt(17)
	v_subrev_nc_u32_e32 v1, s18, v1
	s_waitcnt vmcnt(16)
	v_subrev_nc_u32_e32 v70, s18, v67
	;; [unrolled: 2-line block ×4, first 2 shown]
	v_lshlrev_b32_e32 v67, 2, v1
	v_lshlrev_b32_e32 v71, 2, v70
	;; [unrolled: 1-line block ×3, first 2 shown]
	s_delay_alu instid0(VALU_DEP_4) | instskip(NEXT) | instid1(VALU_DEP_4)
	v_lshlrev_b32_e32 v79, 2, v69
	v_ashrrev_i32_e32 v68, 31, v67
	s_delay_alu instid0(VALU_DEP_4) | instskip(NEXT) | instid1(VALU_DEP_2)
	v_ashrrev_i32_e32 v72, 31, v71
	v_lshlrev_b64 v[67:68], 2, v[67:68]
	s_delay_alu instid0(VALU_DEP_2) | instskip(SKIP_1) | instid1(VALU_DEP_2)
	v_lshlrev_b64 v[71:72], 2, v[71:72]
	s_waitcnt lgkmcnt(0)
	v_add_co_u32 v67, vcc_lo, s4, v67
	s_delay_alu instid0(VALU_DEP_3) | instskip(NEXT) | instid1(VALU_DEP_3)
	v_add_co_ci_u32_e32 v68, vcc_lo, s5, v68, vcc_lo
	v_add_co_u32 v71, vcc_lo, s4, v71
	s_delay_alu instid0(VALU_DEP_4)
	v_add_co_ci_u32_e32 v72, vcc_lo, s5, v72, vcc_lo
	s_clause 0x1
	global_load_b128 v[67:70], v[67:68], off
	global_load_b128 v[71:74], v[71:72], off
	s_waitcnt vmcnt(1)
	v_fmac_f32_e32 v14, v24, v67
	v_ashrrev_i32_e32 v76, 31, v75
	v_fmac_f32_e32 v10, v26, v67
	v_ashrrev_i32_e32 v80, 31, v79
	v_fmac_f32_e32 v12, v23, v67
	v_dual_fmac_f32 v13, v25, v67 :: v_dual_fmac_f32 v14, v20, v68
	v_lshlrev_b64 v[75:76], 2, v[75:76]
	s_delay_alu instid0(VALU_DEP_4) | instskip(NEXT) | instid1(VALU_DEP_4)
	v_lshlrev_b64 v[79:80], 2, v[79:80]
	v_fmac_f32_e32 v12, v19, v68
	s_delay_alu instid0(VALU_DEP_4) | instskip(NEXT) | instid1(VALU_DEP_4)
	v_fmac_f32_e32 v13, v21, v68
	v_add_co_u32 v75, vcc_lo, s4, v75
	s_delay_alu instid0(VALU_DEP_3)
	v_fmac_f32_e32 v12, v15, v69
	v_add_co_ci_u32_e32 v76, vcc_lo, s5, v76, vcc_lo
	v_add_co_u32 v79, vcc_lo, s4, v79
	v_add_co_ci_u32_e32 v80, vcc_lo, s5, v80, vcc_lo
	s_clause 0x1
	global_load_b128 v[75:78], v[75:76], off
	global_load_b128 v[79:82], v[79:80], off
	s_clause 0x1
	global_load_b128 v[83:86], v[2:3], off offset:1568
	global_load_b128 v[87:90], v[2:3], off offset:1584
	v_dual_fmac_f32 v10, v22, v68 :: v_dual_fmac_f32 v13, v17, v69
	v_fmac_f32_e32 v14, v16, v69
	v_fmac_f32_e32 v12, v5, v70
	v_add_co_u32 v2, vcc_lo, 0x800, v2
	s_delay_alu instid0(VALU_DEP_4) | instskip(SKIP_3) | instid1(VALU_DEP_3)
	v_dual_fmac_f32 v13, v7, v70 :: v_dual_fmac_f32 v10, v18, v69
	v_add_co_ci_u32_e32 v3, vcc_lo, 0, v3, vcc_lo
	v_cmp_ge_i32_e32 vcc_lo, v0, v11
	s_waitcnt vmcnt(4)
	v_dual_fmac_f32 v13, v41, v71 :: v_dual_fmac_f32 v14, v6, v70
	s_or_b32 s6, vcc_lo, s6
	s_delay_alu instid0(VALU_DEP_1) | instskip(NEXT) | instid1(VALU_DEP_1)
	v_dual_fmac_f32 v13, v37, v72 :: v_dual_fmac_f32 v10, v8, v70
	v_dual_fmac_f32 v13, v33, v73 :: v_dual_fmac_f32 v12, v39, v71
	s_delay_alu instid0(VALU_DEP_1) | instskip(SKIP_1) | instid1(VALU_DEP_1)
	v_dual_fmac_f32 v13, v29, v74 :: v_dual_fmac_f32 v12, v35, v72
	s_waitcnt vmcnt(3)
	v_fmac_f32_e32 v13, v57, v75
	s_delay_alu instid0(VALU_DEP_1) | instskip(NEXT) | instid1(VALU_DEP_1)
	v_dual_fmac_f32 v14, v40, v71 :: v_dual_fmac_f32 v13, v53, v76
	v_dual_fmac_f32 v10, v42, v71 :: v_dual_fmac_f32 v13, v49, v77
	s_delay_alu instid0(VALU_DEP_1) | instskip(SKIP_1) | instid1(VALU_DEP_1)
	v_dual_fmac_f32 v14, v36, v72 :: v_dual_fmac_f32 v13, v45, v78
	s_waitcnt vmcnt(2)
	v_dual_fmac_f32 v10, v38, v72 :: v_dual_fmac_f32 v13, v65, v79
	v_fmac_f32_e32 v12, v31, v73
	s_delay_alu instid0(VALU_DEP_2) | instskip(NEXT) | instid1(VALU_DEP_2)
	v_dual_fmac_f32 v10, v34, v73 :: v_dual_fmac_f32 v13, v61, v80
	v_fmac_f32_e32 v12, v27, v74
	s_waitcnt vmcnt(1)
	s_delay_alu instid0(VALU_DEP_2) | instskip(SKIP_1) | instid1(VALU_DEP_3)
	v_dual_fmac_f32 v10, v30, v74 :: v_dual_fmac_f32 v13, v85, v81
	v_fmac_f32_e32 v14, v32, v73
	v_fmac_f32_e32 v12, v55, v75
	s_waitcnt vmcnt(0)
	s_delay_alu instid0(VALU_DEP_3) | instskip(NEXT) | instid1(VALU_DEP_3)
	v_dual_fmac_f32 v10, v58, v75 :: v_dual_fmac_f32 v13, v89, v82
	v_fmac_f32_e32 v14, v28, v74
	s_delay_alu instid0(VALU_DEP_3) | instskip(NEXT) | instid1(VALU_DEP_3)
	v_fmac_f32_e32 v12, v51, v76
	v_fmac_f32_e32 v10, v54, v76
	s_delay_alu instid0(VALU_DEP_3) | instskip(NEXT) | instid1(VALU_DEP_3)
	v_fmac_f32_e32 v14, v56, v75
	v_fmac_f32_e32 v12, v47, v77
	s_delay_alu instid0(VALU_DEP_3) | instskip(NEXT) | instid1(VALU_DEP_3)
	v_fmac_f32_e32 v10, v50, v77
	v_fmac_f32_e32 v14, v52, v76
	s_delay_alu instid0(VALU_DEP_3) | instskip(NEXT) | instid1(VALU_DEP_3)
	v_fmac_f32_e32 v12, v43, v78
	v_fmac_f32_e32 v10, v46, v78
	s_delay_alu instid0(VALU_DEP_3) | instskip(NEXT) | instid1(VALU_DEP_3)
	v_fmac_f32_e32 v14, v48, v77
	v_fmac_f32_e32 v12, v63, v79
	s_delay_alu instid0(VALU_DEP_3) | instskip(NEXT) | instid1(VALU_DEP_3)
	v_fmac_f32_e32 v10, v66, v79
	v_fmac_f32_e32 v14, v44, v78
	s_delay_alu instid0(VALU_DEP_3) | instskip(NEXT) | instid1(VALU_DEP_3)
	v_fmac_f32_e32 v12, v59, v80
	v_fmac_f32_e32 v10, v62, v80
	s_delay_alu instid0(VALU_DEP_3) | instskip(NEXT) | instid1(VALU_DEP_3)
	v_fmac_f32_e32 v14, v64, v79
	v_fmac_f32_e32 v12, v83, v81
	s_delay_alu instid0(VALU_DEP_3) | instskip(NEXT) | instid1(VALU_DEP_3)
	v_fmac_f32_e32 v10, v86, v81
	v_fmac_f32_e32 v14, v60, v80
	s_delay_alu instid0(VALU_DEP_3) | instskip(NEXT) | instid1(VALU_DEP_3)
	v_fmac_f32_e32 v12, v87, v82
	v_fmac_f32_e32 v10, v90, v82
	s_delay_alu instid0(VALU_DEP_3) | instskip(NEXT) | instid1(VALU_DEP_1)
	v_fmac_f32_e32 v14, v84, v81
	v_fmac_f32_e32 v14, v88, v82
	s_and_not1_b32 exec_lo, exec_lo, s6
	s_cbranch_execnz .LBB1_33
; %bb.34:
	s_or_b32 exec_lo, exec_lo, s6
.LBB1_35:
	s_delay_alu instid0(SALU_CYCLE_1)
	s_or_b32 exec_lo, exec_lo, s2
.LBB1_36:
	s_delay_alu instid0(SALU_CYCLE_1)
	s_or_b32 exec_lo, exec_lo, s3
.LBB1_37:
	v_mbcnt_lo_u32_b32 v0, -1, 0
	s_mov_b32 s2, -1
	s_delay_alu instid0(VALU_DEP_1) | instskip(SKIP_2) | instid1(VALU_DEP_3)
	v_xor_b32_e32 v1, 4, v0
	v_xor_b32_e32 v6, 2, v0
	;; [unrolled: 1-line block ×3, first 2 shown]
	v_cmp_gt_i32_e32 vcc_lo, 32, v1
	v_cndmask_b32_e32 v1, v0, v1, vcc_lo
	s_delay_alu instid0(VALU_DEP_4) | instskip(SKIP_2) | instid1(VALU_DEP_2)
	v_cmp_gt_i32_e32 vcc_lo, 32, v6
	v_cndmask_b32_e32 v6, v0, v6, vcc_lo
	v_cmp_gt_i32_e32 vcc_lo, 32, v11
	v_lshlrev_b32_e32 v6, 2, v6
	v_dual_cndmask_b32 v0, v0, v11 :: v_dual_lshlrev_b32 v1, 2, v1
	v_cmp_eq_u32_e32 vcc_lo, 7, v9
	ds_bpermute_b32 v2, v1, v12
	s_waitcnt lgkmcnt(0)
	v_add_f32_e32 v2, v12, v2
	ds_bpermute_b32 v5, v1, v13
	ds_bpermute_b32 v3, v1, v14
	;; [unrolled: 1-line block ×3, first 2 shown]
	s_waitcnt lgkmcnt(2)
	v_add_f32_e32 v5, v13, v5
	s_waitcnt lgkmcnt(1)
	v_add_f32_e32 v3, v14, v3
	;; [unrolled: 2-line block ×3, first 2 shown]
	ds_bpermute_b32 v1, v6, v2
	v_lshlrev_b32_e32 v11, 2, v0
	ds_bpermute_b32 v10, v6, v5
	ds_bpermute_b32 v8, v6, v3
	s_waitcnt lgkmcnt(2)
	v_add_f32_e32 v0, v2, v1
	s_waitcnt lgkmcnt(1)
	v_add_f32_e32 v2, v5, v10
	ds_bpermute_b32 v6, v6, v7
	s_waitcnt lgkmcnt(1)
	v_add_f32_e32 v1, v3, v8
	ds_bpermute_b32 v5, v11, v0
	;; [unrolled: 3-line block ×3, first 2 shown]
	ds_bpermute_b32 v7, v11, v2
	ds_bpermute_b32 v8, v11, v3
	s_and_b32 exec_lo, exec_lo, vcc_lo
	s_cbranch_execz .LBB1_10
; %bb.38:
	s_load_b64 s[0:1], s[0:1], 0x50
	s_waitcnt lgkmcnt(0)
	v_dual_add_f32 v0, v0, v5 :: v_dual_add_f32 v1, v1, v6
	v_dual_add_f32 v2, v2, v7 :: v_dual_add_f32 v3, v3, v8
	v_cmp_eq_f32_e64 s3, s12, 0
	s_delay_alu instid0(VALU_DEP_3) | instskip(NEXT) | instid1(VALU_DEP_3)
	v_dual_mul_f32 v0, s16, v0 :: v_dual_mul_f32 v1, s16, v1
	v_dual_mul_f32 v2, s16, v2 :: v_dual_mul_f32 v3, s16, v3
	v_lshlrev_b32_e32 v4, 2, v4
	s_delay_alu instid0(VALU_DEP_4)
	s_and_b32 vcc_lo, exec_lo, s3
	s_cbranch_vccz .LBB1_40
; %bb.39:
	s_delay_alu instid0(VALU_DEP_1) | instskip(SKIP_1) | instid1(VALU_DEP_1)
	v_ashrrev_i32_e32 v5, 31, v4
	s_mov_b32 s2, 0
	v_lshlrev_b64 v[5:6], 2, v[4:5]
	s_delay_alu instid0(VALU_DEP_1) | instskip(NEXT) | instid1(VALU_DEP_2)
	v_add_co_u32 v5, vcc_lo, s0, v5
	v_add_co_ci_u32_e32 v6, vcc_lo, s1, v6, vcc_lo
	global_store_b128 v[5:6], v[0:3], off
.LBB1_40:
	s_and_not1_b32 vcc_lo, exec_lo, s2
	s_cbranch_vccnz .LBB1_10
; %bb.41:
	v_ashrrev_i32_e32 v5, 31, v4
	s_delay_alu instid0(VALU_DEP_1) | instskip(NEXT) | instid1(VALU_DEP_1)
	v_lshlrev_b64 v[4:5], 2, v[4:5]
	v_add_co_u32 v8, vcc_lo, s0, v4
	s_delay_alu instid0(VALU_DEP_2)
	v_add_co_ci_u32_e32 v9, vcc_lo, s1, v5, vcc_lo
	global_load_b128 v[4:7], v[8:9], off
	s_waitcnt vmcnt(0)
	v_dual_fmac_f32 v0, s12, v4 :: v_dual_fmac_f32 v1, s12, v5
	v_dual_fmac_f32 v2, s12, v6 :: v_dual_fmac_f32 v3, s12, v7
	global_store_b128 v[8:9], v[0:3], off
	s_nop 0
	s_sendmsg sendmsg(MSG_DEALLOC_VGPRS)
	s_endpgm
	.section	.rodata,"a",@progbits
	.p2align	6, 0x0
	.amdhsa_kernel _ZN9rocsparseL18bsrxmvn_4x4_kernelILj128ELj8EfiifffEEvT3_20rocsparse_direction_NS_24const_host_device_scalarIT1_EES1_PKS1_PKT2_SA_S7_PKT4_PKT5_S5_PT6_21rocsparse_index_base_b
		.amdhsa_group_segment_fixed_size 0
		.amdhsa_private_segment_fixed_size 0
		.amdhsa_kernarg_size 96
		.amdhsa_user_sgpr_count 15
		.amdhsa_user_sgpr_dispatch_ptr 0
		.amdhsa_user_sgpr_queue_ptr 0
		.amdhsa_user_sgpr_kernarg_segment_ptr 1
		.amdhsa_user_sgpr_dispatch_id 0
		.amdhsa_user_sgpr_private_segment_size 0
		.amdhsa_wavefront_size32 1
		.amdhsa_uses_dynamic_stack 0
		.amdhsa_enable_private_segment 0
		.amdhsa_system_sgpr_workgroup_id_x 1
		.amdhsa_system_sgpr_workgroup_id_y 0
		.amdhsa_system_sgpr_workgroup_id_z 0
		.amdhsa_system_sgpr_workgroup_info 0
		.amdhsa_system_vgpr_workitem_id 0
		.amdhsa_next_free_vgpr 96
		.amdhsa_next_free_sgpr 20
		.amdhsa_reserve_vcc 1
		.amdhsa_float_round_mode_32 0
		.amdhsa_float_round_mode_16_64 0
		.amdhsa_float_denorm_mode_32 3
		.amdhsa_float_denorm_mode_16_64 3
		.amdhsa_dx10_clamp 1
		.amdhsa_ieee_mode 1
		.amdhsa_fp16_overflow 0
		.amdhsa_workgroup_processor_mode 1
		.amdhsa_memory_ordered 1
		.amdhsa_forward_progress 0
		.amdhsa_shared_vgpr_count 0
		.amdhsa_exception_fp_ieee_invalid_op 0
		.amdhsa_exception_fp_denorm_src 0
		.amdhsa_exception_fp_ieee_div_zero 0
		.amdhsa_exception_fp_ieee_overflow 0
		.amdhsa_exception_fp_ieee_underflow 0
		.amdhsa_exception_fp_ieee_inexact 0
		.amdhsa_exception_int_div_zero 0
	.end_amdhsa_kernel
	.section	.text._ZN9rocsparseL18bsrxmvn_4x4_kernelILj128ELj8EfiifffEEvT3_20rocsparse_direction_NS_24const_host_device_scalarIT1_EES1_PKS1_PKT2_SA_S7_PKT4_PKT5_S5_PT6_21rocsparse_index_base_b,"axG",@progbits,_ZN9rocsparseL18bsrxmvn_4x4_kernelILj128ELj8EfiifffEEvT3_20rocsparse_direction_NS_24const_host_device_scalarIT1_EES1_PKS1_PKT2_SA_S7_PKT4_PKT5_S5_PT6_21rocsparse_index_base_b,comdat
.Lfunc_end1:
	.size	_ZN9rocsparseL18bsrxmvn_4x4_kernelILj128ELj8EfiifffEEvT3_20rocsparse_direction_NS_24const_host_device_scalarIT1_EES1_PKS1_PKT2_SA_S7_PKT4_PKT5_S5_PT6_21rocsparse_index_base_b, .Lfunc_end1-_ZN9rocsparseL18bsrxmvn_4x4_kernelILj128ELj8EfiifffEEvT3_20rocsparse_direction_NS_24const_host_device_scalarIT1_EES1_PKS1_PKT2_SA_S7_PKT4_PKT5_S5_PT6_21rocsparse_index_base_b
                                        ; -- End function
	.section	.AMDGPU.csdata,"",@progbits
; Kernel info:
; codeLenInByte = 3544
; NumSgprs: 22
; NumVgprs: 96
; ScratchSize: 0
; MemoryBound: 0
; FloatMode: 240
; IeeeMode: 1
; LDSByteSize: 0 bytes/workgroup (compile time only)
; SGPRBlocks: 2
; VGPRBlocks: 11
; NumSGPRsForWavesPerEU: 22
; NumVGPRsForWavesPerEU: 96
; Occupancy: 16
; WaveLimiterHint : 1
; COMPUTE_PGM_RSRC2:SCRATCH_EN: 0
; COMPUTE_PGM_RSRC2:USER_SGPR: 15
; COMPUTE_PGM_RSRC2:TRAP_HANDLER: 0
; COMPUTE_PGM_RSRC2:TGID_X_EN: 1
; COMPUTE_PGM_RSRC2:TGID_Y_EN: 0
; COMPUTE_PGM_RSRC2:TGID_Z_EN: 0
; COMPUTE_PGM_RSRC2:TIDIG_COMP_CNT: 0
	.section	.text._ZN9rocsparseL18bsrxmvn_4x4_kernelILj128ELj16EfiifffEEvT3_20rocsparse_direction_NS_24const_host_device_scalarIT1_EES1_PKS1_PKT2_SA_S7_PKT4_PKT5_S5_PT6_21rocsparse_index_base_b,"axG",@progbits,_ZN9rocsparseL18bsrxmvn_4x4_kernelILj128ELj16EfiifffEEvT3_20rocsparse_direction_NS_24const_host_device_scalarIT1_EES1_PKS1_PKT2_SA_S7_PKT4_PKT5_S5_PT6_21rocsparse_index_base_b,comdat
	.globl	_ZN9rocsparseL18bsrxmvn_4x4_kernelILj128ELj16EfiifffEEvT3_20rocsparse_direction_NS_24const_host_device_scalarIT1_EES1_PKS1_PKT2_SA_S7_PKT4_PKT5_S5_PT6_21rocsparse_index_base_b ; -- Begin function _ZN9rocsparseL18bsrxmvn_4x4_kernelILj128ELj16EfiifffEEvT3_20rocsparse_direction_NS_24const_host_device_scalarIT1_EES1_PKS1_PKT2_SA_S7_PKT4_PKT5_S5_PT6_21rocsparse_index_base_b
	.p2align	8
	.type	_ZN9rocsparseL18bsrxmvn_4x4_kernelILj128ELj16EfiifffEEvT3_20rocsparse_direction_NS_24const_host_device_scalarIT1_EES1_PKS1_PKT2_SA_S7_PKT4_PKT5_S5_PT6_21rocsparse_index_base_b,@function
_ZN9rocsparseL18bsrxmvn_4x4_kernelILj128ELj16EfiifffEEvT3_20rocsparse_direction_NS_24const_host_device_scalarIT1_EES1_PKS1_PKT2_SA_S7_PKT4_PKT5_S5_PT6_21rocsparse_index_base_b: ; @_ZN9rocsparseL18bsrxmvn_4x4_kernelILj128ELj16EfiifffEEvT3_20rocsparse_direction_NS_24const_host_device_scalarIT1_EES1_PKS1_PKT2_SA_S7_PKT4_PKT5_S5_PT6_21rocsparse_index_base_b
; %bb.0:
	s_clause 0x2
	s_load_b64 s[18:19], s[0:1], 0x58
	s_load_b64 s[16:17], s[0:1], 0x8
	;; [unrolled: 1-line block ×3, first 2 shown]
	s_waitcnt lgkmcnt(0)
	s_bitcmp1_b32 s19, 0
	s_cselect_b32 s2, -1, 0
	s_delay_alu instid0(SALU_CYCLE_1)
	s_and_b32 vcc_lo, exec_lo, s2
	s_xor_b32 s2, s2, -1
	s_cbranch_vccnz .LBB2_2
; %bb.1:
	s_load_b32 s16, s[16:17], 0x0
.LBB2_2:
	s_and_not1_b32 vcc_lo, exec_lo, s2
	s_cbranch_vccnz .LBB2_4
; %bb.3:
	s_load_b32 s12, s[12:13], 0x0
.LBB2_4:
	s_waitcnt lgkmcnt(0)
	v_cmp_neq_f32_e64 s2, s16, 0
	v_cmp_neq_f32_e64 s3, s12, 1.0
	s_mov_b32 s6, 0
	s_delay_alu instid0(VALU_DEP_1) | instskip(NEXT) | instid1(SALU_CYCLE_1)
	s_or_b32 s2, s2, s3
	s_and_not1_b32 vcc_lo, exec_lo, s2
	s_cbranch_vccnz .LBB2_10
; %bb.5:
	s_clause 0x1
	s_load_b64 s[4:5], s[0:1], 0x18
	s_load_b64 s[2:3], s[0:1], 0x0
	v_lshrrev_b32_e32 v1, 4, v0
	s_delay_alu instid0(VALU_DEP_1)
	v_lshl_or_b32 v4, s15, 3, v1
	s_waitcnt lgkmcnt(0)
	s_cmp_lg_u64 s[4:5], 0
	s_cbranch_scc0 .LBB2_11
; %bb.6:
	s_load_b32 s6, s[0:1], 0x10
	s_mov_b32 s7, 0
                                        ; implicit-def: $vgpr1
	s_waitcnt lgkmcnt(0)
	v_cmp_gt_i32_e32 vcc_lo, s6, v4
	s_mov_b32 s6, 0
	s_and_saveexec_b32 s8, vcc_lo
	s_delay_alu instid0(SALU_CYCLE_1)
	s_xor_b32 s8, exec_lo, s8
	s_cbranch_execz .LBB2_8
; %bb.7:
	v_ashrrev_i32_e32 v5, 31, v4
	s_mov_b32 s6, exec_lo
	s_delay_alu instid0(VALU_DEP_1) | instskip(NEXT) | instid1(VALU_DEP_1)
	v_lshlrev_b64 v[1:2], 2, v[4:5]
	v_add_co_u32 v1, vcc_lo, s4, v1
	s_delay_alu instid0(VALU_DEP_2)
	v_add_co_ci_u32_e32 v2, vcc_lo, s5, v2, vcc_lo
	global_load_b32 v1, v[1:2], off
	s_waitcnt vmcnt(0)
	v_subrev_nc_u32_e32 v1, s18, v1
.LBB2_8:
	s_or_b32 exec_lo, exec_lo, s8
	s_delay_alu instid0(SALU_CYCLE_1)
	s_and_b32 vcc_lo, exec_lo, s7
	s_cbranch_vccz .LBB2_12
.LBB2_9:
	v_cmp_gt_i32_e32 vcc_lo, s2, v4
	s_and_not1_b32 s2, s6, exec_lo
	s_and_b32 s4, vcc_lo, exec_lo
	s_delay_alu instid0(SALU_CYCLE_1) | instskip(NEXT) | instid1(SALU_CYCLE_1)
	s_or_b32 s6, s2, s4
	s_and_saveexec_b32 s2, s6
	s_cbranch_execnz .LBB2_13
.LBB2_10:
	s_nop 0
	s_sendmsg sendmsg(MSG_DEALLOC_VGPRS)
	s_endpgm
.LBB2_11:
                                        ; implicit-def: $vgpr1
	s_cbranch_execnz .LBB2_9
.LBB2_12:
	s_delay_alu instid0(VALU_DEP_1)
	v_mov_b32_e32 v4, v1
	s_and_saveexec_b32 s2, s6
	s_cbranch_execz .LBB2_10
.LBB2_13:
	s_load_b256 s[4:11], s[0:1], 0x20
	s_delay_alu instid0(VALU_DEP_1) | instskip(SKIP_1) | instid1(VALU_DEP_2)
	v_ashrrev_i32_e32 v5, 31, v4
	v_and_b32_e32 v9, 15, v0
	v_lshlrev_b64 v[1:2], 2, v[4:5]
	s_waitcnt lgkmcnt(0)
	s_delay_alu instid0(VALU_DEP_1) | instskip(NEXT) | instid1(VALU_DEP_2)
	v_add_co_u32 v5, vcc_lo, s4, v1
	v_add_co_ci_u32_e32 v6, vcc_lo, s5, v2, vcc_lo
	v_add_co_u32 v1, vcc_lo, s6, v1
	v_add_co_ci_u32_e32 v2, vcc_lo, s7, v2, vcc_lo
	global_load_b32 v15, v[5:6], off
	v_add_co_u32 v3, vcc_lo, v5, 4
	v_add_co_ci_u32_e32 v5, vcc_lo, 0, v6, vcc_lo
	s_cmp_eq_u64 s[6:7], 0
	s_load_b64 s[4:5], s[0:1], 0x40
	s_cselect_b32 vcc_lo, -1, 0
	s_cmp_eq_u32 s3, 1
	v_dual_cndmask_b32 v2, v2, v5 :: v_dual_cndmask_b32 v1, v1, v3
	global_load_b32 v5, v[1:2], off
	s_waitcnt vmcnt(1)
	v_subrev_nc_u32_e32 v0, s18, v15
	s_delay_alu instid0(VALU_DEP_1) | instskip(NEXT) | instid1(VALU_DEP_1)
	v_add_nc_u32_e32 v0, v0, v9
	v_ashrrev_i32_e32 v1, 31, v0
	s_waitcnt vmcnt(0)
	v_subrev_nc_u32_e32 v13, s18, v5
	s_delay_alu instid0(VALU_DEP_2) | instskip(NEXT) | instid1(VALU_DEP_2)
	v_lshlrev_b64 v[2:3], 6, v[0:1]
	v_cmp_lt_i32_e64 s2, v0, v13
	s_delay_alu instid0(VALU_DEP_2) | instskip(NEXT) | instid1(VALU_DEP_3)
	v_add_co_u32 v2, vcc_lo, s10, v2
	v_add_co_ci_u32_e32 v3, vcc_lo, s11, v3, vcc_lo
	s_cbranch_scc1 .LBB2_25
; %bb.14:
	v_dual_mov_b32 v10, 0 :: v_dual_mov_b32 v11, 0
	v_mov_b32_e32 v12, 0
	v_mov_b32_e32 v14, 0
	s_mov_b32 s3, 0
	s_and_saveexec_b32 s6, s2
	s_cbranch_execz .LBB2_24
; %bb.15:
	v_dual_mov_b32 v14, 0 :: v_dual_add_nc_u32 v1, v15, v9
	v_not_b32_e32 v5, v15
	s_mov_b32 s10, 0
	s_mov_b32 s7, exec_lo
	s_delay_alu instid0(VALU_DEP_2) | instskip(SKIP_3) | instid1(VALU_DEP_4)
	v_subrev_nc_u32_e32 v1, s18, v1
	v_mov_b32_e32 v12, 0
	v_mov_b32_e32 v10, 0
	v_dual_mov_b32 v8, v3 :: v_dual_mov_b32 v7, v2
	v_add_nc_u32_e32 v1, 16, v1
	s_delay_alu instid0(VALU_DEP_1) | instskip(NEXT) | instid1(VALU_DEP_1)
	v_max_i32_e32 v1, v1, v13
	v_add3_u32 v1, v1, s18, v5
	s_delay_alu instid0(VALU_DEP_1) | instskip(NEXT) | instid1(VALU_DEP_1)
	v_sub_nc_u32_e32 v1, v1, v9
	v_lshrrev_b32_e32 v5, 4, v1
	s_delay_alu instid0(VALU_DEP_1) | instskip(NEXT) | instid1(VALU_DEP_1)
	v_add_nc_u32_e32 v5, 1, v5
	v_dual_mov_b32 v11, 0 :: v_dual_and_b32 v6, 3, v5
	v_mov_b32_e32 v5, v0
	s_delay_alu instid0(VALU_DEP_2)
	v_cmpx_ne_u32_e32 0, v6
	s_cbranch_execz .LBB2_19
; %bb.16:
	v_dual_mov_b32 v8, v3 :: v_dual_mov_b32 v11, 0
	v_dual_mov_b32 v7, v2 :: v_dual_lshlrev_b32 v16, 6, v6
	v_dual_mov_b32 v10, 0 :: v_dual_mov_b32 v5, v0
	v_mov_b32_e32 v12, 0
	v_mov_b32_e32 v14, 0
.LBB2_17:                               ; =>This Inner Loop Header: Depth=1
	s_delay_alu instid0(VALU_DEP_3) | instskip(SKIP_1) | instid1(VALU_DEP_2)
	v_ashrrev_i32_e32 v6, 31, v5
	v_subrev_nc_u32_e32 v16, 64, v16
	v_lshlrev_b64 v[17:18], 2, v[5:6]
	v_add_nc_u32_e32 v5, 16, v5
	s_delay_alu instid0(VALU_DEP_2) | instskip(NEXT) | instid1(VALU_DEP_3)
	v_add_co_u32 v17, vcc_lo, s8, v17
	v_add_co_ci_u32_e32 v18, vcc_lo, s9, v18, vcc_lo
	global_load_b32 v6, v[17:18], off
	s_clause 0x2
	global_load_b128 v[17:20], v[7:8], off offset:48
	global_load_b128 v[21:24], v[7:8], off offset:32
	global_load_b128 v[25:28], v[7:8], off offset:16
	s_waitcnt vmcnt(3)
	v_subrev_nc_u32_e32 v6, s18, v6
	s_delay_alu instid0(VALU_DEP_1) | instskip(NEXT) | instid1(VALU_DEP_1)
	v_lshlrev_b32_e32 v29, 2, v6
	v_ashrrev_i32_e32 v30, 31, v29
	s_delay_alu instid0(VALU_DEP_1) | instskip(SKIP_1) | instid1(VALU_DEP_1)
	v_lshlrev_b64 v[29:30], 2, v[29:30]
	s_waitcnt lgkmcnt(0)
	v_add_co_u32 v33, vcc_lo, s4, v29
	s_delay_alu instid0(VALU_DEP_2)
	v_add_co_ci_u32_e32 v34, vcc_lo, s5, v30, vcc_lo
	global_load_b128 v[29:32], v[7:8], off
	global_load_b128 v[33:36], v[33:34], off
	v_add_co_u32 v7, vcc_lo, 0x400, v7
	v_add_co_ci_u32_e32 v8, vcc_lo, 0, v8, vcc_lo
	v_cmp_eq_u32_e32 vcc_lo, 0, v16
	s_or_b32 s10, vcc_lo, s10
	s_waitcnt vmcnt(0)
	v_fmac_f32_e32 v14, v25, v33
	s_delay_alu instid0(VALU_DEP_1) | instskip(NEXT) | instid1(VALU_DEP_1)
	v_dual_fmac_f32 v11, v29, v33 :: v_dual_fmac_f32 v14, v26, v34
	v_dual_fmac_f32 v12, v21, v33 :: v_dual_fmac_f32 v11, v30, v34
	v_fmac_f32_e32 v10, v17, v33
	s_delay_alu instid0(VALU_DEP_3) | instskip(NEXT) | instid1(VALU_DEP_3)
	v_fmac_f32_e32 v14, v27, v35
	v_dual_fmac_f32 v12, v22, v34 :: v_dual_fmac_f32 v11, v31, v35
	s_delay_alu instid0(VALU_DEP_3) | instskip(NEXT) | instid1(VALU_DEP_3)
	v_fmac_f32_e32 v10, v18, v34
	v_fmac_f32_e32 v14, v28, v36
	s_delay_alu instid0(VALU_DEP_3) | instskip(NEXT) | instid1(VALU_DEP_3)
	v_dual_fmac_f32 v12, v23, v35 :: v_dual_fmac_f32 v11, v32, v36
	v_fmac_f32_e32 v10, v19, v35
	s_delay_alu instid0(VALU_DEP_2) | instskip(NEXT) | instid1(VALU_DEP_2)
	v_fmac_f32_e32 v12, v24, v36
	v_fmac_f32_e32 v10, v20, v36
	s_and_not1_b32 exec_lo, exec_lo, s10
	s_cbranch_execnz .LBB2_17
; %bb.18:
	s_or_b32 exec_lo, exec_lo, s10
.LBB2_19:
	s_delay_alu instid0(SALU_CYCLE_1) | instskip(NEXT) | instid1(SALU_CYCLE_1)
	s_or_b32 exec_lo, exec_lo, s7
	s_mov_b32 s7, exec_lo
	v_cmpx_lt_u32_e32 47, v1
	s_cbranch_execz .LBB2_23
; %bb.20:
	s_mov_b32 s10, 0
.LBB2_21:                               ; =>This Inner Loop Header: Depth=1
	v_ashrrev_i32_e32 v6, 31, v5
	s_delay_alu instid0(VALU_DEP_1) | instskip(SKIP_1) | instid1(VALU_DEP_2)
	v_lshlrev_b64 v[16:17], 2, v[5:6]
	v_add_nc_u32_e32 v5, 64, v5
	v_add_co_u32 v16, vcc_lo, s8, v16
	s_delay_alu instid0(VALU_DEP_3)
	v_add_co_ci_u32_e32 v17, vcc_lo, s9, v17, vcc_lo
	s_clause 0x3
	global_load_b32 v1, v[16:17], off
	global_load_b32 v6, v[16:17], off offset:64
	global_load_b32 v80, v[16:17], off offset:128
	;; [unrolled: 1-line block ×3, first 2 shown]
	s_clause 0xf
	global_load_b128 v[16:19], v[7:8], off offset:48
	global_load_b128 v[20:23], v[7:8], off offset:32
	;; [unrolled: 1-line block ×3, first 2 shown]
	global_load_b128 v[28:31], v[7:8], off
	global_load_b128 v[32:35], v[7:8], off offset:1072
	global_load_b128 v[36:39], v[7:8], off offset:1056
	;; [unrolled: 1-line block ×12, first 2 shown]
	s_waitcnt vmcnt(19)
	v_subrev_nc_u32_e32 v1, s18, v1
	s_waitcnt vmcnt(18)
	v_subrev_nc_u32_e32 v6, s18, v6
	;; [unrolled: 2-line block ×4, first 2 shown]
	v_lshlrev_b32_e32 v80, 2, v1
	s_delay_alu instid0(VALU_DEP_3) | instskip(NEXT) | instid1(VALU_DEP_3)
	v_lshlrev_b32_e32 v88, 2, v82
	v_lshlrev_b32_e32 v92, 2, v81
	s_delay_alu instid0(VALU_DEP_3) | instskip(NEXT) | instid1(VALU_DEP_1)
	v_ashrrev_i32_e32 v81, 31, v80
	v_lshlrev_b64 v[80:81], 2, v[80:81]
	s_waitcnt lgkmcnt(0)
	s_delay_alu instid0(VALU_DEP_1) | instskip(NEXT) | instid1(VALU_DEP_2)
	v_add_co_u32 v80, vcc_lo, s4, v80
	v_add_co_ci_u32_e32 v81, vcc_lo, s5, v81, vcc_lo
	global_load_b128 v[80:83], v[80:81], off
	v_lshlrev_b32_e32 v84, 2, v6
	s_delay_alu instid0(VALU_DEP_1) | instskip(NEXT) | instid1(VALU_DEP_1)
	v_ashrrev_i32_e32 v85, 31, v84
	v_lshlrev_b64 v[84:85], 2, v[84:85]
	s_delay_alu instid0(VALU_DEP_1) | instskip(NEXT) | instid1(VALU_DEP_2)
	v_add_co_u32 v84, vcc_lo, s4, v84
	v_add_co_ci_u32_e32 v85, vcc_lo, s5, v85, vcc_lo
	global_load_b128 v[84:87], v[84:85], off
	s_waitcnt vmcnt(1)
	v_fmac_f32_e32 v11, v28, v80
	s_delay_alu instid0(VALU_DEP_1) | instskip(SKIP_1) | instid1(VALU_DEP_2)
	v_fmac_f32_e32 v11, v29, v81
	v_ashrrev_i32_e32 v89, 31, v88
	v_fmac_f32_e32 v11, v30, v82
	s_delay_alu instid0(VALU_DEP_2) | instskip(NEXT) | instid1(VALU_DEP_2)
	v_lshlrev_b64 v[88:89], 2, v[88:89]
	v_fmac_f32_e32 v11, v31, v83
	v_ashrrev_i32_e32 v93, 31, v92
	s_delay_alu instid0(VALU_DEP_3) | instskip(NEXT) | instid1(VALU_DEP_4)
	v_add_co_u32 v88, vcc_lo, s4, v88
	v_add_co_ci_u32_e32 v89, vcc_lo, s5, v89, vcc_lo
	s_delay_alu instid0(VALU_DEP_3)
	v_lshlrev_b64 v[92:93], 2, v[92:93]
	global_load_b128 v[88:91], v[88:89], off
	s_waitcnt vmcnt(1)
	v_fmac_f32_e32 v11, v44, v84
	v_fmac_f32_e32 v14, v24, v80
	v_add_co_u32 v92, vcc_lo, s4, v92
	v_add_co_ci_u32_e32 v93, vcc_lo, s5, v93, vcc_lo
	s_delay_alu instid0(VALU_DEP_4)
	v_dual_fmac_f32 v11, v45, v85 :: v_dual_fmac_f32 v12, v20, v80
	v_add_co_u32 v7, vcc_lo, 0x1000, v7
	global_load_b128 v[92:95], v[92:93], off
	v_dual_fmac_f32 v11, v46, v86 :: v_dual_fmac_f32 v10, v16, v80
	v_add_co_ci_u32_e32 v8, vcc_lo, 0, v8, vcc_lo
	v_cmp_ge_i32_e32 vcc_lo, v5, v13
	s_delay_alu instid0(VALU_DEP_3) | instskip(SKIP_2) | instid1(VALU_DEP_1)
	v_dual_fmac_f32 v11, v47, v87 :: v_dual_fmac_f32 v14, v25, v81
	s_or_b32 s10, vcc_lo, s10
	s_waitcnt vmcnt(1)
	v_dual_fmac_f32 v11, v60, v88 :: v_dual_fmac_f32 v14, v26, v82
	s_delay_alu instid0(VALU_DEP_1) | instskip(SKIP_1) | instid1(VALU_DEP_2)
	v_fmac_f32_e32 v11, v61, v89
	v_fmac_f32_e32 v12, v21, v81
	v_dual_fmac_f32 v14, v27, v83 :: v_dual_fmac_f32 v11, v62, v90
	s_delay_alu instid0(VALU_DEP_1) | instskip(SKIP_1) | instid1(VALU_DEP_1)
	v_dual_fmac_f32 v10, v17, v81 :: v_dual_fmac_f32 v11, v63, v91
	s_waitcnt vmcnt(0)
	v_dual_fmac_f32 v12, v22, v82 :: v_dual_fmac_f32 v11, v76, v92
	s_delay_alu instid0(VALU_DEP_1) | instskip(NEXT) | instid1(VALU_DEP_2)
	v_dual_fmac_f32 v10, v18, v82 :: v_dual_fmac_f32 v11, v77, v93
	v_fmac_f32_e32 v12, v23, v83
	s_delay_alu instid0(VALU_DEP_2) | instskip(SKIP_1) | instid1(VALU_DEP_3)
	v_dual_fmac_f32 v10, v19, v83 :: v_dual_fmac_f32 v11, v78, v94
	v_fmac_f32_e32 v14, v40, v84
	v_fmac_f32_e32 v12, v36, v84
	s_delay_alu instid0(VALU_DEP_3) | instskip(NEXT) | instid1(VALU_DEP_3)
	v_dual_fmac_f32 v10, v32, v84 :: v_dual_fmac_f32 v11, v79, v95
	v_fmac_f32_e32 v14, v41, v85
	s_delay_alu instid0(VALU_DEP_3) | instskip(NEXT) | instid1(VALU_DEP_3)
	v_fmac_f32_e32 v12, v37, v85
	v_fmac_f32_e32 v10, v33, v85
	s_delay_alu instid0(VALU_DEP_3) | instskip(NEXT) | instid1(VALU_DEP_3)
	v_fmac_f32_e32 v14, v42, v86
	;; [unrolled: 3-line block ×16, first 2 shown]
	v_fmac_f32_e32 v10, v67, v95
	s_and_not1_b32 exec_lo, exec_lo, s10
	s_cbranch_execnz .LBB2_21
; %bb.22:
	s_or_b32 exec_lo, exec_lo, s10
.LBB2_23:
	s_delay_alu instid0(SALU_CYCLE_1)
	s_or_b32 exec_lo, exec_lo, s7
.LBB2_24:
	s_delay_alu instid0(SALU_CYCLE_1) | instskip(NEXT) | instid1(SALU_CYCLE_1)
	s_or_b32 exec_lo, exec_lo, s6
	s_and_not1_b32 vcc_lo, exec_lo, s3
	s_cbranch_vccz .LBB2_26
	s_branch .LBB2_37
.LBB2_25:
                                        ; implicit-def: $vgpr10
                                        ; implicit-def: $vgpr12
                                        ; implicit-def: $vgpr14
                                        ; implicit-def: $vgpr11
.LBB2_26:
	v_dual_mov_b32 v10, 0 :: v_dual_mov_b32 v11, 0
	v_mov_b32_e32 v12, 0
	v_mov_b32_e32 v14, 0
	s_and_saveexec_b32 s3, s2
	s_cbranch_execz .LBB2_36
; %bb.27:
	v_dual_mov_b32 v14, 0 :: v_dual_add_nc_u32 v1, v15, v9
	v_not_b32_e32 v5, v15
	v_mov_b32_e32 v11, 0
	s_mov_b32 s6, 0
	s_delay_alu instid0(VALU_DEP_3) | instskip(SKIP_2) | instid1(VALU_DEP_2)
	v_subrev_nc_u32_e32 v1, s18, v1
	s_mov_b32 s2, exec_lo
	v_mov_b32_e32 v12, 0
	v_dual_mov_b32 v10, 0 :: v_dual_add_nc_u32 v1, 16, v1
	s_delay_alu instid0(VALU_DEP_1) | instskip(NEXT) | instid1(VALU_DEP_1)
	v_max_i32_e32 v1, v1, v13
	v_add3_u32 v1, v1, s18, v5
	s_delay_alu instid0(VALU_DEP_1) | instskip(NEXT) | instid1(VALU_DEP_1)
	v_sub_nc_u32_e32 v5, v1, v9
	v_lshrrev_b32_e32 v1, 4, v5
	s_delay_alu instid0(VALU_DEP_1) | instskip(NEXT) | instid1(VALU_DEP_1)
	v_add_nc_u32_e32 v1, 1, v1
	v_and_b32_e32 v1, 3, v1
	s_delay_alu instid0(VALU_DEP_1)
	v_cmpx_ne_u32_e32 0, v1
	s_cbranch_execz .LBB2_31
; %bb.28:
	v_dual_mov_b32 v11, 0 :: v_dual_lshlrev_b32 v6, 6, v1
	v_mov_b32_e32 v10, 0
	v_mov_b32_e32 v12, 0
	;; [unrolled: 1-line block ×3, first 2 shown]
.LBB2_29:                               ; =>This Inner Loop Header: Depth=1
	v_ashrrev_i32_e32 v1, 31, v0
	v_subrev_nc_u32_e32 v6, 64, v6
	s_delay_alu instid0(VALU_DEP_2) | instskip(SKIP_1) | instid1(VALU_DEP_2)
	v_lshlrev_b64 v[7:8], 2, v[0:1]
	v_add_nc_u32_e32 v0, 16, v0
	v_add_co_u32 v7, vcc_lo, s8, v7
	s_delay_alu instid0(VALU_DEP_3) | instskip(SKIP_4) | instid1(VALU_DEP_1)
	v_add_co_ci_u32_e32 v8, vcc_lo, s9, v8, vcc_lo
	global_load_b32 v1, v[7:8], off
	global_load_b128 v[15:18], v[2:3], off offset:16
	s_waitcnt vmcnt(1)
	v_subrev_nc_u32_e32 v1, s18, v1
	v_lshlrev_b32_e32 v7, 2, v1
	s_delay_alu instid0(VALU_DEP_1) | instskip(NEXT) | instid1(VALU_DEP_1)
	v_ashrrev_i32_e32 v8, 31, v7
	v_lshlrev_b64 v[7:8], 2, v[7:8]
	s_waitcnt lgkmcnt(0)
	s_delay_alu instid0(VALU_DEP_1) | instskip(NEXT) | instid1(VALU_DEP_2)
	v_add_co_u32 v7, vcc_lo, s4, v7
	v_add_co_ci_u32_e32 v8, vcc_lo, s5, v8, vcc_lo
	global_load_b128 v[19:22], v[2:3], off
	global_load_b128 v[23:26], v[7:8], off
	s_clause 0x1
	global_load_b128 v[27:30], v[2:3], off offset:32
	global_load_b128 v[31:34], v[2:3], off offset:48
	v_add_co_u32 v2, vcc_lo, 0x400, v2
	v_add_co_ci_u32_e32 v3, vcc_lo, 0, v3, vcc_lo
	v_cmp_eq_u32_e32 vcc_lo, 0, v6
	s_or_b32 s6, vcc_lo, s6
	s_waitcnt vmcnt(2)
	v_fmac_f32_e32 v14, v20, v23
	s_delay_alu instid0(VALU_DEP_1) | instskip(NEXT) | instid1(VALU_DEP_1)
	v_dual_fmac_f32 v11, v19, v23 :: v_dual_fmac_f32 v14, v16, v24
	v_dual_fmac_f32 v12, v21, v23 :: v_dual_fmac_f32 v11, v15, v24
	v_fmac_f32_e32 v10, v22, v23
	s_waitcnt vmcnt(1)
	s_delay_alu instid0(VALU_DEP_3) | instskip(NEXT) | instid1(VALU_DEP_3)
	v_fmac_f32_e32 v14, v28, v25
	v_dual_fmac_f32 v11, v27, v25 :: v_dual_fmac_f32 v12, v17, v24
	s_delay_alu instid0(VALU_DEP_3) | instskip(SKIP_1) | instid1(VALU_DEP_3)
	v_fmac_f32_e32 v10, v18, v24
	s_waitcnt vmcnt(0)
	v_fmac_f32_e32 v14, v32, v26
	s_delay_alu instid0(VALU_DEP_3) | instskip(NEXT) | instid1(VALU_DEP_3)
	v_dual_fmac_f32 v11, v31, v26 :: v_dual_fmac_f32 v12, v29, v25
	v_fmac_f32_e32 v10, v30, v25
	s_delay_alu instid0(VALU_DEP_2) | instskip(NEXT) | instid1(VALU_DEP_2)
	v_fmac_f32_e32 v12, v33, v26
	v_fmac_f32_e32 v10, v34, v26
	s_and_not1_b32 exec_lo, exec_lo, s6
	s_cbranch_execnz .LBB2_29
; %bb.30:
	s_or_b32 exec_lo, exec_lo, s6
.LBB2_31:
	s_delay_alu instid0(SALU_CYCLE_1) | instskip(NEXT) | instid1(SALU_CYCLE_1)
	s_or_b32 exec_lo, exec_lo, s2
	s_mov_b32 s2, exec_lo
	v_cmpx_lt_u32_e32 47, v5
	s_cbranch_execz .LBB2_35
; %bb.32:
	s_mov_b32 s6, 0
.LBB2_33:                               ; =>This Inner Loop Header: Depth=1
	v_ashrrev_i32_e32 v1, 31, v0
	s_delay_alu instid0(VALU_DEP_1) | instskip(SKIP_1) | instid1(VALU_DEP_2)
	v_lshlrev_b64 v[5:6], 2, v[0:1]
	v_add_nc_u32_e32 v0, 64, v0
	v_add_co_u32 v5, vcc_lo, s8, v5
	s_delay_alu instid0(VALU_DEP_3)
	v_add_co_ci_u32_e32 v6, vcc_lo, s9, v6, vcc_lo
	s_clause 0x3
	global_load_b32 v1, v[5:6], off
	global_load_b32 v67, v[5:6], off offset:64
	global_load_b32 v68, v[5:6], off offset:128
	;; [unrolled: 1-line block ×3, first 2 shown]
	s_clause 0xd
	global_load_b128 v[5:8], v[2:3], off offset:48
	global_load_b128 v[15:18], v[2:3], off offset:32
	;; [unrolled: 1-line block ×3, first 2 shown]
	global_load_b128 v[23:26], v[2:3], off
	global_load_b128 v[27:30], v[2:3], off offset:1072
	global_load_b128 v[31:34], v[2:3], off offset:1056
	;; [unrolled: 1-line block ×10, first 2 shown]
	s_waitcnt vmcnt(17)
	v_subrev_nc_u32_e32 v1, s18, v1
	s_waitcnt vmcnt(16)
	v_subrev_nc_u32_e32 v70, s18, v67
	;; [unrolled: 2-line block ×4, first 2 shown]
	v_lshlrev_b32_e32 v67, 2, v1
	v_lshlrev_b32_e32 v71, 2, v70
	;; [unrolled: 1-line block ×3, first 2 shown]
	s_delay_alu instid0(VALU_DEP_4) | instskip(NEXT) | instid1(VALU_DEP_4)
	v_lshlrev_b32_e32 v79, 2, v69
	v_ashrrev_i32_e32 v68, 31, v67
	s_delay_alu instid0(VALU_DEP_4) | instskip(NEXT) | instid1(VALU_DEP_2)
	v_ashrrev_i32_e32 v72, 31, v71
	v_lshlrev_b64 v[67:68], 2, v[67:68]
	s_delay_alu instid0(VALU_DEP_2) | instskip(SKIP_1) | instid1(VALU_DEP_2)
	v_lshlrev_b64 v[71:72], 2, v[71:72]
	s_waitcnt lgkmcnt(0)
	v_add_co_u32 v67, vcc_lo, s4, v67
	s_delay_alu instid0(VALU_DEP_3) | instskip(NEXT) | instid1(VALU_DEP_3)
	v_add_co_ci_u32_e32 v68, vcc_lo, s5, v68, vcc_lo
	v_add_co_u32 v71, vcc_lo, s4, v71
	s_delay_alu instid0(VALU_DEP_4)
	v_add_co_ci_u32_e32 v72, vcc_lo, s5, v72, vcc_lo
	s_clause 0x1
	global_load_b128 v[67:70], v[67:68], off
	global_load_b128 v[71:74], v[71:72], off
	s_waitcnt vmcnt(1)
	v_fmac_f32_e32 v12, v25, v67
	v_ashrrev_i32_e32 v76, 31, v75
	v_fmac_f32_e32 v10, v26, v67
	v_ashrrev_i32_e32 v80, 31, v79
	s_delay_alu instid0(VALU_DEP_4) | instskip(NEXT) | instid1(VALU_DEP_4)
	v_dual_fmac_f32 v11, v23, v67 :: v_dual_fmac_f32 v12, v21, v68
	v_lshlrev_b64 v[75:76], 2, v[75:76]
	v_fmac_f32_e32 v14, v24, v67
	s_delay_alu instid0(VALU_DEP_4) | instskip(NEXT) | instid1(VALU_DEP_2)
	v_lshlrev_b64 v[79:80], 2, v[79:80]
	v_fmac_f32_e32 v14, v20, v68
	s_delay_alu instid0(VALU_DEP_4) | instskip(SKIP_1) | instid1(VALU_DEP_4)
	v_add_co_u32 v75, vcc_lo, s4, v75
	v_add_co_ci_u32_e32 v76, vcc_lo, s5, v76, vcc_lo
	v_add_co_u32 v79, vcc_lo, s4, v79
	v_add_co_ci_u32_e32 v80, vcc_lo, s5, v80, vcc_lo
	s_clause 0x1
	global_load_b128 v[75:78], v[75:76], off
	global_load_b128 v[79:82], v[79:80], off
	s_clause 0x1
	global_load_b128 v[83:86], v[2:3], off offset:3104
	global_load_b128 v[87:90], v[2:3], off offset:3120
	v_dual_fmac_f32 v11, v19, v68 :: v_dual_fmac_f32 v14, v16, v69
	v_fmac_f32_e32 v10, v22, v68
	v_add_co_u32 v2, vcc_lo, 0x1000, v2
	s_delay_alu instid0(VALU_DEP_3) | instskip(SKIP_1) | instid1(VALU_DEP_4)
	v_fmac_f32_e32 v11, v15, v69
	v_add_co_ci_u32_e32 v3, vcc_lo, 0, v3, vcc_lo
	v_fmac_f32_e32 v10, v18, v69
	v_cmp_ge_i32_e32 vcc_lo, v0, v13
	s_delay_alu instid0(VALU_DEP_4) | instskip(SKIP_3) | instid1(VALU_DEP_2)
	v_fmac_f32_e32 v11, v5, v70
	v_fmac_f32_e32 v12, v17, v69
	s_or_b32 s6, vcc_lo, s6
	s_waitcnt vmcnt(4)
	v_dual_fmac_f32 v11, v39, v71 :: v_dual_fmac_f32 v14, v6, v70
	s_delay_alu instid0(VALU_DEP_2) | instskip(NEXT) | instid1(VALU_DEP_2)
	v_fmac_f32_e32 v12, v7, v70
	v_dual_fmac_f32 v11, v35, v72 :: v_dual_fmac_f32 v10, v8, v70
	s_delay_alu instid0(VALU_DEP_1) | instskip(NEXT) | instid1(VALU_DEP_1)
	v_dual_fmac_f32 v11, v31, v73 :: v_dual_fmac_f32 v14, v40, v71
	v_dual_fmac_f32 v11, v27, v74 :: v_dual_fmac_f32 v14, v36, v72
	s_waitcnt vmcnt(3)
	s_delay_alu instid0(VALU_DEP_1) | instskip(NEXT) | instid1(VALU_DEP_1)
	v_fmac_f32_e32 v11, v55, v75
	v_dual_fmac_f32 v12, v41, v71 :: v_dual_fmac_f32 v11, v51, v76
	s_delay_alu instid0(VALU_DEP_1) | instskip(NEXT) | instid1(VALU_DEP_1)
	v_dual_fmac_f32 v10, v42, v71 :: v_dual_fmac_f32 v11, v47, v77
	v_dual_fmac_f32 v12, v37, v72 :: v_dual_fmac_f32 v11, v43, v78
	s_waitcnt vmcnt(2)
	s_delay_alu instid0(VALU_DEP_1) | instskip(SKIP_1) | instid1(VALU_DEP_2)
	v_dual_fmac_f32 v10, v38, v72 :: v_dual_fmac_f32 v11, v63, v79
	v_fmac_f32_e32 v14, v32, v73
	v_dual_fmac_f32 v10, v34, v73 :: v_dual_fmac_f32 v11, v59, v80
	s_delay_alu instid0(VALU_DEP_2) | instskip(SKIP_1) | instid1(VALU_DEP_2)
	v_fmac_f32_e32 v14, v28, v74
	s_waitcnt vmcnt(1)
	v_dual_fmac_f32 v10, v30, v74 :: v_dual_fmac_f32 v11, v83, v81
	v_fmac_f32_e32 v12, v33, v73
	s_delay_alu instid0(VALU_DEP_3) | instskip(SKIP_1) | instid1(VALU_DEP_3)
	v_fmac_f32_e32 v14, v56, v75
	s_waitcnt vmcnt(0)
	v_dual_fmac_f32 v10, v58, v75 :: v_dual_fmac_f32 v11, v87, v82
	s_delay_alu instid0(VALU_DEP_3) | instskip(NEXT) | instid1(VALU_DEP_3)
	v_fmac_f32_e32 v12, v29, v74
	v_fmac_f32_e32 v14, v52, v76
	s_delay_alu instid0(VALU_DEP_3) | instskip(NEXT) | instid1(VALU_DEP_3)
	v_fmac_f32_e32 v10, v54, v76
	v_fmac_f32_e32 v12, v57, v75
	;; [unrolled: 3-line block ×11, first 2 shown]
	s_delay_alu instid0(VALU_DEP_1)
	v_fmac_f32_e32 v12, v89, v82
	s_and_not1_b32 exec_lo, exec_lo, s6
	s_cbranch_execnz .LBB2_33
; %bb.34:
	s_or_b32 exec_lo, exec_lo, s6
.LBB2_35:
	s_delay_alu instid0(SALU_CYCLE_1)
	s_or_b32 exec_lo, exec_lo, s2
.LBB2_36:
	s_delay_alu instid0(SALU_CYCLE_1)
	s_or_b32 exec_lo, exec_lo, s3
.LBB2_37:
	v_mbcnt_lo_u32_b32 v0, -1, 0
	s_mov_b32 s2, -1
	s_delay_alu instid0(VALU_DEP_1) | instskip(SKIP_1) | instid1(VALU_DEP_2)
	v_xor_b32_e32 v1, 8, v0
	v_xor_b32_e32 v6, 4, v0
	v_cmp_gt_i32_e32 vcc_lo, 32, v1
	v_cndmask_b32_e32 v1, v0, v1, vcc_lo
	s_delay_alu instid0(VALU_DEP_3) | instskip(SKIP_1) | instid1(VALU_DEP_1)
	v_cmp_gt_i32_e32 vcc_lo, 32, v6
	v_cndmask_b32_e32 v6, v0, v6, vcc_lo
	v_lshlrev_b32_e32 v6, 2, v6
	s_delay_alu instid0(VALU_DEP_4)
	v_lshlrev_b32_e32 v1, 2, v1
	ds_bpermute_b32 v2, v1, v11
	s_waitcnt lgkmcnt(0)
	v_add_f32_e32 v2, v11, v2
	ds_bpermute_b32 v3, v1, v14
	ds_bpermute_b32 v5, v1, v12
	;; [unrolled: 1-line block ×3, first 2 shown]
	v_xor_b32_e32 v11, 2, v0
	ds_bpermute_b32 v7, v6, v2
	v_cmp_gt_i32_e32 vcc_lo, 32, v11
	s_waitcnt lgkmcnt(3)
	v_add_f32_e32 v3, v14, v3
	s_waitcnt lgkmcnt(2)
	v_add_f32_e32 v5, v12, v5
	;; [unrolled: 2-line block ×4, first 2 shown]
	ds_bpermute_b32 v8, v6, v3
	ds_bpermute_b32 v10, v6, v5
	;; [unrolled: 1-line block ×3, first 2 shown]
	v_cndmask_b32_e32 v11, v0, v11, vcc_lo
	s_waitcnt lgkmcnt(2)
	v_add_f32_e32 v3, v3, v8
	s_waitcnt lgkmcnt(1)
	v_add_f32_e32 v5, v5, v10
	s_waitcnt lgkmcnt(0)
	v_dual_add_f32 v6, v1, v6 :: v_dual_lshlrev_b32 v11, 2, v11
	ds_bpermute_b32 v1, v11, v2
	ds_bpermute_b32 v7, v11, v3
	;; [unrolled: 1-line block ×4, first 2 shown]
	v_xor_b32_e32 v11, 1, v0
	s_delay_alu instid0(VALU_DEP_1) | instskip(SKIP_3) | instid1(VALU_DEP_2)
	v_cmp_gt_i32_e32 vcc_lo, 32, v11
	v_cndmask_b32_e32 v0, v0, v11, vcc_lo
	v_cmp_eq_u32_e32 vcc_lo, 15, v9
	s_waitcnt lgkmcnt(3)
	v_dual_add_f32 v0, v2, v1 :: v_dual_lshlrev_b32 v11, 2, v0
	s_waitcnt lgkmcnt(1)
	v_dual_add_f32 v1, v3, v7 :: v_dual_add_f32 v2, v5, v8
	s_waitcnt lgkmcnt(0)
	v_add_f32_e32 v3, v6, v10
	ds_bpermute_b32 v5, v11, v0
	ds_bpermute_b32 v6, v11, v1
	;; [unrolled: 1-line block ×4, first 2 shown]
	s_and_b32 exec_lo, exec_lo, vcc_lo
	s_cbranch_execz .LBB2_10
; %bb.38:
	s_load_b64 s[0:1], s[0:1], 0x50
	s_waitcnt lgkmcnt(0)
	v_dual_add_f32 v0, v0, v5 :: v_dual_add_f32 v1, v1, v6
	v_dual_add_f32 v2, v2, v7 :: v_dual_add_f32 v3, v3, v8
	v_cmp_eq_f32_e64 s3, s12, 0
	s_delay_alu instid0(VALU_DEP_3) | instskip(NEXT) | instid1(VALU_DEP_3)
	v_dual_mul_f32 v0, s16, v0 :: v_dual_mul_f32 v1, s16, v1
	v_dual_mul_f32 v2, s16, v2 :: v_dual_mul_f32 v3, s16, v3
	v_lshlrev_b32_e32 v4, 2, v4
	s_delay_alu instid0(VALU_DEP_4)
	s_and_b32 vcc_lo, exec_lo, s3
	s_cbranch_vccz .LBB2_40
; %bb.39:
	s_delay_alu instid0(VALU_DEP_1) | instskip(SKIP_1) | instid1(VALU_DEP_1)
	v_ashrrev_i32_e32 v5, 31, v4
	s_mov_b32 s2, 0
	v_lshlrev_b64 v[5:6], 2, v[4:5]
	s_delay_alu instid0(VALU_DEP_1) | instskip(NEXT) | instid1(VALU_DEP_2)
	v_add_co_u32 v5, vcc_lo, s0, v5
	v_add_co_ci_u32_e32 v6, vcc_lo, s1, v6, vcc_lo
	global_store_b128 v[5:6], v[0:3], off
.LBB2_40:
	s_and_not1_b32 vcc_lo, exec_lo, s2
	s_cbranch_vccnz .LBB2_10
; %bb.41:
	v_ashrrev_i32_e32 v5, 31, v4
	s_delay_alu instid0(VALU_DEP_1) | instskip(NEXT) | instid1(VALU_DEP_1)
	v_lshlrev_b64 v[4:5], 2, v[4:5]
	v_add_co_u32 v8, vcc_lo, s0, v4
	s_delay_alu instid0(VALU_DEP_2)
	v_add_co_ci_u32_e32 v9, vcc_lo, s1, v5, vcc_lo
	global_load_b128 v[4:7], v[8:9], off
	s_waitcnt vmcnt(0)
	v_dual_fmac_f32 v0, s12, v4 :: v_dual_fmac_f32 v1, s12, v5
	v_dual_fmac_f32 v2, s12, v6 :: v_dual_fmac_f32 v3, s12, v7
	global_store_b128 v[8:9], v[0:3], off
	s_nop 0
	s_sendmsg sendmsg(MSG_DEALLOC_VGPRS)
	s_endpgm
	.section	.rodata,"a",@progbits
	.p2align	6, 0x0
	.amdhsa_kernel _ZN9rocsparseL18bsrxmvn_4x4_kernelILj128ELj16EfiifffEEvT3_20rocsparse_direction_NS_24const_host_device_scalarIT1_EES1_PKS1_PKT2_SA_S7_PKT4_PKT5_S5_PT6_21rocsparse_index_base_b
		.amdhsa_group_segment_fixed_size 0
		.amdhsa_private_segment_fixed_size 0
		.amdhsa_kernarg_size 96
		.amdhsa_user_sgpr_count 15
		.amdhsa_user_sgpr_dispatch_ptr 0
		.amdhsa_user_sgpr_queue_ptr 0
		.amdhsa_user_sgpr_kernarg_segment_ptr 1
		.amdhsa_user_sgpr_dispatch_id 0
		.amdhsa_user_sgpr_private_segment_size 0
		.amdhsa_wavefront_size32 1
		.amdhsa_uses_dynamic_stack 0
		.amdhsa_enable_private_segment 0
		.amdhsa_system_sgpr_workgroup_id_x 1
		.amdhsa_system_sgpr_workgroup_id_y 0
		.amdhsa_system_sgpr_workgroup_id_z 0
		.amdhsa_system_sgpr_workgroup_info 0
		.amdhsa_system_vgpr_workitem_id 0
		.amdhsa_next_free_vgpr 96
		.amdhsa_next_free_sgpr 20
		.amdhsa_reserve_vcc 1
		.amdhsa_float_round_mode_32 0
		.amdhsa_float_round_mode_16_64 0
		.amdhsa_float_denorm_mode_32 3
		.amdhsa_float_denorm_mode_16_64 3
		.amdhsa_dx10_clamp 1
		.amdhsa_ieee_mode 1
		.amdhsa_fp16_overflow 0
		.amdhsa_workgroup_processor_mode 1
		.amdhsa_memory_ordered 1
		.amdhsa_forward_progress 0
		.amdhsa_shared_vgpr_count 0
		.amdhsa_exception_fp_ieee_invalid_op 0
		.amdhsa_exception_fp_denorm_src 0
		.amdhsa_exception_fp_ieee_div_zero 0
		.amdhsa_exception_fp_ieee_overflow 0
		.amdhsa_exception_fp_ieee_underflow 0
		.amdhsa_exception_fp_ieee_inexact 0
		.amdhsa_exception_int_div_zero 0
	.end_amdhsa_kernel
	.section	.text._ZN9rocsparseL18bsrxmvn_4x4_kernelILj128ELj16EfiifffEEvT3_20rocsparse_direction_NS_24const_host_device_scalarIT1_EES1_PKS1_PKT2_SA_S7_PKT4_PKT5_S5_PT6_21rocsparse_index_base_b,"axG",@progbits,_ZN9rocsparseL18bsrxmvn_4x4_kernelILj128ELj16EfiifffEEvT3_20rocsparse_direction_NS_24const_host_device_scalarIT1_EES1_PKS1_PKT2_SA_S7_PKT4_PKT5_S5_PT6_21rocsparse_index_base_b,comdat
.Lfunc_end2:
	.size	_ZN9rocsparseL18bsrxmvn_4x4_kernelILj128ELj16EfiifffEEvT3_20rocsparse_direction_NS_24const_host_device_scalarIT1_EES1_PKS1_PKT2_SA_S7_PKT4_PKT5_S5_PT6_21rocsparse_index_base_b, .Lfunc_end2-_ZN9rocsparseL18bsrxmvn_4x4_kernelILj128ELj16EfiifffEEvT3_20rocsparse_direction_NS_24const_host_device_scalarIT1_EES1_PKS1_PKT2_SA_S7_PKT4_PKT5_S5_PT6_21rocsparse_index_base_b
                                        ; -- End function
	.section	.AMDGPU.csdata,"",@progbits
; Kernel info:
; codeLenInByte = 3636
; NumSgprs: 22
; NumVgprs: 96
; ScratchSize: 0
; MemoryBound: 0
; FloatMode: 240
; IeeeMode: 1
; LDSByteSize: 0 bytes/workgroup (compile time only)
; SGPRBlocks: 2
; VGPRBlocks: 11
; NumSGPRsForWavesPerEU: 22
; NumVGPRsForWavesPerEU: 96
; Occupancy: 16
; WaveLimiterHint : 1
; COMPUTE_PGM_RSRC2:SCRATCH_EN: 0
; COMPUTE_PGM_RSRC2:USER_SGPR: 15
; COMPUTE_PGM_RSRC2:TRAP_HANDLER: 0
; COMPUTE_PGM_RSRC2:TGID_X_EN: 1
; COMPUTE_PGM_RSRC2:TGID_Y_EN: 0
; COMPUTE_PGM_RSRC2:TGID_Z_EN: 0
; COMPUTE_PGM_RSRC2:TIDIG_COMP_CNT: 0
	.section	.text._ZN9rocsparseL18bsrxmvn_4x4_kernelILj128ELj32EfiifffEEvT3_20rocsparse_direction_NS_24const_host_device_scalarIT1_EES1_PKS1_PKT2_SA_S7_PKT4_PKT5_S5_PT6_21rocsparse_index_base_b,"axG",@progbits,_ZN9rocsparseL18bsrxmvn_4x4_kernelILj128ELj32EfiifffEEvT3_20rocsparse_direction_NS_24const_host_device_scalarIT1_EES1_PKS1_PKT2_SA_S7_PKT4_PKT5_S5_PT6_21rocsparse_index_base_b,comdat
	.globl	_ZN9rocsparseL18bsrxmvn_4x4_kernelILj128ELj32EfiifffEEvT3_20rocsparse_direction_NS_24const_host_device_scalarIT1_EES1_PKS1_PKT2_SA_S7_PKT4_PKT5_S5_PT6_21rocsparse_index_base_b ; -- Begin function _ZN9rocsparseL18bsrxmvn_4x4_kernelILj128ELj32EfiifffEEvT3_20rocsparse_direction_NS_24const_host_device_scalarIT1_EES1_PKS1_PKT2_SA_S7_PKT4_PKT5_S5_PT6_21rocsparse_index_base_b
	.p2align	8
	.type	_ZN9rocsparseL18bsrxmvn_4x4_kernelILj128ELj32EfiifffEEvT3_20rocsparse_direction_NS_24const_host_device_scalarIT1_EES1_PKS1_PKT2_SA_S7_PKT4_PKT5_S5_PT6_21rocsparse_index_base_b,@function
_ZN9rocsparseL18bsrxmvn_4x4_kernelILj128ELj32EfiifffEEvT3_20rocsparse_direction_NS_24const_host_device_scalarIT1_EES1_PKS1_PKT2_SA_S7_PKT4_PKT5_S5_PT6_21rocsparse_index_base_b: ; @_ZN9rocsparseL18bsrxmvn_4x4_kernelILj128ELj32EfiifffEEvT3_20rocsparse_direction_NS_24const_host_device_scalarIT1_EES1_PKS1_PKT2_SA_S7_PKT4_PKT5_S5_PT6_21rocsparse_index_base_b
; %bb.0:
	s_clause 0x2
	s_load_b64 s[18:19], s[0:1], 0x58
	s_load_b64 s[16:17], s[0:1], 0x8
	;; [unrolled: 1-line block ×3, first 2 shown]
	s_waitcnt lgkmcnt(0)
	s_bitcmp1_b32 s19, 0
	s_cselect_b32 s2, -1, 0
	s_delay_alu instid0(SALU_CYCLE_1)
	s_and_b32 vcc_lo, exec_lo, s2
	s_xor_b32 s2, s2, -1
	s_cbranch_vccnz .LBB3_2
; %bb.1:
	s_load_b32 s16, s[16:17], 0x0
.LBB3_2:
	s_and_not1_b32 vcc_lo, exec_lo, s2
	s_cbranch_vccnz .LBB3_4
; %bb.3:
	s_load_b32 s12, s[12:13], 0x0
.LBB3_4:
	s_waitcnt lgkmcnt(0)
	v_cmp_neq_f32_e64 s2, s16, 0
	v_cmp_neq_f32_e64 s3, s12, 1.0
	s_mov_b32 s6, 0
	s_delay_alu instid0(VALU_DEP_1) | instskip(NEXT) | instid1(SALU_CYCLE_1)
	s_or_b32 s2, s2, s3
	s_and_not1_b32 vcc_lo, exec_lo, s2
	s_cbranch_vccnz .LBB3_10
; %bb.5:
	s_clause 0x1
	s_load_b64 s[4:5], s[0:1], 0x18
	s_load_b64 s[2:3], s[0:1], 0x0
	v_lshrrev_b32_e32 v1, 5, v0
	s_delay_alu instid0(VALU_DEP_1)
	v_lshl_or_b32 v4, s15, 2, v1
	s_waitcnt lgkmcnt(0)
	s_cmp_lg_u64 s[4:5], 0
	s_cbranch_scc0 .LBB3_11
; %bb.6:
	s_load_b32 s6, s[0:1], 0x10
	s_mov_b32 s7, 0
                                        ; implicit-def: $vgpr1
	s_waitcnt lgkmcnt(0)
	v_cmp_gt_i32_e32 vcc_lo, s6, v4
	s_mov_b32 s6, 0
	s_and_saveexec_b32 s8, vcc_lo
	s_delay_alu instid0(SALU_CYCLE_1)
	s_xor_b32 s8, exec_lo, s8
	s_cbranch_execz .LBB3_8
; %bb.7:
	v_ashrrev_i32_e32 v5, 31, v4
	s_mov_b32 s6, exec_lo
	s_delay_alu instid0(VALU_DEP_1) | instskip(NEXT) | instid1(VALU_DEP_1)
	v_lshlrev_b64 v[1:2], 2, v[4:5]
	v_add_co_u32 v1, vcc_lo, s4, v1
	s_delay_alu instid0(VALU_DEP_2)
	v_add_co_ci_u32_e32 v2, vcc_lo, s5, v2, vcc_lo
	global_load_b32 v1, v[1:2], off
	s_waitcnt vmcnt(0)
	v_subrev_nc_u32_e32 v1, s18, v1
.LBB3_8:
	s_or_b32 exec_lo, exec_lo, s8
	s_delay_alu instid0(SALU_CYCLE_1)
	s_and_b32 vcc_lo, exec_lo, s7
	s_cbranch_vccz .LBB3_12
.LBB3_9:
	v_cmp_gt_i32_e32 vcc_lo, s2, v4
	s_and_not1_b32 s2, s6, exec_lo
	s_and_b32 s4, vcc_lo, exec_lo
	s_delay_alu instid0(SALU_CYCLE_1) | instskip(NEXT) | instid1(SALU_CYCLE_1)
	s_or_b32 s6, s2, s4
	s_and_saveexec_b32 s2, s6
	s_cbranch_execnz .LBB3_13
.LBB3_10:
	s_nop 0
	s_sendmsg sendmsg(MSG_DEALLOC_VGPRS)
	s_endpgm
.LBB3_11:
                                        ; implicit-def: $vgpr1
	s_cbranch_execnz .LBB3_9
.LBB3_12:
	s_delay_alu instid0(VALU_DEP_1)
	v_mov_b32_e32 v4, v1
	s_and_saveexec_b32 s2, s6
	s_cbranch_execz .LBB3_10
.LBB3_13:
	s_load_b256 s[4:11], s[0:1], 0x20
	s_delay_alu instid0(VALU_DEP_1) | instskip(SKIP_1) | instid1(VALU_DEP_2)
	v_ashrrev_i32_e32 v5, 31, v4
	v_and_b32_e32 v9, 31, v0
	v_lshlrev_b64 v[1:2], 2, v[4:5]
	s_waitcnt lgkmcnt(0)
	s_delay_alu instid0(VALU_DEP_1) | instskip(NEXT) | instid1(VALU_DEP_2)
	v_add_co_u32 v5, vcc_lo, s4, v1
	v_add_co_ci_u32_e32 v6, vcc_lo, s5, v2, vcc_lo
	v_add_co_u32 v1, vcc_lo, s6, v1
	v_add_co_ci_u32_e32 v2, vcc_lo, s7, v2, vcc_lo
	global_load_b32 v15, v[5:6], off
	v_add_co_u32 v3, vcc_lo, v5, 4
	v_add_co_ci_u32_e32 v5, vcc_lo, 0, v6, vcc_lo
	s_cmp_eq_u64 s[6:7], 0
	s_load_b64 s[4:5], s[0:1], 0x40
	s_cselect_b32 vcc_lo, -1, 0
	s_cmp_eq_u32 s3, 1
	v_dual_cndmask_b32 v2, v2, v5 :: v_dual_cndmask_b32 v1, v1, v3
	global_load_b32 v5, v[1:2], off
	s_waitcnt vmcnt(1)
	v_subrev_nc_u32_e32 v0, s18, v15
	s_delay_alu instid0(VALU_DEP_1) | instskip(NEXT) | instid1(VALU_DEP_1)
	v_add_nc_u32_e32 v0, v0, v9
	v_ashrrev_i32_e32 v1, 31, v0
	s_waitcnt vmcnt(0)
	v_subrev_nc_u32_e32 v14, s18, v5
	s_delay_alu instid0(VALU_DEP_2) | instskip(NEXT) | instid1(VALU_DEP_2)
	v_lshlrev_b64 v[2:3], 6, v[0:1]
	v_cmp_lt_i32_e64 s2, v0, v14
	s_delay_alu instid0(VALU_DEP_2) | instskip(NEXT) | instid1(VALU_DEP_3)
	v_add_co_u32 v2, vcc_lo, s10, v2
	v_add_co_ci_u32_e32 v3, vcc_lo, s11, v3, vcc_lo
	s_cbranch_scc1 .LBB3_25
; %bb.14:
	v_dual_mov_b32 v10, 0 :: v_dual_mov_b32 v13, 0
	v_dual_mov_b32 v12, 0 :: v_dual_mov_b32 v11, 0
	s_mov_b32 s3, 0
	s_and_saveexec_b32 s6, s2
	s_cbranch_execz .LBB3_24
; %bb.15:
	v_dual_mov_b32 v12, 0 :: v_dual_add_nc_u32 v1, v15, v9
	v_not_b32_e32 v5, v15
	v_mov_b32_e32 v13, 0
	s_mov_b32 s10, 0
	s_delay_alu instid0(VALU_DEP_3) | instskip(SKIP_3) | instid1(VALU_DEP_3)
	v_subrev_nc_u32_e32 v1, s18, v1
	s_mov_b32 s7, exec_lo
	v_mov_b32_e32 v10, 0
	v_dual_mov_b32 v8, v3 :: v_dual_mov_b32 v7, v2
	v_add_nc_u32_e32 v1, 32, v1
	s_delay_alu instid0(VALU_DEP_1) | instskip(NEXT) | instid1(VALU_DEP_1)
	v_max_i32_e32 v1, v1, v14
	v_add3_u32 v1, v1, s18, v5
	s_delay_alu instid0(VALU_DEP_1) | instskip(NEXT) | instid1(VALU_DEP_1)
	v_sub_nc_u32_e32 v1, v1, v9
	v_lshrrev_b32_e32 v5, 5, v1
	s_delay_alu instid0(VALU_DEP_1) | instskip(NEXT) | instid1(VALU_DEP_1)
	v_add_nc_u32_e32 v5, 1, v5
	v_dual_mov_b32 v11, 0 :: v_dual_and_b32 v6, 3, v5
	v_mov_b32_e32 v5, v0
	s_delay_alu instid0(VALU_DEP_2)
	v_cmpx_ne_u32_e32 0, v6
	s_cbranch_execz .LBB3_19
; %bb.16:
	v_dual_mov_b32 v8, v3 :: v_dual_mov_b32 v13, 0
	v_dual_mov_b32 v7, v2 :: v_dual_lshlrev_b32 v16, 6, v6
	v_dual_mov_b32 v10, 0 :: v_dual_mov_b32 v5, v0
	v_dual_mov_b32 v12, 0 :: v_dual_mov_b32 v11, 0
.LBB3_17:                               ; =>This Inner Loop Header: Depth=1
	s_delay_alu instid0(VALU_DEP_2) | instskip(NEXT) | instid1(VALU_DEP_4)
	v_ashrrev_i32_e32 v6, 31, v5
	v_subrev_nc_u32_e32 v16, 64, v16
	s_delay_alu instid0(VALU_DEP_2) | instskip(NEXT) | instid1(VALU_DEP_1)
	v_lshlrev_b64 v[17:18], 2, v[5:6]
	v_add_co_u32 v17, vcc_lo, s8, v17
	s_delay_alu instid0(VALU_DEP_2)
	v_add_co_ci_u32_e32 v18, vcc_lo, s9, v18, vcc_lo
	global_load_b32 v6, v[17:18], off
	s_clause 0x2
	global_load_b128 v[17:20], v[7:8], off offset:48
	global_load_b128 v[21:24], v[7:8], off offset:32
	;; [unrolled: 1-line block ×3, first 2 shown]
	s_waitcnt vmcnt(3)
	v_subrev_nc_u32_e32 v6, s18, v6
	s_delay_alu instid0(VALU_DEP_1) | instskip(NEXT) | instid1(VALU_DEP_1)
	v_lshlrev_b32_e32 v29, 2, v6
	v_ashrrev_i32_e32 v30, 31, v29
	s_delay_alu instid0(VALU_DEP_1) | instskip(SKIP_1) | instid1(VALU_DEP_1)
	v_lshlrev_b64 v[29:30], 2, v[29:30]
	s_waitcnt lgkmcnt(0)
	v_add_co_u32 v33, vcc_lo, s4, v29
	s_delay_alu instid0(VALU_DEP_2)
	v_add_co_ci_u32_e32 v34, vcc_lo, s5, v30, vcc_lo
	global_load_b128 v[29:32], v[7:8], off
	global_load_b128 v[33:36], v[33:34], off
	v_add_co_u32 v7, vcc_lo, 0x800, v7
	v_add_co_ci_u32_e32 v8, vcc_lo, 0, v8, vcc_lo
	v_cmp_eq_u32_e32 vcc_lo, 0, v16
	s_or_b32 s10, vcc_lo, s10
	s_waitcnt vmcnt(0)
	v_fmac_f32_e32 v12, v21, v33
	s_delay_alu instid0(VALU_DEP_1) | instskip(NEXT) | instid1(VALU_DEP_1)
	v_dual_fmac_f32 v11, v29, v33 :: v_dual_fmac_f32 v12, v22, v34
	v_dual_fmac_f32 v10, v17, v33 :: v_dual_fmac_f32 v11, v30, v34
	s_delay_alu instid0(VALU_DEP_2) | instskip(NEXT) | instid1(VALU_DEP_2)
	v_dual_fmac_f32 v13, v25, v33 :: v_dual_fmac_f32 v12, v23, v35
	v_dual_fmac_f32 v10, v18, v34 :: v_dual_add_nc_u32 v5, 32, v5
	s_delay_alu instid0(VALU_DEP_2) | instskip(NEXT) | instid1(VALU_DEP_3)
	v_fmac_f32_e32 v13, v26, v34
	v_dual_fmac_f32 v11, v31, v35 :: v_dual_fmac_f32 v12, v24, v36
	s_delay_alu instid0(VALU_DEP_3) | instskip(NEXT) | instid1(VALU_DEP_3)
	v_fmac_f32_e32 v10, v19, v35
	v_fmac_f32_e32 v13, v27, v35
	s_delay_alu instid0(VALU_DEP_3) | instskip(NEXT) | instid1(VALU_DEP_3)
	v_fmac_f32_e32 v11, v32, v36
	v_fmac_f32_e32 v10, v20, v36
	s_delay_alu instid0(VALU_DEP_3)
	v_fmac_f32_e32 v13, v28, v36
	s_and_not1_b32 exec_lo, exec_lo, s10
	s_cbranch_execnz .LBB3_17
; %bb.18:
	s_or_b32 exec_lo, exec_lo, s10
.LBB3_19:
	s_delay_alu instid0(SALU_CYCLE_1) | instskip(NEXT) | instid1(SALU_CYCLE_1)
	s_or_b32 exec_lo, exec_lo, s7
	s_mov_b32 s7, exec_lo
	v_cmpx_lt_u32_e32 0x5f, v1
	s_cbranch_execz .LBB3_23
; %bb.20:
	s_mov_b32 s10, 0
.LBB3_21:                               ; =>This Inner Loop Header: Depth=1
	v_ashrrev_i32_e32 v6, 31, v5
	s_delay_alu instid0(VALU_DEP_1) | instskip(SKIP_1) | instid1(VALU_DEP_2)
	v_lshlrev_b64 v[16:17], 2, v[5:6]
	v_add_nc_u32_e32 v5, 0x80, v5
	v_add_co_u32 v16, vcc_lo, s8, v16
	s_delay_alu instid0(VALU_DEP_3)
	v_add_co_ci_u32_e32 v17, vcc_lo, s9, v17, vcc_lo
	s_clause 0x3
	global_load_b32 v1, v[16:17], off
	global_load_b32 v6, v[16:17], off offset:128
	global_load_b32 v80, v[16:17], off offset:256
	;; [unrolled: 1-line block ×3, first 2 shown]
	s_clause 0x3
	global_load_b128 v[16:19], v[7:8], off offset:48
	global_load_b128 v[20:23], v[7:8], off offset:32
	;; [unrolled: 1-line block ×3, first 2 shown]
	global_load_b128 v[28:31], v[7:8], off
	v_add_co_u32 v76, vcc_lo, 0x1000, v7
	v_add_co_ci_u32_e32 v77, vcc_lo, 0, v8, vcc_lo
	s_clause 0xb
	global_load_b128 v[32:35], v[7:8], off offset:2096
	global_load_b128 v[36:39], v[7:8], off offset:2080
	;; [unrolled: 1-line block ×6, first 2 shown]
	global_load_b128 v[56:59], v[76:77], off
	global_load_b128 v[60:63], v[76:77], off offset:16
	global_load_b128 v[64:67], v[76:77], off offset:2096
	;; [unrolled: 1-line block ×5, first 2 shown]
	s_waitcnt vmcnt(19)
	v_subrev_nc_u32_e32 v1, s18, v1
	s_waitcnt vmcnt(18)
	v_subrev_nc_u32_e32 v6, s18, v6
	;; [unrolled: 2-line block ×4, first 2 shown]
	v_lshlrev_b32_e32 v80, 2, v1
	s_delay_alu instid0(VALU_DEP_3) | instskip(NEXT) | instid1(VALU_DEP_3)
	v_lshlrev_b32_e32 v88, 2, v82
	v_lshlrev_b32_e32 v92, 2, v81
	s_delay_alu instid0(VALU_DEP_3) | instskip(NEXT) | instid1(VALU_DEP_1)
	v_ashrrev_i32_e32 v81, 31, v80
	v_lshlrev_b64 v[80:81], 2, v[80:81]
	s_waitcnt lgkmcnt(0)
	s_delay_alu instid0(VALU_DEP_1) | instskip(NEXT) | instid1(VALU_DEP_2)
	v_add_co_u32 v80, vcc_lo, s4, v80
	v_add_co_ci_u32_e32 v81, vcc_lo, s5, v81, vcc_lo
	global_load_b128 v[80:83], v[80:81], off
	v_lshlrev_b32_e32 v84, 2, v6
	s_delay_alu instid0(VALU_DEP_1) | instskip(NEXT) | instid1(VALU_DEP_1)
	v_ashrrev_i32_e32 v85, 31, v84
	v_lshlrev_b64 v[84:85], 2, v[84:85]
	s_delay_alu instid0(VALU_DEP_1) | instskip(NEXT) | instid1(VALU_DEP_2)
	v_add_co_u32 v84, vcc_lo, s4, v84
	v_add_co_ci_u32_e32 v85, vcc_lo, s5, v85, vcc_lo
	global_load_b128 v[84:87], v[84:85], off
	s_waitcnt vmcnt(1)
	v_fmac_f32_e32 v11, v28, v80
	v_fmac_f32_e32 v13, v24, v80
	v_ashrrev_i32_e32 v89, 31, v88
	v_fmac_f32_e32 v10, v16, v80
	s_delay_alu instid0(VALU_DEP_4) | instskip(NEXT) | instid1(VALU_DEP_4)
	v_dual_fmac_f32 v12, v20, v80 :: v_dual_fmac_f32 v11, v29, v81
	v_fmac_f32_e32 v13, v25, v81
	s_delay_alu instid0(VALU_DEP_4) | instskip(NEXT) | instid1(VALU_DEP_3)
	v_lshlrev_b64 v[88:89], 2, v[88:89]
	v_fmac_f32_e32 v11, v30, v82
	s_delay_alu instid0(VALU_DEP_3) | instskip(SKIP_1) | instid1(VALU_DEP_4)
	v_fmac_f32_e32 v13, v26, v82
	v_ashrrev_i32_e32 v93, 31, v92
	v_add_co_u32 v88, vcc_lo, s4, v88
	v_add_co_ci_u32_e32 v89, vcc_lo, s5, v89, vcc_lo
	s_delay_alu instid0(VALU_DEP_3)
	v_lshlrev_b64 v[92:93], 2, v[92:93]
	v_dual_fmac_f32 v12, v21, v81 :: v_dual_fmac_f32 v11, v31, v83
	global_load_b128 v[88:91], v[88:89], off
	v_dual_fmac_f32 v10, v17, v81 :: v_dual_fmac_f32 v13, v27, v83
	v_add_co_u32 v92, vcc_lo, s4, v92
	v_add_co_ci_u32_e32 v93, vcc_lo, s5, v93, vcc_lo
	s_waitcnt vmcnt(1)
	v_dual_fmac_f32 v12, v22, v82 :: v_dual_fmac_f32 v11, v44, v84
	v_dual_fmac_f32 v10, v18, v82 :: v_dual_fmac_f32 v13, v40, v84
	global_load_b128 v[92:95], v[92:93], off
	v_dual_fmac_f32 v12, v23, v83 :: v_dual_fmac_f32 v11, v45, v85
	v_dual_fmac_f32 v10, v19, v83 :: v_dual_fmac_f32 v13, v41, v85
	v_add_co_u32 v7, vcc_lo, 0x2000, v7
	s_delay_alu instid0(VALU_DEP_3) | instskip(NEXT) | instid1(VALU_DEP_3)
	v_dual_fmac_f32 v12, v36, v84 :: v_dual_fmac_f32 v11, v46, v86
	v_dual_fmac_f32 v10, v32, v84 :: v_dual_fmac_f32 v13, v42, v86
	v_add_co_ci_u32_e32 v8, vcc_lo, 0, v8, vcc_lo
	s_delay_alu instid0(VALU_DEP_3) | instskip(NEXT) | instid1(VALU_DEP_3)
	v_dual_fmac_f32 v12, v37, v85 :: v_dual_fmac_f32 v11, v47, v87
	v_dual_fmac_f32 v10, v33, v85 :: v_dual_fmac_f32 v13, v43, v87
	v_cmp_ge_i32_e32 vcc_lo, v5, v14
	s_delay_alu instid0(VALU_DEP_3) | instskip(NEXT) | instid1(VALU_DEP_3)
	v_fmac_f32_e32 v12, v38, v86
	v_fmac_f32_e32 v10, v34, v86
	s_or_b32 s10, vcc_lo, s10
	s_waitcnt vmcnt(1)
	s_delay_alu instid0(VALU_DEP_1) | instskip(SKIP_1) | instid1(VALU_DEP_2)
	v_dual_fmac_f32 v13, v60, v88 :: v_dual_fmac_f32 v10, v35, v87
	v_dual_fmac_f32 v11, v56, v88 :: v_dual_fmac_f32 v12, v39, v87
	;; [unrolled: 1-line block ×3, first 2 shown]
	s_delay_alu instid0(VALU_DEP_2) | instskip(NEXT) | instid1(VALU_DEP_2)
	v_dual_fmac_f32 v11, v57, v89 :: v_dual_fmac_f32 v12, v52, v88
	v_dual_fmac_f32 v13, v62, v90 :: v_dual_fmac_f32 v10, v49, v89
	s_delay_alu instid0(VALU_DEP_2) | instskip(NEXT) | instid1(VALU_DEP_2)
	v_dual_fmac_f32 v11, v58, v90 :: v_dual_fmac_f32 v12, v53, v89
	v_dual_fmac_f32 v13, v63, v91 :: v_dual_fmac_f32 v10, v50, v90
	s_delay_alu instid0(VALU_DEP_2) | instskip(SKIP_1) | instid1(VALU_DEP_2)
	v_dual_fmac_f32 v11, v59, v91 :: v_dual_fmac_f32 v12, v54, v90
	s_waitcnt vmcnt(0)
	v_dual_fmac_f32 v13, v72, v92 :: v_dual_fmac_f32 v10, v51, v91
	s_delay_alu instid0(VALU_DEP_2) | instskip(NEXT) | instid1(VALU_DEP_2)
	v_dual_fmac_f32 v11, v76, v92 :: v_dual_fmac_f32 v12, v55, v91
	v_fmac_f32_e32 v13, v73, v93
	s_delay_alu instid0(VALU_DEP_2) | instskip(NEXT) | instid1(VALU_DEP_2)
	v_dual_fmac_f32 v11, v77, v93 :: v_dual_fmac_f32 v12, v68, v92
	v_dual_fmac_f32 v10, v64, v92 :: v_dual_fmac_f32 v13, v74, v94
	s_delay_alu instid0(VALU_DEP_2) | instskip(NEXT) | instid1(VALU_DEP_2)
	v_dual_fmac_f32 v11, v78, v94 :: v_dual_fmac_f32 v12, v69, v93
	v_dual_fmac_f32 v10, v65, v93 :: v_dual_fmac_f32 v13, v75, v95
	s_delay_alu instid0(VALU_DEP_2) | instskip(NEXT) | instid1(VALU_DEP_2)
	v_dual_fmac_f32 v11, v79, v95 :: v_dual_fmac_f32 v12, v70, v94
	v_fmac_f32_e32 v10, v66, v94
	s_delay_alu instid0(VALU_DEP_2) | instskip(NEXT) | instid1(VALU_DEP_2)
	v_fmac_f32_e32 v12, v71, v95
	v_fmac_f32_e32 v10, v67, v95
	s_and_not1_b32 exec_lo, exec_lo, s10
	s_cbranch_execnz .LBB3_21
; %bb.22:
	s_or_b32 exec_lo, exec_lo, s10
.LBB3_23:
	s_delay_alu instid0(SALU_CYCLE_1)
	s_or_b32 exec_lo, exec_lo, s7
.LBB3_24:
	s_delay_alu instid0(SALU_CYCLE_1) | instskip(NEXT) | instid1(SALU_CYCLE_1)
	s_or_b32 exec_lo, exec_lo, s6
	s_and_not1_b32 vcc_lo, exec_lo, s3
	s_cbranch_vccz .LBB3_26
	s_branch .LBB3_37
.LBB3_25:
                                        ; implicit-def: $vgpr10
                                        ; implicit-def: $vgpr12
                                        ; implicit-def: $vgpr13
                                        ; implicit-def: $vgpr11
.LBB3_26:
	v_dual_mov_b32 v10, 0 :: v_dual_mov_b32 v13, 0
	v_dual_mov_b32 v12, 0 :: v_dual_mov_b32 v11, 0
	s_and_saveexec_b32 s3, s2
	s_cbranch_execz .LBB3_36
; %bb.27:
	v_dual_mov_b32 v12, 0 :: v_dual_add_nc_u32 v1, v15, v9
	v_not_b32_e32 v5, v15
	v_mov_b32_e32 v11, 0
	v_mov_b32_e32 v13, 0
	s_delay_alu instid0(VALU_DEP_4) | instskip(SKIP_2) | instid1(VALU_DEP_1)
	v_subrev_nc_u32_e32 v1, s18, v1
	s_mov_b32 s6, 0
	s_mov_b32 s2, exec_lo
	v_dual_mov_b32 v10, 0 :: v_dual_add_nc_u32 v1, 32, v1
	s_delay_alu instid0(VALU_DEP_1) | instskip(NEXT) | instid1(VALU_DEP_1)
	v_max_i32_e32 v1, v1, v14
	v_add3_u32 v1, v1, s18, v5
	s_delay_alu instid0(VALU_DEP_1) | instskip(NEXT) | instid1(VALU_DEP_1)
	v_sub_nc_u32_e32 v5, v1, v9
	v_lshrrev_b32_e32 v1, 5, v5
	s_delay_alu instid0(VALU_DEP_1) | instskip(NEXT) | instid1(VALU_DEP_1)
	v_add_nc_u32_e32 v1, 1, v1
	v_and_b32_e32 v1, 3, v1
	s_delay_alu instid0(VALU_DEP_1)
	v_cmpx_ne_u32_e32 0, v1
	s_cbranch_execz .LBB3_31
; %bb.28:
	v_dual_mov_b32 v13, 0 :: v_dual_lshlrev_b32 v6, 6, v1
	v_dual_mov_b32 v10, 0 :: v_dual_mov_b32 v11, 0
	v_mov_b32_e32 v12, 0
.LBB3_29:                               ; =>This Inner Loop Header: Depth=1
	v_ashrrev_i32_e32 v1, 31, v0
	s_delay_alu instid0(VALU_DEP_4) | instskip(NEXT) | instid1(VALU_DEP_2)
	v_subrev_nc_u32_e32 v6, 64, v6
	v_lshlrev_b64 v[7:8], 2, v[0:1]
	s_delay_alu instid0(VALU_DEP_1) | instskip(NEXT) | instid1(VALU_DEP_2)
	v_add_co_u32 v7, vcc_lo, s8, v7
	v_add_co_ci_u32_e32 v8, vcc_lo, s9, v8, vcc_lo
	global_load_b32 v1, v[7:8], off
	global_load_b128 v[15:18], v[2:3], off offset:16
	s_waitcnt vmcnt(1)
	v_subrev_nc_u32_e32 v1, s18, v1
	s_delay_alu instid0(VALU_DEP_1) | instskip(NEXT) | instid1(VALU_DEP_1)
	v_lshlrev_b32_e32 v7, 2, v1
	v_ashrrev_i32_e32 v8, 31, v7
	s_delay_alu instid0(VALU_DEP_1) | instskip(SKIP_1) | instid1(VALU_DEP_1)
	v_lshlrev_b64 v[7:8], 2, v[7:8]
	s_waitcnt lgkmcnt(0)
	v_add_co_u32 v7, vcc_lo, s4, v7
	s_delay_alu instid0(VALU_DEP_2)
	v_add_co_ci_u32_e32 v8, vcc_lo, s5, v8, vcc_lo
	global_load_b128 v[19:22], v[2:3], off
	global_load_b128 v[23:26], v[7:8], off
	s_clause 0x1
	global_load_b128 v[27:30], v[2:3], off offset:32
	global_load_b128 v[31:34], v[2:3], off offset:48
	v_add_co_u32 v2, vcc_lo, 0x800, v2
	v_add_co_ci_u32_e32 v3, vcc_lo, 0, v3, vcc_lo
	v_cmp_eq_u32_e32 vcc_lo, 0, v6
	s_or_b32 s6, vcc_lo, s6
	s_waitcnt vmcnt(2)
	v_fmac_f32_e32 v12, v21, v23
	s_delay_alu instid0(VALU_DEP_1) | instskip(NEXT) | instid1(VALU_DEP_1)
	v_dual_fmac_f32 v11, v19, v23 :: v_dual_fmac_f32 v12, v17, v24
	v_dual_fmac_f32 v10, v22, v23 :: v_dual_fmac_f32 v11, v15, v24
	v_dual_fmac_f32 v13, v20, v23 :: v_dual_add_nc_u32 v0, 32, v0
	s_waitcnt vmcnt(1)
	s_delay_alu instid0(VALU_DEP_3) | instskip(NEXT) | instid1(VALU_DEP_3)
	v_fmac_f32_e32 v12, v29, v25
	v_dual_fmac_f32 v10, v18, v24 :: v_dual_fmac_f32 v11, v27, v25
	s_waitcnt vmcnt(0)
	s_delay_alu instid0(VALU_DEP_2) | instskip(NEXT) | instid1(VALU_DEP_2)
	v_dual_fmac_f32 v13, v16, v24 :: v_dual_fmac_f32 v12, v33, v26
	v_dual_fmac_f32 v10, v30, v25 :: v_dual_fmac_f32 v11, v31, v26
	s_delay_alu instid0(VALU_DEP_1) | instskip(NEXT) | instid1(VALU_DEP_1)
	v_dual_fmac_f32 v13, v28, v25 :: v_dual_fmac_f32 v10, v34, v26
	v_fmac_f32_e32 v13, v32, v26
	s_and_not1_b32 exec_lo, exec_lo, s6
	s_cbranch_execnz .LBB3_29
; %bb.30:
	s_or_b32 exec_lo, exec_lo, s6
.LBB3_31:
	s_delay_alu instid0(SALU_CYCLE_1) | instskip(NEXT) | instid1(SALU_CYCLE_1)
	s_or_b32 exec_lo, exec_lo, s2
	s_mov_b32 s2, exec_lo
	v_cmpx_lt_u32_e32 0x5f, v5
	s_cbranch_execz .LBB3_35
; %bb.32:
	s_mov_b32 s6, 0
.LBB3_33:                               ; =>This Inner Loop Header: Depth=1
	v_ashrrev_i32_e32 v1, 31, v0
	s_delay_alu instid0(VALU_DEP_1) | instskip(SKIP_1) | instid1(VALU_DEP_2)
	v_lshlrev_b64 v[5:6], 2, v[0:1]
	v_add_nc_u32_e32 v0, 0x80, v0
	v_add_co_u32 v5, vcc_lo, s8, v5
	s_delay_alu instid0(VALU_DEP_3)
	v_add_co_ci_u32_e32 v6, vcc_lo, s9, v6, vcc_lo
	s_clause 0x3
	global_load_b32 v1, v[5:6], off
	global_load_b32 v67, v[5:6], off offset:128
	global_load_b32 v68, v[5:6], off offset:256
	;; [unrolled: 1-line block ×3, first 2 shown]
	s_clause 0x3
	global_load_b128 v[5:8], v[2:3], off offset:48
	global_load_b128 v[15:18], v[2:3], off offset:32
	;; [unrolled: 1-line block ×3, first 2 shown]
	global_load_b128 v[23:26], v[2:3], off
	v_add_co_u32 v87, vcc_lo, 0x1000, v2
	v_add_co_ci_u32_e32 v88, vcc_lo, 0, v3, vcc_lo
	s_clause 0x9
	global_load_b128 v[27:30], v[2:3], off offset:2096
	global_load_b128 v[31:34], v[2:3], off offset:2080
	;; [unrolled: 1-line block ×6, first 2 shown]
	global_load_b128 v[51:54], v[87:88], off
	global_load_b128 v[55:58], v[87:88], off offset:16
	global_load_b128 v[59:62], v[87:88], off offset:2064
	;; [unrolled: 1-line block ×3, first 2 shown]
	s_waitcnt vmcnt(17)
	v_subrev_nc_u32_e32 v1, s18, v1
	s_waitcnt vmcnt(16)
	v_subrev_nc_u32_e32 v70, s18, v67
	;; [unrolled: 2-line block ×4, first 2 shown]
	v_lshlrev_b32_e32 v67, 2, v1
	v_lshlrev_b32_e32 v71, 2, v70
	;; [unrolled: 1-line block ×3, first 2 shown]
	s_delay_alu instid0(VALU_DEP_4) | instskip(NEXT) | instid1(VALU_DEP_4)
	v_lshlrev_b32_e32 v79, 2, v69
	v_ashrrev_i32_e32 v68, 31, v67
	s_delay_alu instid0(VALU_DEP_4) | instskip(NEXT) | instid1(VALU_DEP_2)
	v_ashrrev_i32_e32 v72, 31, v71
	v_lshlrev_b64 v[67:68], 2, v[67:68]
	s_delay_alu instid0(VALU_DEP_2) | instskip(SKIP_1) | instid1(VALU_DEP_2)
	v_lshlrev_b64 v[71:72], 2, v[71:72]
	s_waitcnt lgkmcnt(0)
	v_add_co_u32 v67, vcc_lo, s4, v67
	s_delay_alu instid0(VALU_DEP_3) | instskip(NEXT) | instid1(VALU_DEP_3)
	v_add_co_ci_u32_e32 v68, vcc_lo, s5, v68, vcc_lo
	v_add_co_u32 v71, vcc_lo, s4, v71
	s_delay_alu instid0(VALU_DEP_4)
	v_add_co_ci_u32_e32 v72, vcc_lo, s5, v72, vcc_lo
	s_clause 0x1
	global_load_b128 v[67:70], v[67:68], off
	global_load_b128 v[71:74], v[71:72], off
	s_waitcnt vmcnt(1)
	v_fmac_f32_e32 v10, v26, v67
	v_ashrrev_i32_e32 v76, 31, v75
	v_fmac_f32_e32 v12, v25, v67
	s_delay_alu instid0(VALU_DEP_3) | instskip(NEXT) | instid1(VALU_DEP_3)
	v_fmac_f32_e32 v10, v22, v68
	v_lshlrev_b64 v[75:76], 2, v[75:76]
	v_ashrrev_i32_e32 v80, 31, v79
	s_delay_alu instid0(VALU_DEP_4) | instskip(NEXT) | instid1(VALU_DEP_4)
	v_dual_fmac_f32 v13, v24, v67 :: v_dual_fmac_f32 v12, v21, v68
	v_dual_fmac_f32 v10, v18, v69 :: v_dual_fmac_f32 v11, v23, v67
	s_delay_alu instid0(VALU_DEP_4) | instskip(NEXT) | instid1(VALU_DEP_3)
	v_add_co_u32 v75, vcc_lo, s4, v75
	v_fmac_f32_e32 v12, v17, v69
	v_add_co_ci_u32_e32 v76, vcc_lo, s5, v76, vcc_lo
	v_lshlrev_b64 v[79:80], 2, v[79:80]
	v_dual_fmac_f32 v11, v19, v68 :: v_dual_fmac_f32 v10, v8, v70
	global_load_b128 v[75:78], v[75:76], off
	v_dual_fmac_f32 v13, v20, v68 :: v_dual_fmac_f32 v12, v7, v70
	v_add_co_u32 v79, vcc_lo, s4, v79
	v_add_co_ci_u32_e32 v80, vcc_lo, s5, v80, vcc_lo
	global_load_b128 v[79:82], v[79:80], off
	s_clause 0x1
	global_load_b128 v[83:86], v[87:88], off offset:2080
	global_load_b128 v[87:90], v[87:88], off offset:2096
	s_waitcnt vmcnt(4)
	v_dual_fmac_f32 v11, v15, v69 :: v_dual_fmac_f32 v12, v41, v71
	v_dual_fmac_f32 v13, v16, v69 :: v_dual_fmac_f32 v10, v42, v71
	v_add_co_u32 v2, vcc_lo, 0x2000, v2
	s_delay_alu instid0(VALU_DEP_3) | instskip(NEXT) | instid1(VALU_DEP_3)
	v_fmac_f32_e32 v11, v5, v70
	v_dual_fmac_f32 v13, v6, v70 :: v_dual_fmac_f32 v12, v37, v72
	s_delay_alu instid0(VALU_DEP_4) | instskip(SKIP_1) | instid1(VALU_DEP_3)
	v_fmac_f32_e32 v10, v38, v72
	v_add_co_ci_u32_e32 v3, vcc_lo, 0, v3, vcc_lo
	v_dual_fmac_f32 v11, v39, v71 :: v_dual_fmac_f32 v12, v33, v73
	s_delay_alu instid0(VALU_DEP_3) | instskip(SKIP_1) | instid1(VALU_DEP_3)
	v_dual_fmac_f32 v13, v40, v71 :: v_dual_fmac_f32 v10, v34, v73
	v_cmp_ge_i32_e32 vcc_lo, v0, v14
	v_dual_fmac_f32 v11, v35, v72 :: v_dual_fmac_f32 v12, v29, v74
	s_delay_alu instid0(VALU_DEP_3) | instskip(SKIP_1) | instid1(VALU_DEP_2)
	v_dual_fmac_f32 v13, v36, v72 :: v_dual_fmac_f32 v10, v30, v74
	s_or_b32 s6, vcc_lo, s6
	v_fmac_f32_e32 v11, v31, v73
	s_waitcnt vmcnt(3)
	s_delay_alu instid0(VALU_DEP_2) | instskip(NEXT) | instid1(VALU_DEP_1)
	v_dual_fmac_f32 v13, v32, v73 :: v_dual_fmac_f32 v10, v54, v75
	v_dual_fmac_f32 v13, v28, v74 :: v_dual_fmac_f32 v12, v53, v75
	s_delay_alu instid0(VALU_DEP_2) | instskip(NEXT) | instid1(VALU_DEP_2)
	v_dual_fmac_f32 v11, v27, v74 :: v_dual_fmac_f32 v10, v58, v76
	v_dual_fmac_f32 v13, v52, v75 :: v_dual_fmac_f32 v12, v57, v76
	s_delay_alu instid0(VALU_DEP_2) | instskip(NEXT) | instid1(VALU_DEP_2)
	;; [unrolled: 3-line block ×3, first 2 shown]
	v_dual_fmac_f32 v11, v55, v76 :: v_dual_fmac_f32 v10, v46, v78
	v_dual_fmac_f32 v13, v48, v77 :: v_dual_fmac_f32 v12, v45, v78
	s_waitcnt vmcnt(2)
	s_delay_alu instid0(VALU_DEP_2) | instskip(NEXT) | instid1(VALU_DEP_2)
	v_dual_fmac_f32 v11, v47, v77 :: v_dual_fmac_f32 v10, v66, v79
	v_dual_fmac_f32 v13, v44, v78 :: v_dual_fmac_f32 v12, v65, v79
	s_delay_alu instid0(VALU_DEP_2) | instskip(NEXT) | instid1(VALU_DEP_1)
	v_dual_fmac_f32 v11, v43, v78 :: v_dual_fmac_f32 v10, v62, v80
	v_dual_fmac_f32 v12, v61, v80 :: v_dual_fmac_f32 v11, v63, v79
	s_waitcnt vmcnt(1)
	s_delay_alu instid0(VALU_DEP_2) | instskip(NEXT) | instid1(VALU_DEP_2)
	v_dual_fmac_f32 v13, v64, v79 :: v_dual_fmac_f32 v10, v86, v81
	v_dual_fmac_f32 v12, v85, v81 :: v_dual_fmac_f32 v11, v59, v80
	s_waitcnt vmcnt(0)
	s_delay_alu instid0(VALU_DEP_2) | instskip(NEXT) | instid1(VALU_DEP_2)
	v_dual_fmac_f32 v13, v60, v80 :: v_dual_fmac_f32 v10, v90, v82
	v_dual_fmac_f32 v12, v89, v82 :: v_dual_fmac_f32 v11, v83, v81
	s_delay_alu instid0(VALU_DEP_2) | instskip(NEXT) | instid1(VALU_DEP_2)
	v_fmac_f32_e32 v13, v84, v81
	v_fmac_f32_e32 v11, v87, v82
	s_delay_alu instid0(VALU_DEP_2)
	v_fmac_f32_e32 v13, v88, v82
	s_and_not1_b32 exec_lo, exec_lo, s6
	s_cbranch_execnz .LBB3_33
; %bb.34:
	s_or_b32 exec_lo, exec_lo, s6
.LBB3_35:
	s_delay_alu instid0(SALU_CYCLE_1)
	s_or_b32 exec_lo, exec_lo, s2
.LBB3_36:
	s_delay_alu instid0(SALU_CYCLE_1)
	s_or_b32 exec_lo, exec_lo, s3
.LBB3_37:
	v_mbcnt_lo_u32_b32 v0, -1, 0
	s_mov_b32 s2, -1
	s_delay_alu instid0(VALU_DEP_1) | instskip(SKIP_1) | instid1(VALU_DEP_2)
	v_xor_b32_e32 v1, 16, v0
	v_xor_b32_e32 v6, 8, v0
	v_cmp_gt_i32_e32 vcc_lo, 32, v1
	v_cndmask_b32_e32 v1, v0, v1, vcc_lo
	s_delay_alu instid0(VALU_DEP_3) | instskip(SKIP_1) | instid1(VALU_DEP_1)
	v_cmp_gt_i32_e32 vcc_lo, 32, v6
	v_cndmask_b32_e32 v6, v0, v6, vcc_lo
	v_lshlrev_b32_e32 v6, 2, v6
	s_delay_alu instid0(VALU_DEP_4)
	v_lshlrev_b32_e32 v1, 2, v1
	ds_bpermute_b32 v2, v1, v11
	s_waitcnt lgkmcnt(0)
	v_add_f32_e32 v2, v11, v2
	ds_bpermute_b32 v3, v1, v13
	ds_bpermute_b32 v5, v1, v12
	ds_bpermute_b32 v1, v1, v10
	v_xor_b32_e32 v11, 4, v0
	ds_bpermute_b32 v7, v6, v2
	v_cmp_gt_i32_e32 vcc_lo, 32, v11
	s_waitcnt lgkmcnt(3)
	v_add_f32_e32 v3, v13, v3
	s_waitcnt lgkmcnt(2)
	v_add_f32_e32 v5, v12, v5
	;; [unrolled: 2-line block ×4, first 2 shown]
	ds_bpermute_b32 v8, v6, v3
	ds_bpermute_b32 v10, v6, v5
	ds_bpermute_b32 v6, v6, v1
	v_cndmask_b32_e32 v11, v0, v11, vcc_lo
	s_waitcnt lgkmcnt(1)
	v_add_f32_e32 v5, v5, v10
	s_waitcnt lgkmcnt(0)
	v_add_f32_e32 v1, v1, v6
	v_lshlrev_b32_e32 v11, 2, v11
	ds_bpermute_b32 v6, v11, v2
	ds_bpermute_b32 v10, v11, v1
	s_waitcnt lgkmcnt(1)
	v_add_f32_e32 v2, v2, v6
	s_waitcnt lgkmcnt(0)
	v_dual_add_f32 v6, v1, v10 :: v_dual_add_f32 v3, v3, v8
	ds_bpermute_b32 v8, v11, v5
	ds_bpermute_b32 v7, v11, v3
	v_xor_b32_e32 v11, 2, v0
	s_delay_alu instid0(VALU_DEP_1)
	v_cmp_gt_i32_e32 vcc_lo, 32, v11
	s_waitcnt lgkmcnt(1)
	v_add_f32_e32 v5, v5, v8
	v_cndmask_b32_e32 v11, v0, v11, vcc_lo
	s_waitcnt lgkmcnt(0)
	v_add_f32_e32 v3, v3, v7
	s_delay_alu instid0(VALU_DEP_2)
	v_lshlrev_b32_e32 v11, 2, v11
	ds_bpermute_b32 v1, v11, v2
	ds_bpermute_b32 v7, v11, v3
	;; [unrolled: 1-line block ×4, first 2 shown]
	v_xor_b32_e32 v11, 1, v0
	s_delay_alu instid0(VALU_DEP_1) | instskip(SKIP_3) | instid1(VALU_DEP_2)
	v_cmp_gt_i32_e32 vcc_lo, 32, v11
	v_cndmask_b32_e32 v0, v0, v11, vcc_lo
	v_cmp_eq_u32_e32 vcc_lo, 31, v9
	s_waitcnt lgkmcnt(3)
	v_dual_add_f32 v0, v2, v1 :: v_dual_lshlrev_b32 v11, 2, v0
	s_waitcnt lgkmcnt(1)
	v_dual_add_f32 v1, v3, v7 :: v_dual_add_f32 v2, v5, v8
	s_waitcnt lgkmcnt(0)
	v_add_f32_e32 v3, v6, v10
	ds_bpermute_b32 v5, v11, v0
	ds_bpermute_b32 v6, v11, v1
	;; [unrolled: 1-line block ×4, first 2 shown]
	s_and_b32 exec_lo, exec_lo, vcc_lo
	s_cbranch_execz .LBB3_10
; %bb.38:
	s_load_b64 s[0:1], s[0:1], 0x50
	s_waitcnt lgkmcnt(0)
	v_dual_add_f32 v0, v0, v5 :: v_dual_add_f32 v1, v1, v6
	v_dual_add_f32 v2, v2, v7 :: v_dual_add_f32 v3, v3, v8
	v_cmp_eq_f32_e64 s3, s12, 0
	s_delay_alu instid0(VALU_DEP_3) | instskip(NEXT) | instid1(VALU_DEP_3)
	v_dual_mul_f32 v0, s16, v0 :: v_dual_mul_f32 v1, s16, v1
	v_dual_mul_f32 v2, s16, v2 :: v_dual_mul_f32 v3, s16, v3
	v_lshlrev_b32_e32 v4, 2, v4
	s_delay_alu instid0(VALU_DEP_4)
	s_and_b32 vcc_lo, exec_lo, s3
	s_cbranch_vccz .LBB3_40
; %bb.39:
	s_delay_alu instid0(VALU_DEP_1) | instskip(SKIP_1) | instid1(VALU_DEP_1)
	v_ashrrev_i32_e32 v5, 31, v4
	s_mov_b32 s2, 0
	v_lshlrev_b64 v[5:6], 2, v[4:5]
	s_delay_alu instid0(VALU_DEP_1) | instskip(NEXT) | instid1(VALU_DEP_2)
	v_add_co_u32 v5, vcc_lo, s0, v5
	v_add_co_ci_u32_e32 v6, vcc_lo, s1, v6, vcc_lo
	global_store_b128 v[5:6], v[0:3], off
.LBB3_40:
	s_and_not1_b32 vcc_lo, exec_lo, s2
	s_cbranch_vccnz .LBB3_10
; %bb.41:
	v_ashrrev_i32_e32 v5, 31, v4
	s_delay_alu instid0(VALU_DEP_1) | instskip(NEXT) | instid1(VALU_DEP_1)
	v_lshlrev_b64 v[4:5], 2, v[4:5]
	v_add_co_u32 v8, vcc_lo, s0, v4
	s_delay_alu instid0(VALU_DEP_2)
	v_add_co_ci_u32_e32 v9, vcc_lo, s1, v5, vcc_lo
	global_load_b128 v[4:7], v[8:9], off
	s_waitcnt vmcnt(0)
	v_dual_fmac_f32 v0, s12, v4 :: v_dual_fmac_f32 v1, s12, v5
	v_dual_fmac_f32 v2, s12, v6 :: v_dual_fmac_f32 v3, s12, v7
	global_store_b128 v[8:9], v[0:3], off
	s_nop 0
	s_sendmsg sendmsg(MSG_DEALLOC_VGPRS)
	s_endpgm
	.section	.rodata,"a",@progbits
	.p2align	6, 0x0
	.amdhsa_kernel _ZN9rocsparseL18bsrxmvn_4x4_kernelILj128ELj32EfiifffEEvT3_20rocsparse_direction_NS_24const_host_device_scalarIT1_EES1_PKS1_PKT2_SA_S7_PKT4_PKT5_S5_PT6_21rocsparse_index_base_b
		.amdhsa_group_segment_fixed_size 0
		.amdhsa_private_segment_fixed_size 0
		.amdhsa_kernarg_size 96
		.amdhsa_user_sgpr_count 15
		.amdhsa_user_sgpr_dispatch_ptr 0
		.amdhsa_user_sgpr_queue_ptr 0
		.amdhsa_user_sgpr_kernarg_segment_ptr 1
		.amdhsa_user_sgpr_dispatch_id 0
		.amdhsa_user_sgpr_private_segment_size 0
		.amdhsa_wavefront_size32 1
		.amdhsa_uses_dynamic_stack 0
		.amdhsa_enable_private_segment 0
		.amdhsa_system_sgpr_workgroup_id_x 1
		.amdhsa_system_sgpr_workgroup_id_y 0
		.amdhsa_system_sgpr_workgroup_id_z 0
		.amdhsa_system_sgpr_workgroup_info 0
		.amdhsa_system_vgpr_workitem_id 0
		.amdhsa_next_free_vgpr 96
		.amdhsa_next_free_sgpr 20
		.amdhsa_reserve_vcc 1
		.amdhsa_float_round_mode_32 0
		.amdhsa_float_round_mode_16_64 0
		.amdhsa_float_denorm_mode_32 3
		.amdhsa_float_denorm_mode_16_64 3
		.amdhsa_dx10_clamp 1
		.amdhsa_ieee_mode 1
		.amdhsa_fp16_overflow 0
		.amdhsa_workgroup_processor_mode 1
		.amdhsa_memory_ordered 1
		.amdhsa_forward_progress 0
		.amdhsa_shared_vgpr_count 0
		.amdhsa_exception_fp_ieee_invalid_op 0
		.amdhsa_exception_fp_denorm_src 0
		.amdhsa_exception_fp_ieee_div_zero 0
		.amdhsa_exception_fp_ieee_overflow 0
		.amdhsa_exception_fp_ieee_underflow 0
		.amdhsa_exception_fp_ieee_inexact 0
		.amdhsa_exception_int_div_zero 0
	.end_amdhsa_kernel
	.section	.text._ZN9rocsparseL18bsrxmvn_4x4_kernelILj128ELj32EfiifffEEvT3_20rocsparse_direction_NS_24const_host_device_scalarIT1_EES1_PKS1_PKT2_SA_S7_PKT4_PKT5_S5_PT6_21rocsparse_index_base_b,"axG",@progbits,_ZN9rocsparseL18bsrxmvn_4x4_kernelILj128ELj32EfiifffEEvT3_20rocsparse_direction_NS_24const_host_device_scalarIT1_EES1_PKS1_PKT2_SA_S7_PKT4_PKT5_S5_PT6_21rocsparse_index_base_b,comdat
.Lfunc_end3:
	.size	_ZN9rocsparseL18bsrxmvn_4x4_kernelILj128ELj32EfiifffEEvT3_20rocsparse_direction_NS_24const_host_device_scalarIT1_EES1_PKS1_PKT2_SA_S7_PKT4_PKT5_S5_PT6_21rocsparse_index_base_b, .Lfunc_end3-_ZN9rocsparseL18bsrxmvn_4x4_kernelILj128ELj32EfiifffEEvT3_20rocsparse_direction_NS_24const_host_device_scalarIT1_EES1_PKS1_PKT2_SA_S7_PKT4_PKT5_S5_PT6_21rocsparse_index_base_b
                                        ; -- End function
	.section	.AMDGPU.csdata,"",@progbits
; Kernel info:
; codeLenInByte = 3708
; NumSgprs: 22
; NumVgprs: 96
; ScratchSize: 0
; MemoryBound: 0
; FloatMode: 240
; IeeeMode: 1
; LDSByteSize: 0 bytes/workgroup (compile time only)
; SGPRBlocks: 2
; VGPRBlocks: 11
; NumSGPRsForWavesPerEU: 22
; NumVGPRsForWavesPerEU: 96
; Occupancy: 16
; WaveLimiterHint : 1
; COMPUTE_PGM_RSRC2:SCRATCH_EN: 0
; COMPUTE_PGM_RSRC2:USER_SGPR: 15
; COMPUTE_PGM_RSRC2:TRAP_HANDLER: 0
; COMPUTE_PGM_RSRC2:TGID_X_EN: 1
; COMPUTE_PGM_RSRC2:TGID_Y_EN: 0
; COMPUTE_PGM_RSRC2:TGID_Z_EN: 0
; COMPUTE_PGM_RSRC2:TIDIG_COMP_CNT: 0
	.section	.text._ZN9rocsparseL18bsrxmvn_4x4_kernelILj128ELj64EfiifffEEvT3_20rocsparse_direction_NS_24const_host_device_scalarIT1_EES1_PKS1_PKT2_SA_S7_PKT4_PKT5_S5_PT6_21rocsparse_index_base_b,"axG",@progbits,_ZN9rocsparseL18bsrxmvn_4x4_kernelILj128ELj64EfiifffEEvT3_20rocsparse_direction_NS_24const_host_device_scalarIT1_EES1_PKS1_PKT2_SA_S7_PKT4_PKT5_S5_PT6_21rocsparse_index_base_b,comdat
	.globl	_ZN9rocsparseL18bsrxmvn_4x4_kernelILj128ELj64EfiifffEEvT3_20rocsparse_direction_NS_24const_host_device_scalarIT1_EES1_PKS1_PKT2_SA_S7_PKT4_PKT5_S5_PT6_21rocsparse_index_base_b ; -- Begin function _ZN9rocsparseL18bsrxmvn_4x4_kernelILj128ELj64EfiifffEEvT3_20rocsparse_direction_NS_24const_host_device_scalarIT1_EES1_PKS1_PKT2_SA_S7_PKT4_PKT5_S5_PT6_21rocsparse_index_base_b
	.p2align	8
	.type	_ZN9rocsparseL18bsrxmvn_4x4_kernelILj128ELj64EfiifffEEvT3_20rocsparse_direction_NS_24const_host_device_scalarIT1_EES1_PKS1_PKT2_SA_S7_PKT4_PKT5_S5_PT6_21rocsparse_index_base_b,@function
_ZN9rocsparseL18bsrxmvn_4x4_kernelILj128ELj64EfiifffEEvT3_20rocsparse_direction_NS_24const_host_device_scalarIT1_EES1_PKS1_PKT2_SA_S7_PKT4_PKT5_S5_PT6_21rocsparse_index_base_b: ; @_ZN9rocsparseL18bsrxmvn_4x4_kernelILj128ELj64EfiifffEEvT3_20rocsparse_direction_NS_24const_host_device_scalarIT1_EES1_PKS1_PKT2_SA_S7_PKT4_PKT5_S5_PT6_21rocsparse_index_base_b
; %bb.0:
	s_clause 0x2
	s_load_b64 s[18:19], s[0:1], 0x58
	s_load_b64 s[16:17], s[0:1], 0x8
	;; [unrolled: 1-line block ×3, first 2 shown]
	s_waitcnt lgkmcnt(0)
	s_bitcmp1_b32 s19, 0
	s_cselect_b32 s2, -1, 0
	s_delay_alu instid0(SALU_CYCLE_1)
	s_and_b32 vcc_lo, exec_lo, s2
	s_xor_b32 s2, s2, -1
	s_cbranch_vccnz .LBB4_2
; %bb.1:
	s_load_b32 s16, s[16:17], 0x0
.LBB4_2:
	s_and_not1_b32 vcc_lo, exec_lo, s2
	s_cbranch_vccnz .LBB4_4
; %bb.3:
	s_load_b32 s12, s[12:13], 0x0
.LBB4_4:
	s_waitcnt lgkmcnt(0)
	v_cmp_neq_f32_e64 s2, s16, 0
	v_cmp_neq_f32_e64 s3, s12, 1.0
	s_mov_b32 s6, 0
	s_delay_alu instid0(VALU_DEP_1) | instskip(NEXT) | instid1(SALU_CYCLE_1)
	s_or_b32 s2, s2, s3
	s_and_not1_b32 vcc_lo, exec_lo, s2
	s_cbranch_vccnz .LBB4_10
; %bb.5:
	s_clause 0x1
	s_load_b64 s[4:5], s[0:1], 0x18
	s_load_b64 s[2:3], s[0:1], 0x0
	v_lshrrev_b32_e32 v1, 6, v0
	s_delay_alu instid0(VALU_DEP_1)
	v_lshl_or_b32 v4, s15, 1, v1
	s_waitcnt lgkmcnt(0)
	s_cmp_lg_u64 s[4:5], 0
	s_cbranch_scc0 .LBB4_11
; %bb.6:
	s_load_b32 s6, s[0:1], 0x10
	s_mov_b32 s7, 0
                                        ; implicit-def: $vgpr1
	s_waitcnt lgkmcnt(0)
	v_cmp_gt_i32_e32 vcc_lo, s6, v4
	s_mov_b32 s6, 0
	s_and_saveexec_b32 s8, vcc_lo
	s_delay_alu instid0(SALU_CYCLE_1)
	s_xor_b32 s8, exec_lo, s8
	s_cbranch_execz .LBB4_8
; %bb.7:
	v_ashrrev_i32_e32 v5, 31, v4
	s_mov_b32 s6, exec_lo
	s_delay_alu instid0(VALU_DEP_1) | instskip(NEXT) | instid1(VALU_DEP_1)
	v_lshlrev_b64 v[1:2], 2, v[4:5]
	v_add_co_u32 v1, vcc_lo, s4, v1
	s_delay_alu instid0(VALU_DEP_2)
	v_add_co_ci_u32_e32 v2, vcc_lo, s5, v2, vcc_lo
	global_load_b32 v1, v[1:2], off
	s_waitcnt vmcnt(0)
	v_subrev_nc_u32_e32 v1, s18, v1
.LBB4_8:
	s_or_b32 exec_lo, exec_lo, s8
	s_delay_alu instid0(SALU_CYCLE_1)
	s_and_b32 vcc_lo, exec_lo, s7
	s_cbranch_vccz .LBB4_12
.LBB4_9:
	v_cmp_gt_i32_e32 vcc_lo, s2, v4
	s_and_not1_b32 s2, s6, exec_lo
	s_and_b32 s4, vcc_lo, exec_lo
	s_delay_alu instid0(SALU_CYCLE_1) | instskip(NEXT) | instid1(SALU_CYCLE_1)
	s_or_b32 s6, s2, s4
	s_and_saveexec_b32 s2, s6
	s_cbranch_execnz .LBB4_13
.LBB4_10:
	s_nop 0
	s_sendmsg sendmsg(MSG_DEALLOC_VGPRS)
	s_endpgm
.LBB4_11:
                                        ; implicit-def: $vgpr1
	s_cbranch_execnz .LBB4_9
.LBB4_12:
	s_delay_alu instid0(VALU_DEP_1)
	v_mov_b32_e32 v4, v1
	s_and_saveexec_b32 s2, s6
	s_cbranch_execz .LBB4_10
.LBB4_13:
	s_load_b256 s[4:11], s[0:1], 0x20
	s_delay_alu instid0(VALU_DEP_1) | instskip(SKIP_1) | instid1(VALU_DEP_2)
	v_ashrrev_i32_e32 v5, 31, v4
	v_and_b32_e32 v9, 63, v0
	v_lshlrev_b64 v[1:2], 2, v[4:5]
	s_waitcnt lgkmcnt(0)
	s_delay_alu instid0(VALU_DEP_1) | instskip(NEXT) | instid1(VALU_DEP_2)
	v_add_co_u32 v5, vcc_lo, s4, v1
	v_add_co_ci_u32_e32 v6, vcc_lo, s5, v2, vcc_lo
	v_add_co_u32 v1, vcc_lo, s6, v1
	v_add_co_ci_u32_e32 v2, vcc_lo, s7, v2, vcc_lo
	global_load_b32 v15, v[5:6], off
	v_add_co_u32 v3, vcc_lo, v5, 4
	v_add_co_ci_u32_e32 v5, vcc_lo, 0, v6, vcc_lo
	s_cmp_eq_u64 s[6:7], 0
	s_load_b64 s[4:5], s[0:1], 0x40
	s_cselect_b32 vcc_lo, -1, 0
	s_cmp_eq_u32 s3, 1
	v_dual_cndmask_b32 v2, v2, v5 :: v_dual_cndmask_b32 v1, v1, v3
	global_load_b32 v5, v[1:2], off
	s_waitcnt vmcnt(1)
	v_subrev_nc_u32_e32 v0, s18, v15
	s_delay_alu instid0(VALU_DEP_1) | instskip(NEXT) | instid1(VALU_DEP_1)
	v_add_nc_u32_e32 v0, v0, v9
	v_ashrrev_i32_e32 v1, 31, v0
	s_waitcnt vmcnt(0)
	v_subrev_nc_u32_e32 v14, s18, v5
	s_delay_alu instid0(VALU_DEP_2) | instskip(NEXT) | instid1(VALU_DEP_2)
	v_lshlrev_b64 v[2:3], 6, v[0:1]
	v_cmp_lt_i32_e64 s2, v0, v14
	s_delay_alu instid0(VALU_DEP_2) | instskip(NEXT) | instid1(VALU_DEP_3)
	v_add_co_u32 v2, vcc_lo, s10, v2
	v_add_co_ci_u32_e32 v3, vcc_lo, s11, v3, vcc_lo
	s_cbranch_scc1 .LBB4_25
; %bb.14:
	v_dual_mov_b32 v10, 0 :: v_dual_mov_b32 v13, 0
	v_dual_mov_b32 v12, 0 :: v_dual_mov_b32 v11, 0
	s_mov_b32 s3, 0
	s_and_saveexec_b32 s6, s2
	s_cbranch_execz .LBB4_24
; %bb.15:
	v_dual_mov_b32 v12, 0 :: v_dual_add_nc_u32 v1, v15, v9
	v_not_b32_e32 v5, v15
	v_mov_b32_e32 v13, 0
	s_mov_b32 s10, 0
	s_delay_alu instid0(VALU_DEP_3) | instskip(SKIP_3) | instid1(VALU_DEP_3)
	v_subrev_nc_u32_e32 v1, s18, v1
	s_mov_b32 s7, exec_lo
	v_mov_b32_e32 v10, 0
	v_dual_mov_b32 v8, v3 :: v_dual_mov_b32 v7, v2
	v_add_nc_u32_e32 v1, 64, v1
	s_delay_alu instid0(VALU_DEP_1) | instskip(NEXT) | instid1(VALU_DEP_1)
	v_max_i32_e32 v1, v1, v14
	v_add3_u32 v1, v1, s18, v5
	s_delay_alu instid0(VALU_DEP_1) | instskip(NEXT) | instid1(VALU_DEP_1)
	v_sub_nc_u32_e32 v1, v1, v9
	v_lshrrev_b32_e32 v5, 6, v1
	s_delay_alu instid0(VALU_DEP_1) | instskip(NEXT) | instid1(VALU_DEP_1)
	v_add_nc_u32_e32 v5, 1, v5
	v_dual_mov_b32 v11, 0 :: v_dual_and_b32 v6, 3, v5
	v_mov_b32_e32 v5, v0
	s_delay_alu instid0(VALU_DEP_2)
	v_cmpx_ne_u32_e32 0, v6
	s_cbranch_execz .LBB4_19
; %bb.16:
	v_dual_mov_b32 v8, v3 :: v_dual_mov_b32 v13, 0
	v_dual_mov_b32 v7, v2 :: v_dual_lshlrev_b32 v16, 6, v6
	v_dual_mov_b32 v10, 0 :: v_dual_mov_b32 v5, v0
	v_dual_mov_b32 v12, 0 :: v_dual_mov_b32 v11, 0
.LBB4_17:                               ; =>This Inner Loop Header: Depth=1
	s_delay_alu instid0(VALU_DEP_2) | instskip(NEXT) | instid1(VALU_DEP_4)
	v_ashrrev_i32_e32 v6, 31, v5
	v_subrev_nc_u32_e32 v16, 64, v16
	s_delay_alu instid0(VALU_DEP_2) | instskip(NEXT) | instid1(VALU_DEP_1)
	v_lshlrev_b64 v[17:18], 2, v[5:6]
	v_add_co_u32 v17, vcc_lo, s8, v17
	s_delay_alu instid0(VALU_DEP_2)
	v_add_co_ci_u32_e32 v18, vcc_lo, s9, v18, vcc_lo
	global_load_b32 v6, v[17:18], off
	s_clause 0x2
	global_load_b128 v[17:20], v[7:8], off offset:48
	global_load_b128 v[21:24], v[7:8], off offset:32
	;; [unrolled: 1-line block ×3, first 2 shown]
	s_waitcnt vmcnt(3)
	v_subrev_nc_u32_e32 v6, s18, v6
	s_delay_alu instid0(VALU_DEP_1) | instskip(NEXT) | instid1(VALU_DEP_1)
	v_lshlrev_b32_e32 v29, 2, v6
	v_ashrrev_i32_e32 v30, 31, v29
	s_delay_alu instid0(VALU_DEP_1) | instskip(SKIP_1) | instid1(VALU_DEP_1)
	v_lshlrev_b64 v[29:30], 2, v[29:30]
	s_waitcnt lgkmcnt(0)
	v_add_co_u32 v33, vcc_lo, s4, v29
	s_delay_alu instid0(VALU_DEP_2)
	v_add_co_ci_u32_e32 v34, vcc_lo, s5, v30, vcc_lo
	global_load_b128 v[29:32], v[7:8], off
	global_load_b128 v[33:36], v[33:34], off
	v_add_co_u32 v7, vcc_lo, 0x1000, v7
	v_add_co_ci_u32_e32 v8, vcc_lo, 0, v8, vcc_lo
	v_cmp_eq_u32_e32 vcc_lo, 0, v16
	s_or_b32 s10, vcc_lo, s10
	s_waitcnt vmcnt(0)
	v_fmac_f32_e32 v12, v21, v33
	s_delay_alu instid0(VALU_DEP_1) | instskip(NEXT) | instid1(VALU_DEP_1)
	v_dual_fmac_f32 v11, v29, v33 :: v_dual_fmac_f32 v12, v22, v34
	v_dual_fmac_f32 v10, v17, v33 :: v_dual_fmac_f32 v11, v30, v34
	s_delay_alu instid0(VALU_DEP_2) | instskip(NEXT) | instid1(VALU_DEP_2)
	v_dual_fmac_f32 v13, v25, v33 :: v_dual_fmac_f32 v12, v23, v35
	v_dual_fmac_f32 v10, v18, v34 :: v_dual_add_nc_u32 v5, 64, v5
	s_delay_alu instid0(VALU_DEP_2) | instskip(NEXT) | instid1(VALU_DEP_3)
	v_fmac_f32_e32 v13, v26, v34
	v_dual_fmac_f32 v11, v31, v35 :: v_dual_fmac_f32 v12, v24, v36
	s_delay_alu instid0(VALU_DEP_3) | instskip(NEXT) | instid1(VALU_DEP_3)
	v_fmac_f32_e32 v10, v19, v35
	v_fmac_f32_e32 v13, v27, v35
	s_delay_alu instid0(VALU_DEP_3) | instskip(NEXT) | instid1(VALU_DEP_3)
	v_fmac_f32_e32 v11, v32, v36
	v_fmac_f32_e32 v10, v20, v36
	s_delay_alu instid0(VALU_DEP_3)
	v_fmac_f32_e32 v13, v28, v36
	s_and_not1_b32 exec_lo, exec_lo, s10
	s_cbranch_execnz .LBB4_17
; %bb.18:
	s_or_b32 exec_lo, exec_lo, s10
.LBB4_19:
	s_delay_alu instid0(SALU_CYCLE_1) | instskip(NEXT) | instid1(SALU_CYCLE_1)
	s_or_b32 exec_lo, exec_lo, s7
	s_mov_b32 s7, exec_lo
	v_cmpx_lt_u32_e32 0xbf, v1
	s_cbranch_execz .LBB4_23
; %bb.20:
	s_mov_b32 s10, 0
.LBB4_21:                               ; =>This Inner Loop Header: Depth=1
	v_ashrrev_i32_e32 v6, 31, v5
	s_delay_alu instid0(VALU_DEP_1) | instskip(SKIP_1) | instid1(VALU_DEP_2)
	v_lshlrev_b64 v[16:17], 2, v[5:6]
	v_add_nc_u32_e32 v5, 0x100, v5
	v_add_co_u32 v16, vcc_lo, s8, v16
	s_delay_alu instid0(VALU_DEP_3)
	v_add_co_ci_u32_e32 v17, vcc_lo, s9, v17, vcc_lo
	s_clause 0x3
	global_load_b32 v1, v[16:17], off
	global_load_b32 v6, v[16:17], off offset:256
	global_load_b32 v80, v[16:17], off offset:512
	;; [unrolled: 1-line block ×3, first 2 shown]
	s_clause 0x3
	global_load_b128 v[16:19], v[7:8], off offset:48
	global_load_b128 v[20:23], v[7:8], off offset:32
	;; [unrolled: 1-line block ×3, first 2 shown]
	global_load_b128 v[28:31], v[7:8], off
	v_add_co_u32 v40, vcc_lo, 0x1000, v7
	v_add_co_ci_u32_e32 v41, vcc_lo, 0, v8, vcc_lo
	v_add_co_u32 v48, vcc_lo, v7, 0x2000
	v_add_co_ci_u32_e32 v49, vcc_lo, 0, v8, vcc_lo
	;; [unrolled: 2-line block ×4, first 2 shown]
	s_clause 0xb
	global_load_b128 v[32:35], v[40:41], off offset:48
	global_load_b128 v[36:39], v[40:41], off offset:32
	;; [unrolled: 1-line block ×3, first 2 shown]
	global_load_b128 v[44:47], v[48:49], off offset:-4096
	global_load_b128 v[48:51], v[48:49], off
	global_load_b128 v[52:55], v[60:61], off offset:48
	global_load_b128 v[56:59], v[60:61], off offset:32
	;; [unrolled: 1-line block ×5, first 2 shown]
	global_load_b128 v[72:75], v[76:77], off
	global_load_b128 v[76:79], v[76:77], off offset:16
	s_waitcnt vmcnt(19)
	v_subrev_nc_u32_e32 v1, s18, v1
	s_waitcnt vmcnt(18)
	v_subrev_nc_u32_e32 v6, s18, v6
	;; [unrolled: 2-line block ×4, first 2 shown]
	v_lshlrev_b32_e32 v80, 2, v1
	s_delay_alu instid0(VALU_DEP_3) | instskip(NEXT) | instid1(VALU_DEP_3)
	v_lshlrev_b32_e32 v88, 2, v82
	v_lshlrev_b32_e32 v92, 2, v81
	s_delay_alu instid0(VALU_DEP_3) | instskip(NEXT) | instid1(VALU_DEP_1)
	v_ashrrev_i32_e32 v81, 31, v80
	v_lshlrev_b64 v[80:81], 2, v[80:81]
	s_waitcnt lgkmcnt(0)
	s_delay_alu instid0(VALU_DEP_1) | instskip(NEXT) | instid1(VALU_DEP_2)
	v_add_co_u32 v80, vcc_lo, s4, v80
	v_add_co_ci_u32_e32 v81, vcc_lo, s5, v81, vcc_lo
	global_load_b128 v[80:83], v[80:81], off
	v_lshlrev_b32_e32 v84, 2, v6
	s_delay_alu instid0(VALU_DEP_1) | instskip(NEXT) | instid1(VALU_DEP_1)
	v_ashrrev_i32_e32 v85, 31, v84
	v_lshlrev_b64 v[84:85], 2, v[84:85]
	s_delay_alu instid0(VALU_DEP_1) | instskip(NEXT) | instid1(VALU_DEP_2)
	v_add_co_u32 v84, vcc_lo, s4, v84
	v_add_co_ci_u32_e32 v85, vcc_lo, s5, v85, vcc_lo
	global_load_b128 v[84:87], v[84:85], off
	s_waitcnt vmcnt(1)
	v_fmac_f32_e32 v11, v28, v80
	v_fmac_f32_e32 v13, v24, v80
	v_ashrrev_i32_e32 v89, 31, v88
	v_fmac_f32_e32 v10, v16, v80
	s_delay_alu instid0(VALU_DEP_4) | instskip(NEXT) | instid1(VALU_DEP_4)
	v_dual_fmac_f32 v12, v20, v80 :: v_dual_fmac_f32 v11, v29, v81
	v_fmac_f32_e32 v13, v25, v81
	s_delay_alu instid0(VALU_DEP_4) | instskip(NEXT) | instid1(VALU_DEP_3)
	v_lshlrev_b64 v[88:89], 2, v[88:89]
	v_fmac_f32_e32 v11, v30, v82
	s_delay_alu instid0(VALU_DEP_3) | instskip(SKIP_1) | instid1(VALU_DEP_4)
	v_fmac_f32_e32 v13, v26, v82
	v_ashrrev_i32_e32 v93, 31, v92
	v_add_co_u32 v88, vcc_lo, s4, v88
	v_add_co_ci_u32_e32 v89, vcc_lo, s5, v89, vcc_lo
	s_delay_alu instid0(VALU_DEP_3)
	v_lshlrev_b64 v[92:93], 2, v[92:93]
	v_dual_fmac_f32 v12, v21, v81 :: v_dual_fmac_f32 v11, v31, v83
	global_load_b128 v[88:91], v[88:89], off
	v_dual_fmac_f32 v10, v17, v81 :: v_dual_fmac_f32 v13, v27, v83
	v_add_co_u32 v92, vcc_lo, s4, v92
	v_add_co_ci_u32_e32 v93, vcc_lo, s5, v93, vcc_lo
	s_waitcnt vmcnt(1)
	v_dual_fmac_f32 v12, v22, v82 :: v_dual_fmac_f32 v11, v44, v84
	v_dual_fmac_f32 v10, v18, v82 :: v_dual_fmac_f32 v13, v40, v84
	global_load_b128 v[92:95], v[92:93], off
	v_dual_fmac_f32 v12, v23, v83 :: v_dual_fmac_f32 v11, v45, v85
	v_dual_fmac_f32 v10, v19, v83 :: v_dual_fmac_f32 v13, v41, v85
	v_add_co_u32 v7, vcc_lo, 0x4000, v7
	s_delay_alu instid0(VALU_DEP_3) | instskip(NEXT) | instid1(VALU_DEP_3)
	v_dual_fmac_f32 v12, v36, v84 :: v_dual_fmac_f32 v11, v46, v86
	v_dual_fmac_f32 v10, v32, v84 :: v_dual_fmac_f32 v13, v42, v86
	v_add_co_ci_u32_e32 v8, vcc_lo, 0, v8, vcc_lo
	s_delay_alu instid0(VALU_DEP_3) | instskip(NEXT) | instid1(VALU_DEP_3)
	v_dual_fmac_f32 v12, v37, v85 :: v_dual_fmac_f32 v11, v47, v87
	v_dual_fmac_f32 v10, v33, v85 :: v_dual_fmac_f32 v13, v43, v87
	v_cmp_ge_i32_e32 vcc_lo, v5, v14
	s_delay_alu instid0(VALU_DEP_3) | instskip(NEXT) | instid1(VALU_DEP_3)
	v_fmac_f32_e32 v12, v38, v86
	v_fmac_f32_e32 v10, v34, v86
	s_or_b32 s10, vcc_lo, s10
	s_waitcnt vmcnt(1)
	s_delay_alu instid0(VALU_DEP_1) | instskip(SKIP_1) | instid1(VALU_DEP_2)
	v_dual_fmac_f32 v13, v60, v88 :: v_dual_fmac_f32 v10, v35, v87
	v_dual_fmac_f32 v11, v48, v88 :: v_dual_fmac_f32 v12, v39, v87
	;; [unrolled: 1-line block ×3, first 2 shown]
	s_delay_alu instid0(VALU_DEP_2) | instskip(NEXT) | instid1(VALU_DEP_2)
	v_dual_fmac_f32 v11, v49, v89 :: v_dual_fmac_f32 v12, v56, v88
	v_dual_fmac_f32 v13, v62, v90 :: v_dual_fmac_f32 v10, v53, v89
	s_delay_alu instid0(VALU_DEP_2) | instskip(NEXT) | instid1(VALU_DEP_2)
	v_dual_fmac_f32 v11, v50, v90 :: v_dual_fmac_f32 v12, v57, v89
	v_dual_fmac_f32 v13, v63, v91 :: v_dual_fmac_f32 v10, v54, v90
	s_delay_alu instid0(VALU_DEP_2) | instskip(SKIP_1) | instid1(VALU_DEP_2)
	v_dual_fmac_f32 v11, v51, v91 :: v_dual_fmac_f32 v12, v58, v90
	s_waitcnt vmcnt(0)
	v_dual_fmac_f32 v13, v76, v92 :: v_dual_fmac_f32 v10, v55, v91
	s_delay_alu instid0(VALU_DEP_2) | instskip(NEXT) | instid1(VALU_DEP_2)
	v_dual_fmac_f32 v11, v72, v92 :: v_dual_fmac_f32 v12, v59, v91
	v_fmac_f32_e32 v13, v77, v93
	s_delay_alu instid0(VALU_DEP_2) | instskip(NEXT) | instid1(VALU_DEP_2)
	v_dual_fmac_f32 v11, v73, v93 :: v_dual_fmac_f32 v12, v68, v92
	v_dual_fmac_f32 v10, v64, v92 :: v_dual_fmac_f32 v13, v78, v94
	s_delay_alu instid0(VALU_DEP_2) | instskip(NEXT) | instid1(VALU_DEP_2)
	v_dual_fmac_f32 v11, v74, v94 :: v_dual_fmac_f32 v12, v69, v93
	v_dual_fmac_f32 v10, v65, v93 :: v_dual_fmac_f32 v13, v79, v95
	s_delay_alu instid0(VALU_DEP_2) | instskip(NEXT) | instid1(VALU_DEP_2)
	v_dual_fmac_f32 v11, v75, v95 :: v_dual_fmac_f32 v12, v70, v94
	v_fmac_f32_e32 v10, v66, v94
	s_delay_alu instid0(VALU_DEP_2) | instskip(NEXT) | instid1(VALU_DEP_2)
	v_fmac_f32_e32 v12, v71, v95
	v_fmac_f32_e32 v10, v67, v95
	s_and_not1_b32 exec_lo, exec_lo, s10
	s_cbranch_execnz .LBB4_21
; %bb.22:
	s_or_b32 exec_lo, exec_lo, s10
.LBB4_23:
	s_delay_alu instid0(SALU_CYCLE_1)
	s_or_b32 exec_lo, exec_lo, s7
.LBB4_24:
	s_delay_alu instid0(SALU_CYCLE_1) | instskip(NEXT) | instid1(SALU_CYCLE_1)
	s_or_b32 exec_lo, exec_lo, s6
	s_and_not1_b32 vcc_lo, exec_lo, s3
	s_cbranch_vccz .LBB4_26
	s_branch .LBB4_37
.LBB4_25:
                                        ; implicit-def: $vgpr10
                                        ; implicit-def: $vgpr12
                                        ; implicit-def: $vgpr13
                                        ; implicit-def: $vgpr11
.LBB4_26:
	v_dual_mov_b32 v10, 0 :: v_dual_mov_b32 v13, 0
	v_dual_mov_b32 v12, 0 :: v_dual_mov_b32 v11, 0
	s_and_saveexec_b32 s3, s2
	s_cbranch_execz .LBB4_36
; %bb.27:
	v_dual_mov_b32 v12, 0 :: v_dual_add_nc_u32 v1, v15, v9
	v_not_b32_e32 v5, v15
	v_mov_b32_e32 v11, 0
	v_mov_b32_e32 v13, 0
	s_delay_alu instid0(VALU_DEP_4) | instskip(SKIP_2) | instid1(VALU_DEP_1)
	v_subrev_nc_u32_e32 v1, s18, v1
	s_mov_b32 s6, 0
	s_mov_b32 s2, exec_lo
	v_dual_mov_b32 v10, 0 :: v_dual_add_nc_u32 v1, 64, v1
	s_delay_alu instid0(VALU_DEP_1) | instskip(NEXT) | instid1(VALU_DEP_1)
	v_max_i32_e32 v1, v1, v14
	v_add3_u32 v1, v1, s18, v5
	s_delay_alu instid0(VALU_DEP_1) | instskip(NEXT) | instid1(VALU_DEP_1)
	v_sub_nc_u32_e32 v5, v1, v9
	v_lshrrev_b32_e32 v1, 6, v5
	s_delay_alu instid0(VALU_DEP_1) | instskip(NEXT) | instid1(VALU_DEP_1)
	v_add_nc_u32_e32 v1, 1, v1
	v_and_b32_e32 v1, 3, v1
	s_delay_alu instid0(VALU_DEP_1)
	v_cmpx_ne_u32_e32 0, v1
	s_cbranch_execz .LBB4_31
; %bb.28:
	v_dual_mov_b32 v13, 0 :: v_dual_lshlrev_b32 v6, 6, v1
	v_dual_mov_b32 v10, 0 :: v_dual_mov_b32 v11, 0
	v_mov_b32_e32 v12, 0
.LBB4_29:                               ; =>This Inner Loop Header: Depth=1
	v_ashrrev_i32_e32 v1, 31, v0
	s_delay_alu instid0(VALU_DEP_4) | instskip(NEXT) | instid1(VALU_DEP_2)
	v_subrev_nc_u32_e32 v6, 64, v6
	v_lshlrev_b64 v[7:8], 2, v[0:1]
	s_delay_alu instid0(VALU_DEP_1) | instskip(NEXT) | instid1(VALU_DEP_2)
	v_add_co_u32 v7, vcc_lo, s8, v7
	v_add_co_ci_u32_e32 v8, vcc_lo, s9, v8, vcc_lo
	global_load_b32 v1, v[7:8], off
	global_load_b128 v[15:18], v[2:3], off offset:16
	s_waitcnt vmcnt(1)
	v_subrev_nc_u32_e32 v1, s18, v1
	s_delay_alu instid0(VALU_DEP_1) | instskip(NEXT) | instid1(VALU_DEP_1)
	v_lshlrev_b32_e32 v7, 2, v1
	v_ashrrev_i32_e32 v8, 31, v7
	s_delay_alu instid0(VALU_DEP_1) | instskip(SKIP_1) | instid1(VALU_DEP_1)
	v_lshlrev_b64 v[7:8], 2, v[7:8]
	s_waitcnt lgkmcnt(0)
	v_add_co_u32 v7, vcc_lo, s4, v7
	s_delay_alu instid0(VALU_DEP_2)
	v_add_co_ci_u32_e32 v8, vcc_lo, s5, v8, vcc_lo
	global_load_b128 v[19:22], v[2:3], off
	global_load_b128 v[23:26], v[7:8], off
	s_clause 0x1
	global_load_b128 v[27:30], v[2:3], off offset:32
	global_load_b128 v[31:34], v[2:3], off offset:48
	v_add_co_u32 v2, vcc_lo, 0x1000, v2
	v_add_co_ci_u32_e32 v3, vcc_lo, 0, v3, vcc_lo
	v_cmp_eq_u32_e32 vcc_lo, 0, v6
	s_or_b32 s6, vcc_lo, s6
	s_waitcnt vmcnt(2)
	v_fmac_f32_e32 v12, v21, v23
	s_delay_alu instid0(VALU_DEP_1) | instskip(NEXT) | instid1(VALU_DEP_1)
	v_dual_fmac_f32 v11, v19, v23 :: v_dual_fmac_f32 v12, v17, v24
	v_dual_fmac_f32 v10, v22, v23 :: v_dual_fmac_f32 v11, v15, v24
	v_dual_fmac_f32 v13, v20, v23 :: v_dual_add_nc_u32 v0, 64, v0
	s_waitcnt vmcnt(1)
	s_delay_alu instid0(VALU_DEP_3) | instskip(NEXT) | instid1(VALU_DEP_3)
	v_fmac_f32_e32 v12, v29, v25
	v_dual_fmac_f32 v10, v18, v24 :: v_dual_fmac_f32 v11, v27, v25
	s_waitcnt vmcnt(0)
	s_delay_alu instid0(VALU_DEP_2) | instskip(NEXT) | instid1(VALU_DEP_2)
	v_dual_fmac_f32 v13, v16, v24 :: v_dual_fmac_f32 v12, v33, v26
	v_dual_fmac_f32 v10, v30, v25 :: v_dual_fmac_f32 v11, v31, v26
	s_delay_alu instid0(VALU_DEP_1) | instskip(NEXT) | instid1(VALU_DEP_1)
	v_dual_fmac_f32 v13, v28, v25 :: v_dual_fmac_f32 v10, v34, v26
	v_fmac_f32_e32 v13, v32, v26
	s_and_not1_b32 exec_lo, exec_lo, s6
	s_cbranch_execnz .LBB4_29
; %bb.30:
	s_or_b32 exec_lo, exec_lo, s6
.LBB4_31:
	s_delay_alu instid0(SALU_CYCLE_1) | instskip(NEXT) | instid1(SALU_CYCLE_1)
	s_or_b32 exec_lo, exec_lo, s2
	s_mov_b32 s2, exec_lo
	v_cmpx_lt_u32_e32 0xbf, v5
	s_cbranch_execz .LBB4_35
; %bb.32:
	s_mov_b32 s6, 0
.LBB4_33:                               ; =>This Inner Loop Header: Depth=1
	v_ashrrev_i32_e32 v1, 31, v0
	s_delay_alu instid0(VALU_DEP_1) | instskip(SKIP_1) | instid1(VALU_DEP_2)
	v_lshlrev_b64 v[5:6], 2, v[0:1]
	v_add_nc_u32_e32 v0, 0x100, v0
	v_add_co_u32 v5, vcc_lo, s8, v5
	s_delay_alu instid0(VALU_DEP_3)
	v_add_co_ci_u32_e32 v6, vcc_lo, s9, v6, vcc_lo
	s_clause 0x3
	global_load_b32 v1, v[5:6], off
	global_load_b32 v63, v[5:6], off offset:256
	global_load_b32 v64, v[5:6], off offset:512
	;; [unrolled: 1-line block ×3, first 2 shown]
	s_clause 0x3
	global_load_b128 v[5:8], v[2:3], off offset:48
	global_load_b128 v[15:18], v[2:3], off offset:32
	;; [unrolled: 1-line block ×3, first 2 shown]
	global_load_b128 v[23:26], v[2:3], off
	v_add_co_u32 v35, vcc_lo, 0x1000, v2
	v_add_co_ci_u32_e32 v36, vcc_lo, 0, v3, vcc_lo
	v_add_co_u32 v43, vcc_lo, v2, 0x2000
	v_add_co_ci_u32_e32 v44, vcc_lo, 0, v3, vcc_lo
	;; [unrolled: 2-line block ×4, first 2 shown]
	s_clause 0x8
	global_load_b128 v[27:30], v[35:36], off offset:48
	global_load_b128 v[31:34], v[35:36], off offset:32
	;; [unrolled: 1-line block ×3, first 2 shown]
	global_load_b128 v[39:42], v[43:44], off offset:-4096
	global_load_b128 v[43:46], v[43:44], off
	global_load_b128 v[47:50], v[55:56], off offset:48
	global_load_b128 v[51:54], v[55:56], off offset:32
	;; [unrolled: 1-line block ×3, first 2 shown]
	global_load_b128 v[59:62], v[87:88], off
	s_waitcnt vmcnt(16)
	v_subrev_nc_u32_e32 v1, s18, v1
	s_waitcnt vmcnt(15)
	v_subrev_nc_u32_e32 v66, s18, v63
	;; [unrolled: 2-line block ×4, first 2 shown]
	v_lshlrev_b32_e32 v63, 2, v1
	v_lshlrev_b32_e32 v67, 2, v66
	;; [unrolled: 1-line block ×3, first 2 shown]
	s_delay_alu instid0(VALU_DEP_4) | instskip(NEXT) | instid1(VALU_DEP_4)
	v_lshlrev_b32_e32 v75, 2, v65
	v_ashrrev_i32_e32 v64, 31, v63
	s_delay_alu instid0(VALU_DEP_4) | instskip(NEXT) | instid1(VALU_DEP_2)
	v_ashrrev_i32_e32 v68, 31, v67
	v_lshlrev_b64 v[63:64], 2, v[63:64]
	s_delay_alu instid0(VALU_DEP_2) | instskip(SKIP_1) | instid1(VALU_DEP_2)
	v_lshlrev_b64 v[67:68], 2, v[67:68]
	s_waitcnt lgkmcnt(0)
	v_add_co_u32 v63, vcc_lo, s4, v63
	s_delay_alu instid0(VALU_DEP_3) | instskip(NEXT) | instid1(VALU_DEP_3)
	v_add_co_ci_u32_e32 v64, vcc_lo, s5, v64, vcc_lo
	v_add_co_u32 v67, vcc_lo, s4, v67
	s_delay_alu instid0(VALU_DEP_4)
	v_add_co_ci_u32_e32 v68, vcc_lo, s5, v68, vcc_lo
	s_clause 0x1
	global_load_b128 v[63:66], v[63:64], off
	global_load_b128 v[67:70], v[67:68], off
	s_waitcnt vmcnt(1)
	v_fmac_f32_e32 v10, v26, v63
	v_ashrrev_i32_e32 v72, 31, v71
	v_fmac_f32_e32 v12, v25, v63
	s_delay_alu instid0(VALU_DEP_3) | instskip(NEXT) | instid1(VALU_DEP_3)
	v_fmac_f32_e32 v10, v22, v64
	v_lshlrev_b64 v[71:72], 2, v[71:72]
	v_ashrrev_i32_e32 v76, 31, v75
	s_delay_alu instid0(VALU_DEP_4) | instskip(NEXT) | instid1(VALU_DEP_4)
	v_dual_fmac_f32 v13, v24, v63 :: v_dual_fmac_f32 v12, v21, v64
	v_dual_fmac_f32 v10, v18, v65 :: v_dual_fmac_f32 v11, v23, v63
	s_delay_alu instid0(VALU_DEP_4) | instskip(NEXT) | instid1(VALU_DEP_3)
	v_add_co_u32 v71, vcc_lo, s4, v71
	v_fmac_f32_e32 v12, v17, v65
	v_add_co_ci_u32_e32 v72, vcc_lo, s5, v72, vcc_lo
	v_lshlrev_b64 v[75:76], 2, v[75:76]
	v_dual_fmac_f32 v11, v19, v64 :: v_dual_fmac_f32 v10, v8, v66
	global_load_b128 v[71:74], v[71:72], off
	v_dual_fmac_f32 v13, v20, v64 :: v_dual_fmac_f32 v12, v7, v66
	v_add_co_u32 v75, vcc_lo, s4, v75
	v_add_co_ci_u32_e32 v76, vcc_lo, s5, v76, vcc_lo
	global_load_b128 v[75:78], v[75:76], off
	s_clause 0x2
	global_load_b128 v[79:82], v[87:88], off offset:16
	global_load_b128 v[83:86], v[87:88], off offset:32
	global_load_b128 v[87:90], v[87:88], off offset:48
	s_waitcnt vmcnt(5)
	v_dual_fmac_f32 v11, v15, v65 :: v_dual_fmac_f32 v12, v41, v67
	v_dual_fmac_f32 v13, v16, v65 :: v_dual_fmac_f32 v10, v42, v67
	v_add_co_u32 v2, vcc_lo, 0x4000, v2
	s_delay_alu instid0(VALU_DEP_3) | instskip(NEXT) | instid1(VALU_DEP_3)
	v_fmac_f32_e32 v11, v5, v66
	v_dual_fmac_f32 v13, v6, v66 :: v_dual_fmac_f32 v12, v37, v68
	s_delay_alu instid0(VALU_DEP_4) | instskip(SKIP_1) | instid1(VALU_DEP_3)
	v_fmac_f32_e32 v10, v38, v68
	v_add_co_ci_u32_e32 v3, vcc_lo, 0, v3, vcc_lo
	v_dual_fmac_f32 v11, v39, v67 :: v_dual_fmac_f32 v12, v33, v69
	s_delay_alu instid0(VALU_DEP_3) | instskip(SKIP_1) | instid1(VALU_DEP_3)
	v_dual_fmac_f32 v13, v40, v67 :: v_dual_fmac_f32 v10, v34, v69
	v_cmp_ge_i32_e32 vcc_lo, v0, v14
	v_dual_fmac_f32 v11, v35, v68 :: v_dual_fmac_f32 v12, v29, v70
	s_delay_alu instid0(VALU_DEP_3) | instskip(SKIP_1) | instid1(VALU_DEP_2)
	v_dual_fmac_f32 v13, v36, v68 :: v_dual_fmac_f32 v10, v30, v70
	s_or_b32 s6, vcc_lo, s6
	v_fmac_f32_e32 v11, v31, v69
	s_waitcnt vmcnt(4)
	s_delay_alu instid0(VALU_DEP_2) | instskip(NEXT) | instid1(VALU_DEP_1)
	v_dual_fmac_f32 v13, v32, v69 :: v_dual_fmac_f32 v10, v46, v71
	v_dual_fmac_f32 v13, v28, v70 :: v_dual_fmac_f32 v12, v45, v71
	s_delay_alu instid0(VALU_DEP_2) | instskip(NEXT) | instid1(VALU_DEP_2)
	v_dual_fmac_f32 v11, v27, v70 :: v_dual_fmac_f32 v10, v58, v72
	v_dual_fmac_f32 v13, v44, v71 :: v_dual_fmac_f32 v12, v57, v72
	s_delay_alu instid0(VALU_DEP_2) | instskip(NEXT) | instid1(VALU_DEP_2)
	;; [unrolled: 3-line block ×3, first 2 shown]
	v_dual_fmac_f32 v11, v55, v72 :: v_dual_fmac_f32 v10, v50, v74
	v_dual_fmac_f32 v13, v52, v73 :: v_dual_fmac_f32 v12, v49, v74
	s_waitcnt vmcnt(3)
	s_delay_alu instid0(VALU_DEP_2) | instskip(NEXT) | instid1(VALU_DEP_2)
	v_dual_fmac_f32 v11, v51, v73 :: v_dual_fmac_f32 v10, v62, v75
	v_dual_fmac_f32 v13, v48, v74 :: v_dual_fmac_f32 v12, v61, v75
	s_waitcnt vmcnt(2)
	s_delay_alu instid0(VALU_DEP_2) | instskip(NEXT) | instid1(VALU_DEP_1)
	v_dual_fmac_f32 v11, v47, v74 :: v_dual_fmac_f32 v10, v82, v76
	v_dual_fmac_f32 v12, v81, v76 :: v_dual_fmac_f32 v11, v59, v75
	s_waitcnt vmcnt(1)
	s_delay_alu instid0(VALU_DEP_2) | instskip(NEXT) | instid1(VALU_DEP_2)
	v_dual_fmac_f32 v13, v60, v75 :: v_dual_fmac_f32 v10, v86, v77
	v_dual_fmac_f32 v12, v85, v77 :: v_dual_fmac_f32 v11, v79, v76
	s_waitcnt vmcnt(0)
	s_delay_alu instid0(VALU_DEP_2) | instskip(NEXT) | instid1(VALU_DEP_2)
	v_dual_fmac_f32 v13, v80, v76 :: v_dual_fmac_f32 v10, v90, v78
	v_dual_fmac_f32 v12, v89, v78 :: v_dual_fmac_f32 v11, v83, v77
	s_delay_alu instid0(VALU_DEP_2) | instskip(NEXT) | instid1(VALU_DEP_2)
	v_fmac_f32_e32 v13, v84, v77
	v_fmac_f32_e32 v11, v87, v78
	s_delay_alu instid0(VALU_DEP_2)
	v_fmac_f32_e32 v13, v88, v78
	s_and_not1_b32 exec_lo, exec_lo, s6
	s_cbranch_execnz .LBB4_33
; %bb.34:
	s_or_b32 exec_lo, exec_lo, s6
.LBB4_35:
	s_delay_alu instid0(SALU_CYCLE_1)
	s_or_b32 exec_lo, exec_lo, s2
.LBB4_36:
	s_delay_alu instid0(SALU_CYCLE_1)
	s_or_b32 exec_lo, exec_lo, s3
.LBB4_37:
	v_mbcnt_lo_u32_b32 v0, -1, 0
	s_mov_b32 s2, -1
	s_delay_alu instid0(VALU_DEP_1) | instskip(SKIP_1) | instid1(VALU_DEP_2)
	v_or_b32_e32 v1, 32, v0
	v_xor_b32_e32 v6, 16, v0
	v_cmp_gt_i32_e32 vcc_lo, 32, v1
	v_cndmask_b32_e32 v1, v0, v1, vcc_lo
	s_delay_alu instid0(VALU_DEP_3) | instskip(SKIP_1) | instid1(VALU_DEP_1)
	v_cmp_gt_i32_e32 vcc_lo, 32, v6
	v_cndmask_b32_e32 v6, v0, v6, vcc_lo
	v_lshlrev_b32_e32 v6, 2, v6
	s_delay_alu instid0(VALU_DEP_4)
	v_lshlrev_b32_e32 v1, 2, v1
	ds_bpermute_b32 v2, v1, v11
	s_waitcnt lgkmcnt(0)
	v_add_f32_e32 v2, v11, v2
	ds_bpermute_b32 v3, v1, v13
	ds_bpermute_b32 v5, v1, v12
	;; [unrolled: 1-line block ×3, first 2 shown]
	v_xor_b32_e32 v11, 8, v0
	ds_bpermute_b32 v7, v6, v2
	v_cmp_gt_i32_e32 vcc_lo, 32, v11
	s_waitcnt lgkmcnt(3)
	v_add_f32_e32 v3, v13, v3
	s_waitcnt lgkmcnt(2)
	v_add_f32_e32 v5, v12, v5
	;; [unrolled: 2-line block ×4, first 2 shown]
	ds_bpermute_b32 v8, v6, v3
	ds_bpermute_b32 v10, v6, v5
	;; [unrolled: 1-line block ×3, first 2 shown]
	v_cndmask_b32_e32 v11, v0, v11, vcc_lo
	s_delay_alu instid0(VALU_DEP_1)
	v_lshlrev_b32_e32 v11, 2, v11
	s_waitcnt lgkmcnt(1)
	v_add_f32_e32 v5, v5, v10
	s_waitcnt lgkmcnt(0)
	v_add_f32_e32 v1, v1, v6
	ds_bpermute_b32 v6, v11, v2
	ds_bpermute_b32 v10, v11, v1
	s_waitcnt lgkmcnt(1)
	v_add_f32_e32 v2, v2, v6
	s_waitcnt lgkmcnt(0)
	v_add_f32_e32 v1, v1, v10
	v_add_f32_e32 v3, v3, v8
	ds_bpermute_b32 v8, v11, v5
	ds_bpermute_b32 v7, v11, v3
	v_xor_b32_e32 v11, 4, v0
	s_delay_alu instid0(VALU_DEP_1) | instskip(SKIP_1) | instid1(VALU_DEP_1)
	v_cmp_gt_i32_e32 vcc_lo, 32, v11
	v_cndmask_b32_e32 v11, v0, v11, vcc_lo
	v_lshlrev_b32_e32 v11, 2, v11
	s_waitcnt lgkmcnt(1)
	v_add_f32_e32 v5, v5, v8
	ds_bpermute_b32 v6, v11, v2
	ds_bpermute_b32 v10, v11, v1
	;; [unrolled: 1-line block ×3, first 2 shown]
	s_waitcnt lgkmcnt(2)
	v_add_f32_e32 v2, v2, v6
	s_waitcnt lgkmcnt(1)
	v_dual_add_f32 v6, v1, v10 :: v_dual_add_f32 v3, v3, v7
	s_waitcnt lgkmcnt(0)
	v_add_f32_e32 v5, v5, v8
	ds_bpermute_b32 v7, v11, v3
	v_xor_b32_e32 v11, 2, v0
	s_delay_alu instid0(VALU_DEP_1) | instskip(SKIP_1) | instid1(VALU_DEP_1)
	v_cmp_gt_i32_e32 vcc_lo, 32, v11
	v_cndmask_b32_e32 v11, v0, v11, vcc_lo
	v_lshlrev_b32_e32 v11, 2, v11
	s_waitcnt lgkmcnt(0)
	v_add_f32_e32 v3, v3, v7
	ds_bpermute_b32 v1, v11, v2
	ds_bpermute_b32 v8, v11, v5
	;; [unrolled: 1-line block ×4, first 2 shown]
	v_xor_b32_e32 v11, 1, v0
	s_delay_alu instid0(VALU_DEP_1) | instskip(SKIP_3) | instid1(VALU_DEP_2)
	v_cmp_gt_i32_e32 vcc_lo, 32, v11
	v_cndmask_b32_e32 v0, v0, v11, vcc_lo
	v_cmp_eq_u32_e32 vcc_lo, 63, v9
	s_waitcnt lgkmcnt(3)
	v_dual_add_f32 v0, v2, v1 :: v_dual_lshlrev_b32 v11, 2, v0
	s_waitcnt lgkmcnt(0)
	v_dual_add_f32 v2, v5, v8 :: v_dual_add_f32 v1, v3, v7
	v_add_f32_e32 v3, v6, v10
	ds_bpermute_b32 v5, v11, v0
	ds_bpermute_b32 v7, v11, v2
	;; [unrolled: 1-line block ×4, first 2 shown]
	s_and_b32 exec_lo, exec_lo, vcc_lo
	s_cbranch_execz .LBB4_10
; %bb.38:
	s_load_b64 s[0:1], s[0:1], 0x50
	s_waitcnt lgkmcnt(0)
	v_dual_add_f32 v0, v0, v5 :: v_dual_add_f32 v1, v1, v6
	v_dual_add_f32 v2, v2, v7 :: v_dual_add_f32 v3, v3, v8
	v_cmp_eq_f32_e64 s3, s12, 0
	s_delay_alu instid0(VALU_DEP_3) | instskip(NEXT) | instid1(VALU_DEP_3)
	v_dual_mul_f32 v0, s16, v0 :: v_dual_mul_f32 v1, s16, v1
	v_dual_mul_f32 v2, s16, v2 :: v_dual_mul_f32 v3, s16, v3
	v_lshlrev_b32_e32 v4, 2, v4
	s_delay_alu instid0(VALU_DEP_4)
	s_and_b32 vcc_lo, exec_lo, s3
	s_cbranch_vccz .LBB4_40
; %bb.39:
	s_delay_alu instid0(VALU_DEP_1) | instskip(SKIP_1) | instid1(VALU_DEP_1)
	v_ashrrev_i32_e32 v5, 31, v4
	s_mov_b32 s2, 0
	v_lshlrev_b64 v[5:6], 2, v[4:5]
	s_delay_alu instid0(VALU_DEP_1) | instskip(NEXT) | instid1(VALU_DEP_2)
	v_add_co_u32 v5, vcc_lo, s0, v5
	v_add_co_ci_u32_e32 v6, vcc_lo, s1, v6, vcc_lo
	global_store_b128 v[5:6], v[0:3], off
.LBB4_40:
	s_and_not1_b32 vcc_lo, exec_lo, s2
	s_cbranch_vccnz .LBB4_10
; %bb.41:
	v_ashrrev_i32_e32 v5, 31, v4
	s_delay_alu instid0(VALU_DEP_1) | instskip(NEXT) | instid1(VALU_DEP_1)
	v_lshlrev_b64 v[4:5], 2, v[4:5]
	v_add_co_u32 v8, vcc_lo, s0, v4
	s_delay_alu instid0(VALU_DEP_2)
	v_add_co_ci_u32_e32 v9, vcc_lo, s1, v5, vcc_lo
	global_load_b128 v[4:7], v[8:9], off
	s_waitcnt vmcnt(0)
	v_dual_fmac_f32 v0, s12, v4 :: v_dual_fmac_f32 v1, s12, v5
	v_dual_fmac_f32 v2, s12, v6 :: v_dual_fmac_f32 v3, s12, v7
	global_store_b128 v[8:9], v[0:3], off
	s_nop 0
	s_sendmsg sendmsg(MSG_DEALLOC_VGPRS)
	s_endpgm
	.section	.rodata,"a",@progbits
	.p2align	6, 0x0
	.amdhsa_kernel _ZN9rocsparseL18bsrxmvn_4x4_kernelILj128ELj64EfiifffEEvT3_20rocsparse_direction_NS_24const_host_device_scalarIT1_EES1_PKS1_PKT2_SA_S7_PKT4_PKT5_S5_PT6_21rocsparse_index_base_b
		.amdhsa_group_segment_fixed_size 0
		.amdhsa_private_segment_fixed_size 0
		.amdhsa_kernarg_size 96
		.amdhsa_user_sgpr_count 15
		.amdhsa_user_sgpr_dispatch_ptr 0
		.amdhsa_user_sgpr_queue_ptr 0
		.amdhsa_user_sgpr_kernarg_segment_ptr 1
		.amdhsa_user_sgpr_dispatch_id 0
		.amdhsa_user_sgpr_private_segment_size 0
		.amdhsa_wavefront_size32 1
		.amdhsa_uses_dynamic_stack 0
		.amdhsa_enable_private_segment 0
		.amdhsa_system_sgpr_workgroup_id_x 1
		.amdhsa_system_sgpr_workgroup_id_y 0
		.amdhsa_system_sgpr_workgroup_id_z 0
		.amdhsa_system_sgpr_workgroup_info 0
		.amdhsa_system_vgpr_workitem_id 0
		.amdhsa_next_free_vgpr 96
		.amdhsa_next_free_sgpr 20
		.amdhsa_reserve_vcc 1
		.amdhsa_float_round_mode_32 0
		.amdhsa_float_round_mode_16_64 0
		.amdhsa_float_denorm_mode_32 3
		.amdhsa_float_denorm_mode_16_64 3
		.amdhsa_dx10_clamp 1
		.amdhsa_ieee_mode 1
		.amdhsa_fp16_overflow 0
		.amdhsa_workgroup_processor_mode 1
		.amdhsa_memory_ordered 1
		.amdhsa_forward_progress 0
		.amdhsa_shared_vgpr_count 0
		.amdhsa_exception_fp_ieee_invalid_op 0
		.amdhsa_exception_fp_denorm_src 0
		.amdhsa_exception_fp_ieee_div_zero 0
		.amdhsa_exception_fp_ieee_overflow 0
		.amdhsa_exception_fp_ieee_underflow 0
		.amdhsa_exception_fp_ieee_inexact 0
		.amdhsa_exception_int_div_zero 0
	.end_amdhsa_kernel
	.section	.text._ZN9rocsparseL18bsrxmvn_4x4_kernelILj128ELj64EfiifffEEvT3_20rocsparse_direction_NS_24const_host_device_scalarIT1_EES1_PKS1_PKT2_SA_S7_PKT4_PKT5_S5_PT6_21rocsparse_index_base_b,"axG",@progbits,_ZN9rocsparseL18bsrxmvn_4x4_kernelILj128ELj64EfiifffEEvT3_20rocsparse_direction_NS_24const_host_device_scalarIT1_EES1_PKS1_PKT2_SA_S7_PKT4_PKT5_S5_PT6_21rocsparse_index_base_b,comdat
.Lfunc_end4:
	.size	_ZN9rocsparseL18bsrxmvn_4x4_kernelILj128ELj64EfiifffEEvT3_20rocsparse_direction_NS_24const_host_device_scalarIT1_EES1_PKS1_PKT2_SA_S7_PKT4_PKT5_S5_PT6_21rocsparse_index_base_b, .Lfunc_end4-_ZN9rocsparseL18bsrxmvn_4x4_kernelILj128ELj64EfiifffEEvT3_20rocsparse_direction_NS_24const_host_device_scalarIT1_EES1_PKS1_PKT2_SA_S7_PKT4_PKT5_S5_PT6_21rocsparse_index_base_b
                                        ; -- End function
	.section	.AMDGPU.csdata,"",@progbits
; Kernel info:
; codeLenInByte = 3884
; NumSgprs: 22
; NumVgprs: 96
; ScratchSize: 0
; MemoryBound: 0
; FloatMode: 240
; IeeeMode: 1
; LDSByteSize: 0 bytes/workgroup (compile time only)
; SGPRBlocks: 2
; VGPRBlocks: 11
; NumSGPRsForWavesPerEU: 22
; NumVGPRsForWavesPerEU: 96
; Occupancy: 16
; WaveLimiterHint : 1
; COMPUTE_PGM_RSRC2:SCRATCH_EN: 0
; COMPUTE_PGM_RSRC2:USER_SGPR: 15
; COMPUTE_PGM_RSRC2:TRAP_HANDLER: 0
; COMPUTE_PGM_RSRC2:TGID_X_EN: 1
; COMPUTE_PGM_RSRC2:TGID_Y_EN: 0
; COMPUTE_PGM_RSRC2:TGID_Z_EN: 0
; COMPUTE_PGM_RSRC2:TIDIG_COMP_CNT: 0
	.section	.text._ZN9rocsparseL18bsrxmvn_4x4_kernelILj128ELj4EdiidddEEvT3_20rocsparse_direction_NS_24const_host_device_scalarIT1_EES1_PKS1_PKT2_SA_S7_PKT4_PKT5_S5_PT6_21rocsparse_index_base_b,"axG",@progbits,_ZN9rocsparseL18bsrxmvn_4x4_kernelILj128ELj4EdiidddEEvT3_20rocsparse_direction_NS_24const_host_device_scalarIT1_EES1_PKS1_PKT2_SA_S7_PKT4_PKT5_S5_PT6_21rocsparse_index_base_b,comdat
	.globl	_ZN9rocsparseL18bsrxmvn_4x4_kernelILj128ELj4EdiidddEEvT3_20rocsparse_direction_NS_24const_host_device_scalarIT1_EES1_PKS1_PKT2_SA_S7_PKT4_PKT5_S5_PT6_21rocsparse_index_base_b ; -- Begin function _ZN9rocsparseL18bsrxmvn_4x4_kernelILj128ELj4EdiidddEEvT3_20rocsparse_direction_NS_24const_host_device_scalarIT1_EES1_PKS1_PKT2_SA_S7_PKT4_PKT5_S5_PT6_21rocsparse_index_base_b
	.p2align	8
	.type	_ZN9rocsparseL18bsrxmvn_4x4_kernelILj128ELj4EdiidddEEvT3_20rocsparse_direction_NS_24const_host_device_scalarIT1_EES1_PKS1_PKT2_SA_S7_PKT4_PKT5_S5_PT6_21rocsparse_index_base_b,@function
_ZN9rocsparseL18bsrxmvn_4x4_kernelILj128ELj4EdiidddEEvT3_20rocsparse_direction_NS_24const_host_device_scalarIT1_EES1_PKS1_PKT2_SA_S7_PKT4_PKT5_S5_PT6_21rocsparse_index_base_b: ; @_ZN9rocsparseL18bsrxmvn_4x4_kernelILj128ELj4EdiidddEEvT3_20rocsparse_direction_NS_24const_host_device_scalarIT1_EES1_PKS1_PKT2_SA_S7_PKT4_PKT5_S5_PT6_21rocsparse_index_base_b
; %bb.0:
	s_clause 0x2
	s_load_b64 s[12:13], s[0:1], 0x58
	s_load_b64 s[4:5], s[0:1], 0x8
	;; [unrolled: 1-line block ×3, first 2 shown]
	s_waitcnt lgkmcnt(0)
	s_bitcmp1_b32 s13, 0
	v_dual_mov_b32 v2, s4 :: v_dual_mov_b32 v3, s5
	s_cselect_b32 s6, -1, 0
	s_delay_alu instid0(SALU_CYCLE_1)
	s_and_b32 vcc_lo, exec_lo, s6
	s_xor_b32 s6, s6, -1
	s_cbranch_vccnz .LBB5_2
; %bb.1:
	v_dual_mov_b32 v1, s4 :: v_dual_mov_b32 v2, s5
	flat_load_b64 v[2:3], v[1:2]
.LBB5_2:
	v_dual_mov_b32 v9, s3 :: v_dual_mov_b32 v8, s2
	s_and_not1_b32 vcc_lo, exec_lo, s6
	s_cbranch_vccnz .LBB5_4
; %bb.3:
	v_dual_mov_b32 v5, s3 :: v_dual_mov_b32 v4, s2
	flat_load_b64 v[8:9], v[4:5]
.LBB5_4:
	s_waitcnt vmcnt(0) lgkmcnt(0)
	v_cmp_neq_f64_e32 vcc_lo, 0, v[2:3]
	v_cmp_neq_f64_e64 s2, 1.0, v[8:9]
	s_delay_alu instid0(VALU_DEP_1) | instskip(NEXT) | instid1(SALU_CYCLE_1)
	s_or_b32 s2, vcc_lo, s2
	s_and_saveexec_b32 s3, s2
	s_cbranch_execz .LBB5_10
; %bb.5:
	s_clause 0x1
	s_load_b64 s[4:5], s[0:1], 0x18
	s_load_b64 s[2:3], s[0:1], 0x0
	v_lshrrev_b32_e32 v1, 2, v0
	s_delay_alu instid0(VALU_DEP_1)
	v_lshl_or_b32 v10, s15, 5, v1
	s_waitcnt lgkmcnt(0)
	s_cmp_lg_u64 s[4:5], 0
	s_cbranch_scc0 .LBB5_11
; %bb.6:
	s_load_b32 s6, s[0:1], 0x10
	s_mov_b32 s7, 0
                                        ; implicit-def: $vgpr1
	s_waitcnt lgkmcnt(0)
	v_cmp_gt_i32_e32 vcc_lo, s6, v10
	s_mov_b32 s6, 0
	s_and_saveexec_b32 s8, vcc_lo
	s_delay_alu instid0(SALU_CYCLE_1)
	s_xor_b32 s8, exec_lo, s8
	s_cbranch_execz .LBB5_8
; %bb.7:
	v_ashrrev_i32_e32 v11, 31, v10
	s_mov_b32 s6, exec_lo
	s_delay_alu instid0(VALU_DEP_1) | instskip(NEXT) | instid1(VALU_DEP_1)
	v_lshlrev_b64 v[4:5], 2, v[10:11]
	v_add_co_u32 v4, vcc_lo, s4, v4
	s_delay_alu instid0(VALU_DEP_2)
	v_add_co_ci_u32_e32 v5, vcc_lo, s5, v5, vcc_lo
	global_load_b32 v1, v[4:5], off
	s_waitcnt vmcnt(0)
	v_subrev_nc_u32_e32 v1, s12, v1
.LBB5_8:
	s_or_b32 exec_lo, exec_lo, s8
	s_delay_alu instid0(SALU_CYCLE_1)
	s_and_b32 vcc_lo, exec_lo, s7
	s_cbranch_vccz .LBB5_12
.LBB5_9:
	v_cmp_gt_i32_e32 vcc_lo, s2, v10
	s_and_not1_b32 s2, s6, exec_lo
	s_and_b32 s4, vcc_lo, exec_lo
	s_delay_alu instid0(SALU_CYCLE_1) | instskip(NEXT) | instid1(SALU_CYCLE_1)
	s_or_b32 s6, s2, s4
	s_and_b32 exec_lo, exec_lo, s6
	s_cbranch_execnz .LBB5_13
.LBB5_10:
	s_nop 0
	s_sendmsg sendmsg(MSG_DEALLOC_VGPRS)
	s_endpgm
.LBB5_11:
	s_mov_b32 s6, 0
                                        ; implicit-def: $vgpr1
	s_cbranch_execnz .LBB5_9
.LBB5_12:
	s_delay_alu instid0(VALU_DEP_1)
	v_mov_b32_e32 v10, v1
	s_and_b32 exec_lo, exec_lo, s6
	s_cbranch_execz .LBB5_10
.LBB5_13:
	s_load_b256 s[4:11], s[0:1], 0x20
	s_delay_alu instid0(VALU_DEP_1) | instskip(SKIP_1) | instid1(VALU_DEP_2)
	v_ashrrev_i32_e32 v11, 31, v10
	v_and_b32_e32 v21, 3, v0
	v_lshlrev_b64 v[4:5], 2, v[10:11]
	s_waitcnt lgkmcnt(0)
	s_delay_alu instid0(VALU_DEP_1) | instskip(NEXT) | instid1(VALU_DEP_2)
	v_add_co_u32 v6, vcc_lo, s4, v4
	v_add_co_ci_u32_e32 v7, vcc_lo, s5, v5, vcc_lo
	v_add_co_u32 v1, vcc_lo, s6, v4
	v_add_co_ci_u32_e32 v4, vcc_lo, s7, v5, vcc_lo
	global_load_b32 v23, v[6:7], off
	v_add_co_u32 v6, vcc_lo, v6, 4
	v_add_co_ci_u32_e32 v5, vcc_lo, 0, v7, vcc_lo
	s_cmp_eq_u64 s[6:7], 0
	s_load_b64 s[4:5], s[0:1], 0x40
	s_cselect_b32 vcc_lo, -1, 0
	s_cmp_eq_u32 s3, 1
	v_dual_cndmask_b32 v5, v4, v5 :: v_dual_cndmask_b32 v4, v1, v6
	global_load_b32 v6, v[4:5], off
	s_waitcnt vmcnt(1)
	v_subrev_nc_u32_e32 v0, s12, v23
	s_delay_alu instid0(VALU_DEP_1) | instskip(NEXT) | instid1(VALU_DEP_1)
	v_add_nc_u32_e32 v0, v0, v21
	v_ashrrev_i32_e32 v1, 31, v0
	s_waitcnt vmcnt(0)
	v_subrev_nc_u32_e32 v22, s12, v6
	s_delay_alu instid0(VALU_DEP_2) | instskip(NEXT) | instid1(VALU_DEP_2)
	v_lshlrev_b64 v[4:5], 7, v[0:1]
	v_cmp_lt_i32_e64 s2, v0, v22
	s_delay_alu instid0(VALU_DEP_2) | instskip(NEXT) | instid1(VALU_DEP_3)
	v_add_co_u32 v4, vcc_lo, s10, v4
	v_add_co_ci_u32_e32 v5, vcc_lo, s11, v5, vcc_lo
	s_cbranch_scc1 .LBB5_25
; %bb.14:
	v_mov_b32_e32 v6, 0
	v_mov_b32_e32 v7, 0
	s_delay_alu instid0(VALU_DEP_1)
	v_dual_mov_b32 v12, v7 :: v_dual_mov_b32 v11, v6
	v_dual_mov_b32 v16, v7 :: v_dual_mov_b32 v15, v6
	;; [unrolled: 1-line block ×3, first 2 shown]
	s_and_saveexec_b32 s6, s2
	s_cbranch_execz .LBB5_24
; %bb.15:
	v_add_nc_u32_e32 v1, v23, v21
	v_mov_b32_e32 v13, 0
	v_mov_b32_e32 v14, 0
	v_not_b32_e32 v6, v23
	s_delay_alu instid0(VALU_DEP_3) | instskip(SKIP_4) | instid1(VALU_DEP_2)
	v_mov_b32_e32 v11, v13
	v_subrev_nc_u32_e32 v1, s12, v1
	v_dual_mov_b32 v20, v5 :: v_dual_mov_b32 v19, v4
	s_mov_b32 s10, 0
	s_mov_b32 s7, exec_lo
	v_dual_mov_b32 v16, v14 :: v_dual_add_nc_u32 v1, 4, v1
	v_dual_mov_b32 v15, v13 :: v_dual_mov_b32 v12, v14
	v_mov_b32_e32 v17, v0
	s_delay_alu instid0(VALU_DEP_3) | instskip(NEXT) | instid1(VALU_DEP_1)
	v_max_i32_e32 v1, v1, v22
	v_add3_u32 v1, v1, s12, v6
	s_delay_alu instid0(VALU_DEP_1) | instskip(NEXT) | instid1(VALU_DEP_1)
	v_sub_nc_u32_e32 v1, v1, v21
	v_lshrrev_b32_e32 v6, 2, v1
	s_delay_alu instid0(VALU_DEP_1) | instskip(NEXT) | instid1(VALU_DEP_1)
	v_add_nc_u32_e32 v6, 1, v6
	v_and_b32_e32 v18, 3, v6
	v_dual_mov_b32 v6, v13 :: v_dual_mov_b32 v7, v14
	s_delay_alu instid0(VALU_DEP_2)
	v_cmpx_ne_u32_e32 0, v18
	s_cbranch_execz .LBB5_19
; %bb.16:
	v_mov_b32_e32 v6, 0
	v_dual_mov_b32 v7, 0 :: v_dual_lshlrev_b32 v24, 7, v18
	v_dual_mov_b32 v20, v5 :: v_dual_mov_b32 v17, v0
	s_delay_alu instid0(VALU_DEP_2) | instskip(NEXT) | instid1(VALU_DEP_4)
	v_dual_mov_b32 v19, v4 :: v_dual_mov_b32 v12, v7
	v_dual_mov_b32 v11, v6 :: v_dual_mov_b32 v16, v7
	;; [unrolled: 1-line block ×3, first 2 shown]
	v_mov_b32_e32 v13, v6
.LBB5_17:                               ; =>This Inner Loop Header: Depth=1
	v_ashrrev_i32_e32 v18, 31, v17
	v_add_nc_u32_e32 v24, 0xffffff80, v24
	s_delay_alu instid0(VALU_DEP_2) | instskip(NEXT) | instid1(VALU_DEP_2)
	v_lshlrev_b64 v[25:26], 2, v[17:18]
	v_cmp_eq_u32_e64 s3, 0, v24
	v_add_nc_u32_e32 v17, 4, v17
	s_delay_alu instid0(VALU_DEP_2) | instskip(NEXT) | instid1(VALU_DEP_3)
	s_or_b32 s10, s3, s10
	v_add_co_u32 v25, vcc_lo, s8, v25
	s_delay_alu instid0(VALU_DEP_4)
	v_add_co_ci_u32_e32 v26, vcc_lo, s9, v26, vcc_lo
	global_load_b32 v18, v[25:26], off
	s_clause 0x6
	global_load_b128 v[25:28], v[19:20], off offset:48
	global_load_b128 v[29:32], v[19:20], off offset:32
	;; [unrolled: 1-line block ×3, first 2 shown]
	global_load_b128 v[37:40], v[19:20], off
	global_load_b128 v[41:44], v[19:20], off offset:112
	global_load_b128 v[45:48], v[19:20], off offset:96
	;; [unrolled: 1-line block ×3, first 2 shown]
	s_waitcnt vmcnt(7)
	v_subrev_nc_u32_e32 v18, s12, v18
	s_delay_alu instid0(VALU_DEP_1) | instskip(NEXT) | instid1(VALU_DEP_1)
	v_lshlrev_b32_e32 v53, 2, v18
	v_ashrrev_i32_e32 v54, 31, v53
	s_delay_alu instid0(VALU_DEP_1) | instskip(SKIP_1) | instid1(VALU_DEP_1)
	v_lshlrev_b64 v[53:54], 3, v[53:54]
	s_waitcnt lgkmcnt(0)
	v_add_co_u32 v61, vcc_lo, s4, v53
	s_delay_alu instid0(VALU_DEP_2)
	v_add_co_ci_u32_e32 v62, vcc_lo, s5, v54, vcc_lo
	global_load_b128 v[53:56], v[19:20], off offset:64
	s_clause 0x1
	global_load_b128 v[57:60], v[61:62], off
	global_load_b128 v[61:64], v[61:62], off offset:16
	v_add_co_u32 v19, vcc_lo, 0x200, v19
	v_add_co_ci_u32_e32 v20, vcc_lo, 0, v20, vcc_lo
	s_waitcnt vmcnt(1)
	v_fma_f64 v[13:14], v[37:38], v[57:58], v[13:14]
	v_fma_f64 v[15:16], v[29:30], v[57:58], v[15:16]
	;; [unrolled: 1-line block ×4, first 2 shown]
	s_delay_alu instid0(VALU_DEP_4) | instskip(NEXT) | instid1(VALU_DEP_4)
	v_fma_f64 v[13:14], v[39:40], v[59:60], v[13:14]
	v_fma_f64 v[15:16], v[31:32], v[59:60], v[15:16]
	s_delay_alu instid0(VALU_DEP_4) | instskip(NEXT) | instid1(VALU_DEP_4)
	v_fma_f64 v[11:12], v[55:56], v[59:60], v[11:12]
	v_fma_f64 v[6:7], v[47:48], v[59:60], v[6:7]
	s_waitcnt vmcnt(0)
	s_delay_alu instid0(VALU_DEP_4) | instskip(NEXT) | instid1(VALU_DEP_4)
	v_fma_f64 v[13:14], v[33:34], v[61:62], v[13:14]
	v_fma_f64 v[15:16], v[25:26], v[61:62], v[15:16]
	s_delay_alu instid0(VALU_DEP_4) | instskip(NEXT) | instid1(VALU_DEP_4)
	v_fma_f64 v[11:12], v[49:50], v[61:62], v[11:12]
	v_fma_f64 v[6:7], v[41:42], v[61:62], v[6:7]
	s_delay_alu instid0(VALU_DEP_4) | instskip(NEXT) | instid1(VALU_DEP_4)
	v_fma_f64 v[13:14], v[35:36], v[63:64], v[13:14]
	v_fma_f64 v[15:16], v[27:28], v[63:64], v[15:16]
	s_delay_alu instid0(VALU_DEP_4) | instskip(NEXT) | instid1(VALU_DEP_4)
	v_fma_f64 v[11:12], v[51:52], v[63:64], v[11:12]
	v_fma_f64 v[6:7], v[43:44], v[63:64], v[6:7]
	s_and_not1_b32 exec_lo, exec_lo, s10
	s_cbranch_execnz .LBB5_17
; %bb.18:
	s_or_b32 exec_lo, exec_lo, s10
.LBB5_19:
	s_delay_alu instid0(SALU_CYCLE_1) | instskip(NEXT) | instid1(SALU_CYCLE_1)
	s_or_b32 exec_lo, exec_lo, s7
	s_mov_b32 s7, exec_lo
	v_cmpx_lt_u32_e32 11, v1
	s_cbranch_execz .LBB5_23
; %bb.20:
	s_mov_b32 s10, 0
.LBB5_21:                               ; =>This Inner Loop Header: Depth=1
	v_ashrrev_i32_e32 v18, 31, v17
	s_delay_alu instid0(VALU_DEP_1) | instskip(SKIP_1) | instid1(VALU_DEP_2)
	v_lshlrev_b64 v[24:25], 2, v[17:18]
	v_add_nc_u32_e32 v17, 16, v17
	v_add_co_u32 v56, vcc_lo, s8, v24
	s_delay_alu instid0(VALU_DEP_3)
	v_add_co_ci_u32_e32 v57, vcc_lo, s9, v25, vcc_lo
	global_load_b32 v1, v[56:57], off
	s_clause 0x7
	global_load_b128 v[24:27], v[19:20], off offset:48
	global_load_b128 v[28:31], v[19:20], off offset:32
	;; [unrolled: 1-line block ×3, first 2 shown]
	global_load_b128 v[36:39], v[19:20], off
	global_load_b128 v[40:43], v[19:20], off offset:112
	global_load_b128 v[44:47], v[19:20], off offset:96
	;; [unrolled: 1-line block ×4, first 2 shown]
	s_clause 0x2
	global_load_b32 v18, v[56:57], off offset:16
	global_load_b32 v126, v[56:57], off offset:32
	;; [unrolled: 1-line block ×3, first 2 shown]
	s_waitcnt vmcnt(11)
	v_subrev_nc_u32_e32 v1, s12, v1
	s_delay_alu instid0(VALU_DEP_1) | instskip(SKIP_2) | instid1(VALU_DEP_2)
	v_lshlrev_b32_e32 v56, 2, v1
	s_waitcnt vmcnt(2)
	v_subrev_nc_u32_e32 v1, s12, v18
	v_ashrrev_i32_e32 v57, 31, v56
	s_delay_alu instid0(VALU_DEP_2) | instskip(NEXT) | instid1(VALU_DEP_2)
	v_lshlrev_b32_e32 v116, 2, v1
	v_lshlrev_b64 v[56:57], 3, v[56:57]
	s_waitcnt vmcnt(1)
	v_subrev_nc_u32_e32 v1, s12, v126
	s_delay_alu instid0(VALU_DEP_3) | instskip(SKIP_1) | instid1(VALU_DEP_3)
	v_ashrrev_i32_e32 v117, 31, v116
	s_waitcnt lgkmcnt(0)
	v_add_co_u32 v68, vcc_lo, s4, v56
	v_add_co_ci_u32_e32 v69, vcc_lo, s5, v57, vcc_lo
	s_delay_alu instid0(VALU_DEP_3)
	v_lshlrev_b64 v[116:117], 3, v[116:117]
	global_load_b128 v[56:59], v[68:69], off
	s_clause 0x1
	global_load_b128 v[60:63], v[19:20], off offset:560
	global_load_b128 v[64:67], v[19:20], off offset:544
	;; [unrolled: 1-line block ×3, first 2 shown]
	s_clause 0xa
	global_load_b128 v[72:75], v[19:20], off offset:528
	global_load_b128 v[76:79], v[19:20], off offset:512
	;; [unrolled: 1-line block ×11, first 2 shown]
	v_add_co_u32 v120, vcc_lo, s4, v116
	v_add_co_ci_u32_e32 v121, vcc_lo, s5, v117, vcc_lo
	global_load_b128 v[116:119], v[120:121], off
	s_waitcnt vmcnt(15)
	v_fma_f64 v[13:14], v[36:37], v[56:57], v[13:14]
	v_fma_f64 v[11:12], v[52:53], v[56:57], v[11:12]
	;; [unrolled: 1-line block ×3, first 2 shown]
	s_delay_alu instid0(VALU_DEP_3)
	v_fma_f64 v[122:123], v[38:39], v[58:59], v[13:14]
	v_fma_f64 v[13:14], v[28:29], v[56:57], v[15:16]
	v_lshlrev_b32_e32 v28, 2, v1
	global_load_b128 v[36:39], v[19:20], off offset:1120
	v_fma_f64 v[11:12], v[54:55], v[58:59], v[11:12]
	v_fma_f64 v[6:7], v[46:47], v[58:59], v[6:7]
	v_subrev_nc_u32_e32 v1, s12, v128
	v_ashrrev_i32_e32 v29, 31, v28
	global_load_b128 v[52:55], v[19:20], off offset:1088
	v_lshlrev_b64 v[28:29], 3, v[28:29]
	s_delay_alu instid0(VALU_DEP_1) | instskip(NEXT) | instid1(VALU_DEP_2)
	v_add_co_u32 v126, vcc_lo, s4, v28
	v_add_co_ci_u32_e32 v127, vcc_lo, s5, v29, vcc_lo
	s_waitcnt vmcnt(14)
	v_fma_f64 v[32:33], v[32:33], v[68:69], v[122:123]
	v_fma_f64 v[124:125], v[30:31], v[58:59], v[13:14]
	global_load_b128 v[28:31], v[120:121], off offset:16
	global_load_b128 v[13:16], v[19:20], off offset:1104
	s_clause 0x1
	global_load_b128 v[44:47], v[126:127], off
	global_load_b128 v[56:59], v[126:127], off offset:16
	v_fma_f64 v[11:12], v[48:49], v[68:69], v[11:12]
	v_fma_f64 v[6:7], v[40:41], v[68:69], v[6:7]
	v_lshlrev_b32_e32 v40, 2, v1
	s_delay_alu instid0(VALU_DEP_1) | instskip(NEXT) | instid1(VALU_DEP_1)
	v_ashrrev_i32_e32 v41, 31, v40
	v_lshlrev_b64 v[40:41], 3, v[40:41]
	v_fma_f64 v[120:121], v[34:35], v[70:71], v[32:33]
	v_fma_f64 v[24:25], v[24:25], v[68:69], v[124:125]
	s_delay_alu instid0(VALU_DEP_3) | instskip(NEXT) | instid1(VALU_DEP_4)
	v_add_co_u32 v124, vcc_lo, s4, v40
	v_add_co_ci_u32_e32 v125, vcc_lo, s5, v41, vcc_lo
	v_fma_f64 v[11:12], v[50:51], v[70:71], v[11:12]
	v_fma_f64 v[6:7], v[42:43], v[70:71], v[6:7]
	s_clause 0x1
	global_load_b128 v[32:35], v[19:20], off offset:1536
	global_load_b128 v[48:51], v[19:20], off offset:1600
	v_cmp_ge_i32_e32 vcc_lo, v17, v22
	s_or_b32 s10, vcc_lo, s10
	s_waitcnt vmcnt(8)
	v_fma_f64 v[76:77], v[76:77], v[116:117], v[120:121]
	v_fma_f64 v[122:123], v[26:27], v[70:71], v[24:25]
	s_clause 0x1
	global_load_b128 v[24:27], v[19:20], off offset:1632
	global_load_b128 v[40:43], v[19:20], off offset:1568
	global_load_b128 v[68:71], v[124:125], off
	v_fma_f64 v[11:12], v[92:93], v[116:117], v[11:12]
	v_fma_f64 v[6:7], v[84:85], v[116:117], v[6:7]
	;; [unrolled: 1-line block ×4, first 2 shown]
	s_delay_alu instid0(VALU_DEP_4) | instskip(NEXT) | instid1(VALU_DEP_4)
	v_fma_f64 v[11:12], v[94:95], v[118:119], v[11:12]
	v_fma_f64 v[6:7], v[86:87], v[118:119], v[6:7]
	s_delay_alu instid0(VALU_DEP_3)
	v_fma_f64 v[122:123], v[66:67], v[118:119], v[64:65]
	s_clause 0x3
	global_load_b128 v[64:67], v[19:20], off offset:1584
	global_load_b128 v[76:79], v[19:20], off offset:1552
	global_load_b128 v[84:87], v[19:20], off offset:1648
	global_load_b128 v[92:95], v[19:20], off offset:1616
	global_load_b128 v[116:119], v[124:125], off offset:16
	v_add_co_u32 v19, s3, 0x800, v19
	s_delay_alu instid0(VALU_DEP_1)
	v_add_co_ci_u32_e64 v20, s3, 0, v20, s3
	s_waitcnt vmcnt(13)
	v_fma_f64 v[72:73], v[72:73], v[28:29], v[120:121]
	v_fma_f64 v[60:61], v[60:61], v[28:29], v[122:123]
	;; [unrolled: 1-line block ×4, first 2 shown]
	s_delay_alu instid0(VALU_DEP_4) | instskip(NEXT) | instid1(VALU_DEP_4)
	v_fma_f64 v[28:29], v[74:75], v[30:31], v[72:73]
	v_fma_f64 v[60:61], v[62:63], v[30:31], v[60:61]
	s_delay_alu instid0(VALU_DEP_4) | instskip(NEXT) | instid1(VALU_DEP_4)
	v_fma_f64 v[11:12], v[90:91], v[30:31], v[11:12]
	v_fma_f64 v[6:7], v[82:83], v[30:31], v[6:7]
	s_waitcnt vmcnt(11)
	s_delay_alu instid0(VALU_DEP_4) | instskip(NEXT) | instid1(VALU_DEP_4)
	v_fma_f64 v[28:29], v[108:109], v[44:45], v[28:29]
	v_fma_f64 v[30:31], v[100:101], v[44:45], v[60:61]
	s_delay_alu instid0(VALU_DEP_4) | instskip(NEXT) | instid1(VALU_DEP_4)
	v_fma_f64 v[11:12], v[52:53], v[44:45], v[11:12]
	v_fma_f64 v[6:7], v[36:37], v[44:45], v[6:7]
	s_delay_alu instid0(VALU_DEP_4) | instskip(NEXT) | instid1(VALU_DEP_4)
	v_fma_f64 v[28:29], v[110:111], v[46:47], v[28:29]
	v_fma_f64 v[30:31], v[102:103], v[46:47], v[30:31]
	s_delay_alu instid0(VALU_DEP_4) | instskip(NEXT) | instid1(VALU_DEP_4)
	v_fma_f64 v[11:12], v[54:55], v[46:47], v[11:12]
	v_fma_f64 v[6:7], v[38:39], v[46:47], v[6:7]
	s_waitcnt vmcnt(10)
	s_delay_alu instid0(VALU_DEP_4) | instskip(NEXT) | instid1(VALU_DEP_4)
	v_fma_f64 v[28:29], v[104:105], v[56:57], v[28:29]
	v_fma_f64 v[30:31], v[96:97], v[56:57], v[30:31]
	s_delay_alu instid0(VALU_DEP_4) | instskip(NEXT) | instid1(VALU_DEP_4)
	v_fma_f64 v[11:12], v[13:14], v[56:57], v[11:12]
	v_fma_f64 v[6:7], v[112:113], v[56:57], v[6:7]
	;; [unrolled: 13-line block ×4, first 2 shown]
	s_delay_alu instid0(VALU_DEP_4) | instskip(NEXT) | instid1(VALU_DEP_4)
	v_fma_f64 v[13:14], v[78:79], v[118:119], v[13:14]
	v_fma_f64 v[15:16], v[66:67], v[118:119], v[15:16]
	s_delay_alu instid0(VALU_DEP_4) | instskip(NEXT) | instid1(VALU_DEP_4)
	v_fma_f64 v[11:12], v[94:95], v[118:119], v[11:12]
	v_fma_f64 v[6:7], v[86:87], v[118:119], v[6:7]
	s_and_not1_b32 exec_lo, exec_lo, s10
	s_cbranch_execnz .LBB5_21
; %bb.22:
	s_or_b32 exec_lo, exec_lo, s10
.LBB5_23:
	s_delay_alu instid0(SALU_CYCLE_1)
	s_or_b32 exec_lo, exec_lo, s7
.LBB5_24:
	s_delay_alu instid0(SALU_CYCLE_1)
	s_or_b32 exec_lo, exec_lo, s6
	s_cbranch_execz .LBB5_26
	s_branch .LBB5_37
.LBB5_25:
                                        ; implicit-def: $vgpr6_vgpr7
                                        ; implicit-def: $vgpr11_vgpr12
                                        ; implicit-def: $vgpr15_vgpr16
                                        ; implicit-def: $vgpr13_vgpr14
.LBB5_26:
	v_mov_b32_e32 v6, 0
	v_mov_b32_e32 v7, 0
	s_delay_alu instid0(VALU_DEP_1)
	v_dual_mov_b32 v12, v7 :: v_dual_mov_b32 v11, v6
	v_dual_mov_b32 v16, v7 :: v_dual_mov_b32 v15, v6
	;; [unrolled: 1-line block ×3, first 2 shown]
	s_and_saveexec_b32 s3, s2
	s_cbranch_execz .LBB5_36
; %bb.27:
	v_add_nc_u32_e32 v1, v23, v21
	v_mov_b32_e32 v13, 0
	v_mov_b32_e32 v14, 0
	v_not_b32_e32 v6, v23
	s_delay_alu instid0(VALU_DEP_3) | instskip(SKIP_4) | instid1(VALU_DEP_2)
	v_mov_b32_e32 v11, v13
	v_subrev_nc_u32_e32 v1, s12, v1
	s_mov_b32 s7, 0
	s_mov_b32 s6, exec_lo
	v_dual_mov_b32 v16, v14 :: v_dual_mov_b32 v15, v13
	v_dual_mov_b32 v12, v14 :: v_dual_add_nc_u32 v1, 4, v1
	s_delay_alu instid0(VALU_DEP_1) | instskip(NEXT) | instid1(VALU_DEP_1)
	v_max_i32_e32 v1, v1, v22
	v_add3_u32 v1, v1, s12, v6
	v_dual_mov_b32 v6, v13 :: v_dual_mov_b32 v7, v14
	s_delay_alu instid0(VALU_DEP_2) | instskip(NEXT) | instid1(VALU_DEP_1)
	v_sub_nc_u32_e32 v17, v1, v21
	v_lshrrev_b32_e32 v1, 2, v17
	s_delay_alu instid0(VALU_DEP_1) | instskip(NEXT) | instid1(VALU_DEP_1)
	v_add_nc_u32_e32 v1, 1, v1
	v_and_b32_e32 v1, 3, v1
	s_delay_alu instid0(VALU_DEP_1)
	v_cmpx_ne_u32_e32 0, v1
	s_cbranch_execz .LBB5_31
; %bb.28:
	v_mov_b32_e32 v6, 0
	v_dual_mov_b32 v7, 0 :: v_dual_lshlrev_b32 v18, 7, v1
	s_delay_alu instid0(VALU_DEP_1)
	v_dual_mov_b32 v12, v7 :: v_dual_mov_b32 v11, v6
	v_dual_mov_b32 v16, v7 :: v_dual_mov_b32 v15, v6
	;; [unrolled: 1-line block ×3, first 2 shown]
.LBB5_29:                               ; =>This Inner Loop Header: Depth=1
	v_ashrrev_i32_e32 v1, 31, v0
	v_add_nc_u32_e32 v18, 0xffffff80, v18
	s_delay_alu instid0(VALU_DEP_2) | instskip(NEXT) | instid1(VALU_DEP_2)
	v_lshlrev_b64 v[19:20], 2, v[0:1]
	v_cmp_eq_u32_e64 s2, 0, v18
	v_add_nc_u32_e32 v0, 4, v0
	s_delay_alu instid0(VALU_DEP_2) | instskip(NEXT) | instid1(VALU_DEP_3)
	s_or_b32 s7, s2, s7
	v_add_co_u32 v19, vcc_lo, s8, v19
	s_delay_alu instid0(VALU_DEP_4) | instskip(SKIP_4) | instid1(VALU_DEP_1)
	v_add_co_ci_u32_e32 v20, vcc_lo, s9, v20, vcc_lo
	global_load_b32 v1, v[19:20], off
	global_load_b128 v[23:26], v[4:5], off offset:16
	s_waitcnt vmcnt(1)
	v_subrev_nc_u32_e32 v1, s12, v1
	v_lshlrev_b32_e32 v19, 2, v1
	s_delay_alu instid0(VALU_DEP_1) | instskip(NEXT) | instid1(VALU_DEP_1)
	v_ashrrev_i32_e32 v20, 31, v19
	v_lshlrev_b64 v[19:20], 3, v[19:20]
	s_waitcnt lgkmcnt(0)
	s_delay_alu instid0(VALU_DEP_1) | instskip(NEXT) | instid1(VALU_DEP_2)
	v_add_co_u32 v19, vcc_lo, s4, v19
	v_add_co_ci_u32_e32 v20, vcc_lo, s5, v20, vcc_lo
	global_load_b128 v[27:30], v[4:5], off
	s_clause 0x1
	global_load_b128 v[31:34], v[19:20], off
	global_load_b128 v[35:38], v[19:20], off offset:16
	s_clause 0x5
	global_load_b128 v[39:42], v[4:5], off offset:32
	global_load_b128 v[43:46], v[4:5], off offset:48
	;; [unrolled: 1-line block ×6, first 2 shown]
	v_add_co_u32 v4, vcc_lo, 0x200, v4
	v_add_co_ci_u32_e32 v5, vcc_lo, 0, v5, vcc_lo
	s_waitcnt vmcnt(7)
	v_fma_f64 v[13:14], v[27:28], v[31:32], v[13:14]
	v_fma_f64 v[15:16], v[29:30], v[31:32], v[15:16]
	;; [unrolled: 1-line block ×4, first 2 shown]
	s_waitcnt vmcnt(5)
	s_delay_alu instid0(VALU_DEP_4) | instskip(NEXT) | instid1(VALU_DEP_4)
	v_fma_f64 v[13:14], v[39:40], v[33:34], v[13:14]
	v_fma_f64 v[15:16], v[41:42], v[33:34], v[15:16]
	s_waitcnt vmcnt(4)
	s_delay_alu instid0(VALU_DEP_4) | instskip(NEXT) | instid1(VALU_DEP_4)
	v_fma_f64 v[11:12], v[43:44], v[33:34], v[11:12]
	v_fma_f64 v[6:7], v[45:46], v[33:34], v[6:7]
	;; [unrolled: 4-line block ×6, first 2 shown]
	s_and_not1_b32 exec_lo, exec_lo, s7
	s_cbranch_execnz .LBB5_29
; %bb.30:
	s_or_b32 exec_lo, exec_lo, s7
.LBB5_31:
	s_delay_alu instid0(SALU_CYCLE_1) | instskip(NEXT) | instid1(SALU_CYCLE_1)
	s_or_b32 exec_lo, exec_lo, s6
	s_mov_b32 s6, exec_lo
	v_cmpx_lt_u32_e32 11, v17
	s_cbranch_execz .LBB5_35
; %bb.32:
	s_mov_b32 s7, 0
.LBB5_33:                               ; =>This Inner Loop Header: Depth=1
	v_ashrrev_i32_e32 v1, 31, v0
	s_delay_alu instid0(VALU_DEP_1) | instskip(SKIP_1) | instid1(VALU_DEP_2)
	v_lshlrev_b64 v[17:18], 2, v[0:1]
	v_add_nc_u32_e32 v0, 16, v0
	v_add_co_u32 v23, vcc_lo, s8, v17
	s_delay_alu instid0(VALU_DEP_3)
	v_add_co_ci_u32_e32 v24, vcc_lo, s9, v18, vcc_lo
	s_clause 0x2
	global_load_b32 v1, v[23:24], off
	global_load_b32 v63, v[23:24], off offset:16
	global_load_b32 v103, v[23:24], off offset:32
	global_load_b128 v[17:20], v[4:5], off offset:16
	global_load_b32 v117, v[23:24], off offset:48
	s_waitcnt vmcnt(4)
	v_subrev_nc_u32_e32 v1, s12, v1
	s_delay_alu instid0(VALU_DEP_1) | instskip(SKIP_2) | instid1(VALU_DEP_2)
	v_lshlrev_b32_e32 v23, 2, v1
	s_waitcnt vmcnt(3)
	v_subrev_nc_u32_e32 v1, s12, v63
	v_ashrrev_i32_e32 v24, 31, v23
	s_delay_alu instid0(VALU_DEP_2) | instskip(SKIP_2) | instid1(VALU_DEP_3)
	v_lshlrev_b32_e32 v63, 2, v1
	s_waitcnt vmcnt(2)
	v_subrev_nc_u32_e32 v1, s12, v103
	v_lshlrev_b64 v[23:24], 3, v[23:24]
	s_delay_alu instid0(VALU_DEP_3) | instskip(NEXT) | instid1(VALU_DEP_3)
	v_ashrrev_i32_e32 v64, 31, v63
	v_lshlrev_b32_e32 v103, 2, v1
	s_waitcnt vmcnt(0)
	v_subrev_nc_u32_e32 v1, s12, v117
	s_delay_alu instid0(VALU_DEP_3)
	v_lshlrev_b64 v[63:64], 3, v[63:64]
	s_waitcnt lgkmcnt(0)
	v_add_co_u32 v47, vcc_lo, s4, v23
	v_add_co_ci_u32_e32 v48, vcc_lo, s5, v24, vcc_lo
	v_ashrrev_i32_e32 v104, 31, v103
	global_load_b128 v[23:26], v[4:5], off
	global_load_b128 v[27:30], v[47:48], off
	s_clause 0x3
	global_load_b128 v[31:34], v[4:5], off offset:32
	global_load_b128 v[35:38], v[4:5], off offset:48
	;; [unrolled: 1-line block ×5, first 2 shown]
	s_clause 0x2
	global_load_b128 v[51:54], v[4:5], off offset:96
	global_load_b128 v[55:58], v[4:5], off offset:112
	;; [unrolled: 1-line block ×3, first 2 shown]
	v_add_co_u32 v87, vcc_lo, s4, v63
	v_add_co_ci_u32_e32 v88, vcc_lo, s5, v64, vcc_lo
	global_load_b128 v[63:66], v[4:5], off offset:512
	global_load_b128 v[67:70], v[87:88], off
	s_clause 0x3
	global_load_b128 v[71:74], v[4:5], off offset:544
	global_load_b128 v[75:78], v[4:5], off offset:560
	;; [unrolled: 1-line block ×5, first 2 shown]
	s_clause 0x2
	global_load_b128 v[91:94], v[4:5], off offset:608
	global_load_b128 v[95:98], v[4:5], off offset:624
	global_load_b128 v[99:102], v[4:5], off offset:1040
	v_lshlrev_b64 v[103:104], 3, v[103:104]
	s_delay_alu instid0(VALU_DEP_1) | instskip(NEXT) | instid1(VALU_DEP_2)
	v_add_co_u32 v111, vcc_lo, s4, v103
	v_add_co_ci_u32_e32 v112, vcc_lo, s5, v104, vcc_lo
	global_load_b128 v[103:106], v[4:5], off offset:1024
	global_load_b128 v[107:110], v[111:112], off
	s_waitcnt vmcnt(20)
	v_fma_f64 v[23:24], v[23:24], v[27:28], v[13:14]
	v_fma_f64 v[25:26], v[25:26], v[27:28], v[15:16]
	;; [unrolled: 1-line block ×4, first 2 shown]
	s_clause 0x1
	global_load_b128 v[11:14], v[4:5], off offset:1056
	global_load_b128 v[15:18], v[4:5], off offset:1072
	s_waitcnt vmcnt(21)
	v_fma_f64 v[19:20], v[31:32], v[29:30], v[23:24]
	v_fma_f64 v[115:116], v[33:34], v[29:30], v[25:26]
	s_waitcnt vmcnt(20)
	v_fma_f64 v[35:36], v[35:36], v[29:30], v[113:114]
	v_fma_f64 v[6:7], v[37:38], v[29:30], v[6:7]
	s_clause 0x1
	global_load_b128 v[23:26], v[4:5], off offset:1088
	global_load_b128 v[27:30], v[4:5], off offset:1104
	;; [unrolled: 1-line block ×3, first 2 shown]
	s_waitcnt vmcnt(20)
	v_fma_f64 v[19:20], v[39:40], v[47:48], v[19:20]
	v_fma_f64 v[111:112], v[41:42], v[47:48], v[115:116]
	;; [unrolled: 1-line block ×4, first 2 shown]
	s_clause 0x2
	global_load_b128 v[35:38], v[4:5], off offset:1120
	global_load_b128 v[39:42], v[4:5], off offset:1136
	;; [unrolled: 1-line block ×3, first 2 shown]
	v_lshlrev_b32_e32 v47, 2, v1
	s_delay_alu instid0(VALU_DEP_1) | instskip(NEXT) | instid1(VALU_DEP_1)
	v_ashrrev_i32_e32 v48, 31, v47
	v_lshlrev_b64 v[47:48], 3, v[47:48]
	s_waitcnt vmcnt(22)
	v_fma_f64 v[19:20], v[51:52], v[49:50], v[19:20]
	v_fma_f64 v[111:112], v[53:54], v[49:50], v[111:112]
	s_waitcnt vmcnt(21)
	v_fma_f64 v[55:56], v[55:56], v[49:50], v[113:114]
	v_fma_f64 v[6:7], v[57:58], v[49:50], v[6:7]
	v_add_co_u32 v113, vcc_lo, s4, v47
	v_add_co_ci_u32_e32 v114, vcc_lo, s5, v48, vcc_lo
	global_load_b128 v[47:50], v[4:5], off offset:1536
	global_load_b128 v[51:54], v[113:114], off
	v_cmp_ge_i32_e32 vcc_lo, v0, v22
	s_or_b32 s7, vcc_lo, s7
	s_waitcnt vmcnt(20)
	v_fma_f64 v[19:20], v[63:64], v[67:68], v[19:20]
	v_fma_f64 v[63:64], v[65:66], v[67:68], v[111:112]
	;; [unrolled: 1-line block ×4, first 2 shown]
	s_clause 0x1
	global_load_b128 v[55:58], v[4:5], off offset:1568
	global_load_b128 v[59:62], v[4:5], off offset:1584
	s_waitcnt vmcnt(21)
	v_fma_f64 v[19:20], v[71:72], v[69:70], v[19:20]
	v_fma_f64 v[111:112], v[73:74], v[69:70], v[63:64]
	s_waitcnt vmcnt(20)
	v_fma_f64 v[75:76], v[75:76], v[69:70], v[65:66]
	v_fma_f64 v[6:7], v[77:78], v[69:70], v[6:7]
	s_clause 0x1
	global_load_b128 v[63:66], v[4:5], off offset:1600
	global_load_b128 v[67:70], v[4:5], off offset:1616
	;; [unrolled: 1-line block ×3, first 2 shown]
	s_waitcnt vmcnt(20)
	v_fma_f64 v[19:20], v[79:80], v[87:88], v[19:20]
	v_fma_f64 v[111:112], v[81:82], v[87:88], v[111:112]
	;; [unrolled: 1-line block ×4, first 2 shown]
	s_clause 0x1
	global_load_b128 v[75:78], v[4:5], off offset:1632
	global_load_b128 v[79:82], v[4:5], off offset:1648
	v_add_co_u32 v4, s2, 0x800, v4
	s_delay_alu instid0(VALU_DEP_1)
	v_add_co_ci_u32_e64 v5, s2, 0, v5, s2
	s_waitcnt vmcnt(21)
	v_fma_f64 v[19:20], v[91:92], v[89:90], v[19:20]
	v_fma_f64 v[85:86], v[93:94], v[89:90], v[111:112]
	s_waitcnt vmcnt(20)
	v_fma_f64 v[83:84], v[95:96], v[89:90], v[83:84]
	v_fma_f64 v[6:7], v[97:98], v[89:90], v[6:7]
	s_waitcnt vmcnt(17)
	s_delay_alu instid0(VALU_DEP_4) | instskip(NEXT) | instid1(VALU_DEP_4)
	v_fma_f64 v[19:20], v[103:104], v[107:108], v[19:20]
	v_fma_f64 v[85:86], v[105:106], v[107:108], v[85:86]
	s_delay_alu instid0(VALU_DEP_4) | instskip(NEXT) | instid1(VALU_DEP_4)
	v_fma_f64 v[83:84], v[99:100], v[107:108], v[83:84]
	v_fma_f64 v[6:7], v[101:102], v[107:108], v[6:7]
	s_waitcnt vmcnt(16)
	s_delay_alu instid0(VALU_DEP_4) | instskip(NEXT) | instid1(VALU_DEP_4)
	v_fma_f64 v[11:12], v[11:12], v[109:110], v[19:20]
	v_fma_f64 v[13:14], v[13:14], v[109:110], v[85:86]
	s_waitcnt vmcnt(15)
	s_delay_alu instid0(VALU_DEP_4) | instskip(NEXT) | instid1(VALU_DEP_4)
	v_fma_f64 v[15:16], v[15:16], v[109:110], v[83:84]
	v_fma_f64 v[6:7], v[17:18], v[109:110], v[6:7]
	s_waitcnt vmcnt(12)
	s_delay_alu instid0(VALU_DEP_4) | instskip(NEXT) | instid1(VALU_DEP_4)
	v_fma_f64 v[11:12], v[23:24], v[31:32], v[11:12]
	v_fma_f64 v[13:14], v[25:26], v[31:32], v[13:14]
	s_delay_alu instid0(VALU_DEP_4) | instskip(NEXT) | instid1(VALU_DEP_4)
	v_fma_f64 v[15:16], v[27:28], v[31:32], v[15:16]
	v_fma_f64 v[6:7], v[29:30], v[31:32], v[6:7]
	s_waitcnt vmcnt(11)
	s_delay_alu instid0(VALU_DEP_4) | instskip(NEXT) | instid1(VALU_DEP_4)
	v_fma_f64 v[11:12], v[35:36], v[33:34], v[11:12]
	v_fma_f64 v[13:14], v[37:38], v[33:34], v[13:14]
	s_waitcnt vmcnt(10)
	s_delay_alu instid0(VALU_DEP_4) | instskip(NEXT) | instid1(VALU_DEP_4)
	;; [unrolled: 15-line block ×4, first 2 shown]
	v_fma_f64 v[11:12], v[79:80], v[73:74], v[19:20]
	v_fma_f64 v[6:7], v[81:82], v[73:74], v[6:7]
	s_and_not1_b32 exec_lo, exec_lo, s7
	s_cbranch_execnz .LBB5_33
; %bb.34:
	s_or_b32 exec_lo, exec_lo, s7
.LBB5_35:
	s_delay_alu instid0(SALU_CYCLE_1)
	s_or_b32 exec_lo, exec_lo, s6
.LBB5_36:
	s_delay_alu instid0(SALU_CYCLE_1)
	s_or_b32 exec_lo, exec_lo, s3
.LBB5_37:
	v_mbcnt_lo_u32_b32 v24, -1, 0
	s_delay_alu instid0(VALU_DEP_1) | instskip(NEXT) | instid1(VALU_DEP_1)
	v_xor_b32_e32 v0, 2, v24
	v_cmp_gt_i32_e32 vcc_lo, 32, v0
	v_cndmask_b32_e32 v0, v24, v0, vcc_lo
	s_delay_alu instid0(VALU_DEP_1)
	v_lshlrev_b32_e32 v17, 2, v0
	ds_bpermute_b32 v0, v17, v13
	ds_bpermute_b32 v1, v17, v14
	;; [unrolled: 1-line block ×8, first 2 shown]
	s_waitcnt lgkmcnt(0)
	v_add_f64 v[17:18], v[13:14], v[0:1]
	v_add_f64 v[13:14], v[15:16], v[4:5]
	;; [unrolled: 1-line block ×4, first 2 shown]
	v_xor_b32_e32 v6, 1, v24
	s_delay_alu instid0(VALU_DEP_1) | instskip(SKIP_2) | instid1(VALU_DEP_2)
	v_cmp_gt_i32_e32 vcc_lo, 32, v6
	v_cndmask_b32_e32 v6, v24, v6, vcc_lo
	v_cmp_eq_u32_e32 vcc_lo, 3, v21
	v_lshlrev_b32_e32 v7, 2, v6
	ds_bpermute_b32 v19, v7, v17
	ds_bpermute_b32 v20, v7, v18
	;; [unrolled: 1-line block ×8, first 2 shown]
	s_and_b32 exec_lo, exec_lo, vcc_lo
	s_cbranch_execz .LBB5_10
; %bb.38:
	s_waitcnt lgkmcnt(6)
	v_add_f64 v[17:18], v[17:18], v[19:20]
	s_waitcnt lgkmcnt(4)
	v_add_f64 v[13:14], v[13:14], v[15:16]
	;; [unrolled: 2-line block ×4, first 2 shown]
	s_load_b64 s[0:1], s[0:1], 0x50
	v_lshlrev_b32_e32 v10, 2, v10
	s_mov_b32 s2, exec_lo
	v_mul_f64 v[4:5], v[2:3], v[17:18]
	v_mul_f64 v[6:7], v[2:3], v[13:14]
	v_mul_f64 v[0:1], v[2:3], v[0:1]
	v_mul_f64 v[2:3], v[2:3], v[11:12]
	v_cmpx_eq_f64_e32 0, v[8:9]
	s_xor_b32 s2, exec_lo, s2
	s_cbranch_execz .LBB5_40
; %bb.39:
	v_ashrrev_i32_e32 v11, 31, v10
	s_delay_alu instid0(VALU_DEP_1) | instskip(SKIP_1) | instid1(VALU_DEP_1)
	v_lshlrev_b64 v[8:9], 3, v[10:11]
                                        ; implicit-def: $vgpr10
	s_waitcnt lgkmcnt(0)
	v_add_co_u32 v8, vcc_lo, s0, v8
	s_delay_alu instid0(VALU_DEP_2)
	v_add_co_ci_u32_e32 v9, vcc_lo, s1, v9, vcc_lo
	s_clause 0x1
	global_store_b128 v[8:9], v[4:7], off
	global_store_b128 v[8:9], v[0:3], off offset:16
                                        ; implicit-def: $vgpr8_vgpr9
                                        ; implicit-def: $vgpr4_vgpr5
                                        ; implicit-def: $vgpr0_vgpr1
.LBB5_40:
	s_and_not1_saveexec_b32 s2, s2
	s_cbranch_execz .LBB5_10
; %bb.41:
	v_ashrrev_i32_e32 v11, 31, v10
	s_delay_alu instid0(VALU_DEP_1) | instskip(SKIP_1) | instid1(VALU_DEP_1)
	v_lshlrev_b64 v[10:11], 3, v[10:11]
	s_waitcnt lgkmcnt(0)
	v_add_co_u32 v18, vcc_lo, s0, v10
	s_delay_alu instid0(VALU_DEP_2)
	v_add_co_ci_u32_e32 v19, vcc_lo, s1, v11, vcc_lo
	s_clause 0x1
	global_load_b128 v[10:13], v[18:19], off
	global_load_b128 v[14:17], v[18:19], off offset:16
	s_waitcnt vmcnt(1)
	v_fma_f64 v[4:5], v[8:9], v[10:11], v[4:5]
	v_fma_f64 v[6:7], v[8:9], v[12:13], v[6:7]
	s_waitcnt vmcnt(0)
	v_fma_f64 v[0:1], v[8:9], v[14:15], v[0:1]
	v_fma_f64 v[2:3], v[8:9], v[16:17], v[2:3]
	s_clause 0x1
	global_store_b128 v[18:19], v[4:7], off
	global_store_b128 v[18:19], v[0:3], off offset:16
	s_nop 0
	s_sendmsg sendmsg(MSG_DEALLOC_VGPRS)
	s_endpgm
	.section	.rodata,"a",@progbits
	.p2align	6, 0x0
	.amdhsa_kernel _ZN9rocsparseL18bsrxmvn_4x4_kernelILj128ELj4EdiidddEEvT3_20rocsparse_direction_NS_24const_host_device_scalarIT1_EES1_PKS1_PKT2_SA_S7_PKT4_PKT5_S5_PT6_21rocsparse_index_base_b
		.amdhsa_group_segment_fixed_size 0
		.amdhsa_private_segment_fixed_size 0
		.amdhsa_kernarg_size 96
		.amdhsa_user_sgpr_count 15
		.amdhsa_user_sgpr_dispatch_ptr 0
		.amdhsa_user_sgpr_queue_ptr 0
		.amdhsa_user_sgpr_kernarg_segment_ptr 1
		.amdhsa_user_sgpr_dispatch_id 0
		.amdhsa_user_sgpr_private_segment_size 0
		.amdhsa_wavefront_size32 1
		.amdhsa_uses_dynamic_stack 0
		.amdhsa_enable_private_segment 0
		.amdhsa_system_sgpr_workgroup_id_x 1
		.amdhsa_system_sgpr_workgroup_id_y 0
		.amdhsa_system_sgpr_workgroup_id_z 0
		.amdhsa_system_sgpr_workgroup_info 0
		.amdhsa_system_vgpr_workitem_id 0
		.amdhsa_next_free_vgpr 129
		.amdhsa_next_free_sgpr 16
		.amdhsa_reserve_vcc 1
		.amdhsa_float_round_mode_32 0
		.amdhsa_float_round_mode_16_64 0
		.amdhsa_float_denorm_mode_32 3
		.amdhsa_float_denorm_mode_16_64 3
		.amdhsa_dx10_clamp 1
		.amdhsa_ieee_mode 1
		.amdhsa_fp16_overflow 0
		.amdhsa_workgroup_processor_mode 1
		.amdhsa_memory_ordered 1
		.amdhsa_forward_progress 0
		.amdhsa_shared_vgpr_count 0
		.amdhsa_exception_fp_ieee_invalid_op 0
		.amdhsa_exception_fp_denorm_src 0
		.amdhsa_exception_fp_ieee_div_zero 0
		.amdhsa_exception_fp_ieee_overflow 0
		.amdhsa_exception_fp_ieee_underflow 0
		.amdhsa_exception_fp_ieee_inexact 0
		.amdhsa_exception_int_div_zero 0
	.end_amdhsa_kernel
	.section	.text._ZN9rocsparseL18bsrxmvn_4x4_kernelILj128ELj4EdiidddEEvT3_20rocsparse_direction_NS_24const_host_device_scalarIT1_EES1_PKS1_PKT2_SA_S7_PKT4_PKT5_S5_PT6_21rocsparse_index_base_b,"axG",@progbits,_ZN9rocsparseL18bsrxmvn_4x4_kernelILj128ELj4EdiidddEEvT3_20rocsparse_direction_NS_24const_host_device_scalarIT1_EES1_PKS1_PKT2_SA_S7_PKT4_PKT5_S5_PT6_21rocsparse_index_base_b,comdat
.Lfunc_end5:
	.size	_ZN9rocsparseL18bsrxmvn_4x4_kernelILj128ELj4EdiidddEEvT3_20rocsparse_direction_NS_24const_host_device_scalarIT1_EES1_PKS1_PKT2_SA_S7_PKT4_PKT5_S5_PT6_21rocsparse_index_base_b, .Lfunc_end5-_ZN9rocsparseL18bsrxmvn_4x4_kernelILj128ELj4EdiidddEEvT3_20rocsparse_direction_NS_24const_host_device_scalarIT1_EES1_PKS1_PKT2_SA_S7_PKT4_PKT5_S5_PT6_21rocsparse_index_base_b
                                        ; -- End function
	.section	.AMDGPU.csdata,"",@progbits
; Kernel info:
; codeLenInByte = 4972
; NumSgprs: 18
; NumVgprs: 129
; ScratchSize: 0
; MemoryBound: 1
; FloatMode: 240
; IeeeMode: 1
; LDSByteSize: 0 bytes/workgroup (compile time only)
; SGPRBlocks: 2
; VGPRBlocks: 16
; NumSGPRsForWavesPerEU: 18
; NumVGPRsForWavesPerEU: 129
; Occupancy: 10
; WaveLimiterHint : 1
; COMPUTE_PGM_RSRC2:SCRATCH_EN: 0
; COMPUTE_PGM_RSRC2:USER_SGPR: 15
; COMPUTE_PGM_RSRC2:TRAP_HANDLER: 0
; COMPUTE_PGM_RSRC2:TGID_X_EN: 1
; COMPUTE_PGM_RSRC2:TGID_Y_EN: 0
; COMPUTE_PGM_RSRC2:TGID_Z_EN: 0
; COMPUTE_PGM_RSRC2:TIDIG_COMP_CNT: 0
	.section	.text._ZN9rocsparseL18bsrxmvn_4x4_kernelILj128ELj8EdiidddEEvT3_20rocsparse_direction_NS_24const_host_device_scalarIT1_EES1_PKS1_PKT2_SA_S7_PKT4_PKT5_S5_PT6_21rocsparse_index_base_b,"axG",@progbits,_ZN9rocsparseL18bsrxmvn_4x4_kernelILj128ELj8EdiidddEEvT3_20rocsparse_direction_NS_24const_host_device_scalarIT1_EES1_PKS1_PKT2_SA_S7_PKT4_PKT5_S5_PT6_21rocsparse_index_base_b,comdat
	.globl	_ZN9rocsparseL18bsrxmvn_4x4_kernelILj128ELj8EdiidddEEvT3_20rocsparse_direction_NS_24const_host_device_scalarIT1_EES1_PKS1_PKT2_SA_S7_PKT4_PKT5_S5_PT6_21rocsparse_index_base_b ; -- Begin function _ZN9rocsparseL18bsrxmvn_4x4_kernelILj128ELj8EdiidddEEvT3_20rocsparse_direction_NS_24const_host_device_scalarIT1_EES1_PKS1_PKT2_SA_S7_PKT4_PKT5_S5_PT6_21rocsparse_index_base_b
	.p2align	8
	.type	_ZN9rocsparseL18bsrxmvn_4x4_kernelILj128ELj8EdiidddEEvT3_20rocsparse_direction_NS_24const_host_device_scalarIT1_EES1_PKS1_PKT2_SA_S7_PKT4_PKT5_S5_PT6_21rocsparse_index_base_b,@function
_ZN9rocsparseL18bsrxmvn_4x4_kernelILj128ELj8EdiidddEEvT3_20rocsparse_direction_NS_24const_host_device_scalarIT1_EES1_PKS1_PKT2_SA_S7_PKT4_PKT5_S5_PT6_21rocsparse_index_base_b: ; @_ZN9rocsparseL18bsrxmvn_4x4_kernelILj128ELj8EdiidddEEvT3_20rocsparse_direction_NS_24const_host_device_scalarIT1_EES1_PKS1_PKT2_SA_S7_PKT4_PKT5_S5_PT6_21rocsparse_index_base_b
; %bb.0:
	s_clause 0x2
	s_load_b64 s[12:13], s[0:1], 0x58
	s_load_b64 s[4:5], s[0:1], 0x8
	;; [unrolled: 1-line block ×3, first 2 shown]
	s_waitcnt lgkmcnt(0)
	s_bitcmp1_b32 s13, 0
	v_dual_mov_b32 v2, s4 :: v_dual_mov_b32 v3, s5
	s_cselect_b32 s6, -1, 0
	s_delay_alu instid0(SALU_CYCLE_1)
	s_and_b32 vcc_lo, exec_lo, s6
	s_xor_b32 s6, s6, -1
	s_cbranch_vccnz .LBB6_2
; %bb.1:
	v_dual_mov_b32 v1, s4 :: v_dual_mov_b32 v2, s5
	flat_load_b64 v[2:3], v[1:2]
.LBB6_2:
	v_dual_mov_b32 v9, s3 :: v_dual_mov_b32 v8, s2
	s_and_not1_b32 vcc_lo, exec_lo, s6
	s_cbranch_vccnz .LBB6_4
; %bb.3:
	v_dual_mov_b32 v5, s3 :: v_dual_mov_b32 v4, s2
	flat_load_b64 v[8:9], v[4:5]
.LBB6_4:
	s_waitcnt vmcnt(0) lgkmcnt(0)
	v_cmp_neq_f64_e32 vcc_lo, 0, v[2:3]
	v_cmp_neq_f64_e64 s2, 1.0, v[8:9]
	s_delay_alu instid0(VALU_DEP_1) | instskip(NEXT) | instid1(SALU_CYCLE_1)
	s_or_b32 s2, vcc_lo, s2
	s_and_saveexec_b32 s3, s2
	s_cbranch_execz .LBB6_10
; %bb.5:
	s_clause 0x1
	s_load_b64 s[4:5], s[0:1], 0x18
	s_load_b64 s[2:3], s[0:1], 0x0
	v_lshrrev_b32_e32 v1, 3, v0
	s_delay_alu instid0(VALU_DEP_1)
	v_lshl_or_b32 v10, s15, 4, v1
	s_waitcnt lgkmcnt(0)
	s_cmp_lg_u64 s[4:5], 0
	s_cbranch_scc0 .LBB6_11
; %bb.6:
	s_load_b32 s6, s[0:1], 0x10
	s_mov_b32 s7, 0
                                        ; implicit-def: $vgpr1
	s_waitcnt lgkmcnt(0)
	v_cmp_gt_i32_e32 vcc_lo, s6, v10
	s_mov_b32 s6, 0
	s_and_saveexec_b32 s8, vcc_lo
	s_delay_alu instid0(SALU_CYCLE_1)
	s_xor_b32 s8, exec_lo, s8
	s_cbranch_execz .LBB6_8
; %bb.7:
	v_ashrrev_i32_e32 v11, 31, v10
	s_mov_b32 s6, exec_lo
	s_delay_alu instid0(VALU_DEP_1) | instskip(NEXT) | instid1(VALU_DEP_1)
	v_lshlrev_b64 v[4:5], 2, v[10:11]
	v_add_co_u32 v4, vcc_lo, s4, v4
	s_delay_alu instid0(VALU_DEP_2)
	v_add_co_ci_u32_e32 v5, vcc_lo, s5, v5, vcc_lo
	global_load_b32 v1, v[4:5], off
	s_waitcnt vmcnt(0)
	v_subrev_nc_u32_e32 v1, s12, v1
.LBB6_8:
	s_or_b32 exec_lo, exec_lo, s8
	s_delay_alu instid0(SALU_CYCLE_1)
	s_and_b32 vcc_lo, exec_lo, s7
	s_cbranch_vccz .LBB6_12
.LBB6_9:
	v_cmp_gt_i32_e32 vcc_lo, s2, v10
	s_and_not1_b32 s2, s6, exec_lo
	s_and_b32 s4, vcc_lo, exec_lo
	s_delay_alu instid0(SALU_CYCLE_1) | instskip(NEXT) | instid1(SALU_CYCLE_1)
	s_or_b32 s6, s2, s4
	s_and_b32 exec_lo, exec_lo, s6
	s_cbranch_execnz .LBB6_13
.LBB6_10:
	s_nop 0
	s_sendmsg sendmsg(MSG_DEALLOC_VGPRS)
	s_endpgm
.LBB6_11:
	s_mov_b32 s6, 0
                                        ; implicit-def: $vgpr1
	s_cbranch_execnz .LBB6_9
.LBB6_12:
	s_delay_alu instid0(VALU_DEP_1)
	v_mov_b32_e32 v10, v1
	s_and_b32 exec_lo, exec_lo, s6
	s_cbranch_execz .LBB6_10
.LBB6_13:
	s_load_b256 s[4:11], s[0:1], 0x20
	s_delay_alu instid0(VALU_DEP_1) | instskip(SKIP_1) | instid1(VALU_DEP_2)
	v_ashrrev_i32_e32 v11, 31, v10
	v_and_b32_e32 v21, 7, v0
	v_lshlrev_b64 v[4:5], 2, v[10:11]
	s_waitcnt lgkmcnt(0)
	s_delay_alu instid0(VALU_DEP_1) | instskip(NEXT) | instid1(VALU_DEP_2)
	v_add_co_u32 v6, vcc_lo, s4, v4
	v_add_co_ci_u32_e32 v7, vcc_lo, s5, v5, vcc_lo
	v_add_co_u32 v1, vcc_lo, s6, v4
	v_add_co_ci_u32_e32 v4, vcc_lo, s7, v5, vcc_lo
	global_load_b32 v23, v[6:7], off
	v_add_co_u32 v6, vcc_lo, v6, 4
	v_add_co_ci_u32_e32 v5, vcc_lo, 0, v7, vcc_lo
	s_cmp_eq_u64 s[6:7], 0
	s_load_b64 s[4:5], s[0:1], 0x40
	s_cselect_b32 vcc_lo, -1, 0
	s_cmp_eq_u32 s3, 1
	v_dual_cndmask_b32 v5, v4, v5 :: v_dual_cndmask_b32 v4, v1, v6
	global_load_b32 v6, v[4:5], off
	s_waitcnt vmcnt(1)
	v_subrev_nc_u32_e32 v0, s12, v23
	s_delay_alu instid0(VALU_DEP_1) | instskip(NEXT) | instid1(VALU_DEP_1)
	v_add_nc_u32_e32 v0, v0, v21
	v_ashrrev_i32_e32 v1, 31, v0
	s_waitcnt vmcnt(0)
	v_subrev_nc_u32_e32 v22, s12, v6
	s_delay_alu instid0(VALU_DEP_2) | instskip(NEXT) | instid1(VALU_DEP_2)
	v_lshlrev_b64 v[4:5], 7, v[0:1]
	v_cmp_lt_i32_e64 s2, v0, v22
	s_delay_alu instid0(VALU_DEP_2) | instskip(NEXT) | instid1(VALU_DEP_3)
	v_add_co_u32 v4, vcc_lo, s10, v4
	v_add_co_ci_u32_e32 v5, vcc_lo, s11, v5, vcc_lo
	s_cbranch_scc1 .LBB6_25
; %bb.14:
	v_mov_b32_e32 v6, 0
	v_mov_b32_e32 v7, 0
	s_delay_alu instid0(VALU_DEP_1)
	v_dual_mov_b32 v12, v7 :: v_dual_mov_b32 v11, v6
	v_dual_mov_b32 v16, v7 :: v_dual_mov_b32 v15, v6
	;; [unrolled: 1-line block ×3, first 2 shown]
	s_and_saveexec_b32 s6, s2
	s_cbranch_execz .LBB6_24
; %bb.15:
	v_add_nc_u32_e32 v1, v23, v21
	v_mov_b32_e32 v13, 0
	v_mov_b32_e32 v14, 0
	v_not_b32_e32 v6, v23
	s_delay_alu instid0(VALU_DEP_3) | instskip(SKIP_4) | instid1(VALU_DEP_2)
	v_mov_b32_e32 v11, v13
	v_subrev_nc_u32_e32 v1, s12, v1
	v_dual_mov_b32 v20, v5 :: v_dual_mov_b32 v19, v4
	s_mov_b32 s10, 0
	s_mov_b32 s7, exec_lo
	v_dual_mov_b32 v16, v14 :: v_dual_add_nc_u32 v1, 8, v1
	v_dual_mov_b32 v15, v13 :: v_dual_mov_b32 v12, v14
	v_mov_b32_e32 v17, v0
	s_delay_alu instid0(VALU_DEP_3) | instskip(NEXT) | instid1(VALU_DEP_1)
	v_max_i32_e32 v1, v1, v22
	v_add3_u32 v1, v1, s12, v6
	s_delay_alu instid0(VALU_DEP_1) | instskip(NEXT) | instid1(VALU_DEP_1)
	v_sub_nc_u32_e32 v1, v1, v21
	v_lshrrev_b32_e32 v6, 3, v1
	s_delay_alu instid0(VALU_DEP_1) | instskip(NEXT) | instid1(VALU_DEP_1)
	v_add_nc_u32_e32 v6, 1, v6
	v_and_b32_e32 v18, 3, v6
	v_dual_mov_b32 v6, v13 :: v_dual_mov_b32 v7, v14
	s_delay_alu instid0(VALU_DEP_2)
	v_cmpx_ne_u32_e32 0, v18
	s_cbranch_execz .LBB6_19
; %bb.16:
	v_mov_b32_e32 v6, 0
	v_dual_mov_b32 v7, 0 :: v_dual_lshlrev_b32 v24, 7, v18
	v_dual_mov_b32 v20, v5 :: v_dual_mov_b32 v17, v0
	s_delay_alu instid0(VALU_DEP_2) | instskip(NEXT) | instid1(VALU_DEP_4)
	v_dual_mov_b32 v19, v4 :: v_dual_mov_b32 v12, v7
	v_dual_mov_b32 v11, v6 :: v_dual_mov_b32 v16, v7
	;; [unrolled: 1-line block ×3, first 2 shown]
	v_mov_b32_e32 v13, v6
.LBB6_17:                               ; =>This Inner Loop Header: Depth=1
	v_ashrrev_i32_e32 v18, 31, v17
	v_add_nc_u32_e32 v24, 0xffffff80, v24
	s_delay_alu instid0(VALU_DEP_2) | instskip(NEXT) | instid1(VALU_DEP_2)
	v_lshlrev_b64 v[25:26], 2, v[17:18]
	v_cmp_eq_u32_e64 s3, 0, v24
	v_add_nc_u32_e32 v17, 8, v17
	s_delay_alu instid0(VALU_DEP_2) | instskip(NEXT) | instid1(VALU_DEP_3)
	s_or_b32 s10, s3, s10
	v_add_co_u32 v25, vcc_lo, s8, v25
	s_delay_alu instid0(VALU_DEP_4)
	v_add_co_ci_u32_e32 v26, vcc_lo, s9, v26, vcc_lo
	global_load_b32 v18, v[25:26], off
	s_clause 0x6
	global_load_b128 v[25:28], v[19:20], off offset:48
	global_load_b128 v[29:32], v[19:20], off offset:32
	;; [unrolled: 1-line block ×3, first 2 shown]
	global_load_b128 v[37:40], v[19:20], off
	global_load_b128 v[41:44], v[19:20], off offset:112
	global_load_b128 v[45:48], v[19:20], off offset:96
	global_load_b128 v[49:52], v[19:20], off offset:80
	s_waitcnt vmcnt(7)
	v_subrev_nc_u32_e32 v18, s12, v18
	s_delay_alu instid0(VALU_DEP_1) | instskip(NEXT) | instid1(VALU_DEP_1)
	v_lshlrev_b32_e32 v53, 2, v18
	v_ashrrev_i32_e32 v54, 31, v53
	s_delay_alu instid0(VALU_DEP_1) | instskip(SKIP_1) | instid1(VALU_DEP_1)
	v_lshlrev_b64 v[53:54], 3, v[53:54]
	s_waitcnt lgkmcnt(0)
	v_add_co_u32 v61, vcc_lo, s4, v53
	s_delay_alu instid0(VALU_DEP_2)
	v_add_co_ci_u32_e32 v62, vcc_lo, s5, v54, vcc_lo
	global_load_b128 v[53:56], v[19:20], off offset:64
	s_clause 0x1
	global_load_b128 v[57:60], v[61:62], off
	global_load_b128 v[61:64], v[61:62], off offset:16
	v_add_co_u32 v19, vcc_lo, 0x400, v19
	v_add_co_ci_u32_e32 v20, vcc_lo, 0, v20, vcc_lo
	s_waitcnt vmcnt(1)
	v_fma_f64 v[13:14], v[37:38], v[57:58], v[13:14]
	v_fma_f64 v[15:16], v[29:30], v[57:58], v[15:16]
	v_fma_f64 v[11:12], v[53:54], v[57:58], v[11:12]
	v_fma_f64 v[6:7], v[45:46], v[57:58], v[6:7]
	s_delay_alu instid0(VALU_DEP_4) | instskip(NEXT) | instid1(VALU_DEP_4)
	v_fma_f64 v[13:14], v[39:40], v[59:60], v[13:14]
	v_fma_f64 v[15:16], v[31:32], v[59:60], v[15:16]
	s_delay_alu instid0(VALU_DEP_4) | instskip(NEXT) | instid1(VALU_DEP_4)
	v_fma_f64 v[11:12], v[55:56], v[59:60], v[11:12]
	v_fma_f64 v[6:7], v[47:48], v[59:60], v[6:7]
	s_waitcnt vmcnt(0)
	s_delay_alu instid0(VALU_DEP_4) | instskip(NEXT) | instid1(VALU_DEP_4)
	v_fma_f64 v[13:14], v[33:34], v[61:62], v[13:14]
	v_fma_f64 v[15:16], v[25:26], v[61:62], v[15:16]
	s_delay_alu instid0(VALU_DEP_4) | instskip(NEXT) | instid1(VALU_DEP_4)
	v_fma_f64 v[11:12], v[49:50], v[61:62], v[11:12]
	v_fma_f64 v[6:7], v[41:42], v[61:62], v[6:7]
	;; [unrolled: 3-line block ×4, first 2 shown]
	s_and_not1_b32 exec_lo, exec_lo, s10
	s_cbranch_execnz .LBB6_17
; %bb.18:
	s_or_b32 exec_lo, exec_lo, s10
.LBB6_19:
	s_delay_alu instid0(SALU_CYCLE_1) | instskip(NEXT) | instid1(SALU_CYCLE_1)
	s_or_b32 exec_lo, exec_lo, s7
	s_mov_b32 s7, exec_lo
	v_cmpx_lt_u32_e32 23, v1
	s_cbranch_execz .LBB6_23
; %bb.20:
	s_mov_b32 s10, 0
.LBB6_21:                               ; =>This Inner Loop Header: Depth=1
	v_ashrrev_i32_e32 v18, 31, v17
	s_delay_alu instid0(VALU_DEP_1) | instskip(SKIP_1) | instid1(VALU_DEP_2)
	v_lshlrev_b64 v[24:25], 2, v[17:18]
	v_add_nc_u32_e32 v17, 32, v17
	v_add_co_u32 v56, vcc_lo, s8, v24
	s_delay_alu instid0(VALU_DEP_3)
	v_add_co_ci_u32_e32 v57, vcc_lo, s9, v25, vcc_lo
	global_load_b32 v1, v[56:57], off
	s_clause 0x7
	global_load_b128 v[24:27], v[19:20], off offset:48
	global_load_b128 v[28:31], v[19:20], off offset:32
	;; [unrolled: 1-line block ×3, first 2 shown]
	global_load_b128 v[36:39], v[19:20], off
	global_load_b128 v[40:43], v[19:20], off offset:112
	global_load_b128 v[44:47], v[19:20], off offset:96
	;; [unrolled: 1-line block ×4, first 2 shown]
	s_clause 0x2
	global_load_b32 v18, v[56:57], off offset:32
	global_load_b32 v126, v[56:57], off offset:64
	;; [unrolled: 1-line block ×3, first 2 shown]
	s_waitcnt vmcnt(11)
	v_subrev_nc_u32_e32 v1, s12, v1
	s_delay_alu instid0(VALU_DEP_1) | instskip(SKIP_2) | instid1(VALU_DEP_2)
	v_lshlrev_b32_e32 v56, 2, v1
	s_waitcnt vmcnt(2)
	v_subrev_nc_u32_e32 v1, s12, v18
	v_ashrrev_i32_e32 v57, 31, v56
	s_delay_alu instid0(VALU_DEP_2) | instskip(NEXT) | instid1(VALU_DEP_2)
	v_lshlrev_b32_e32 v116, 2, v1
	v_lshlrev_b64 v[56:57], 3, v[56:57]
	s_waitcnt vmcnt(1)
	v_subrev_nc_u32_e32 v1, s12, v126
	s_delay_alu instid0(VALU_DEP_3) | instskip(SKIP_1) | instid1(VALU_DEP_3)
	v_ashrrev_i32_e32 v117, 31, v116
	s_waitcnt lgkmcnt(0)
	v_add_co_u32 v68, vcc_lo, s4, v56
	v_add_co_ci_u32_e32 v69, vcc_lo, s5, v57, vcc_lo
	s_delay_alu instid0(VALU_DEP_3)
	v_lshlrev_b64 v[116:117], 3, v[116:117]
	global_load_b128 v[56:59], v[68:69], off
	s_clause 0x1
	global_load_b128 v[60:63], v[19:20], off offset:1072
	global_load_b128 v[64:67], v[19:20], off offset:1056
	;; [unrolled: 1-line block ×3, first 2 shown]
	s_clause 0xa
	global_load_b128 v[72:75], v[19:20], off offset:1040
	global_load_b128 v[76:79], v[19:20], off offset:1024
	;; [unrolled: 1-line block ×11, first 2 shown]
	v_add_co_u32 v120, vcc_lo, s4, v116
	v_add_co_ci_u32_e32 v121, vcc_lo, s5, v117, vcc_lo
	global_load_b128 v[116:119], v[120:121], off
	s_waitcnt vmcnt(15)
	v_fma_f64 v[13:14], v[36:37], v[56:57], v[13:14]
	v_fma_f64 v[11:12], v[52:53], v[56:57], v[11:12]
	;; [unrolled: 1-line block ×3, first 2 shown]
	s_delay_alu instid0(VALU_DEP_3)
	v_fma_f64 v[122:123], v[38:39], v[58:59], v[13:14]
	v_fma_f64 v[13:14], v[28:29], v[56:57], v[15:16]
	v_lshlrev_b32_e32 v28, 2, v1
	global_load_b128 v[36:39], v[19:20], off offset:2144
	v_fma_f64 v[11:12], v[54:55], v[58:59], v[11:12]
	v_fma_f64 v[6:7], v[46:47], v[58:59], v[6:7]
	v_subrev_nc_u32_e32 v1, s12, v128
	v_ashrrev_i32_e32 v29, 31, v28
	global_load_b128 v[52:55], v[19:20], off offset:2112
	v_lshlrev_b64 v[28:29], 3, v[28:29]
	s_delay_alu instid0(VALU_DEP_1) | instskip(NEXT) | instid1(VALU_DEP_2)
	v_add_co_u32 v126, vcc_lo, s4, v28
	v_add_co_ci_u32_e32 v127, vcc_lo, s5, v29, vcc_lo
	s_waitcnt vmcnt(14)
	v_fma_f64 v[32:33], v[32:33], v[68:69], v[122:123]
	v_fma_f64 v[124:125], v[30:31], v[58:59], v[13:14]
	global_load_b128 v[28:31], v[120:121], off offset:16
	global_load_b128 v[13:16], v[19:20], off offset:2128
	s_clause 0x1
	global_load_b128 v[44:47], v[126:127], off
	global_load_b128 v[56:59], v[126:127], off offset:16
	v_fma_f64 v[11:12], v[48:49], v[68:69], v[11:12]
	v_fma_f64 v[6:7], v[40:41], v[68:69], v[6:7]
	v_lshlrev_b32_e32 v40, 2, v1
	s_delay_alu instid0(VALU_DEP_1) | instskip(NEXT) | instid1(VALU_DEP_1)
	v_ashrrev_i32_e32 v41, 31, v40
	v_lshlrev_b64 v[40:41], 3, v[40:41]
	v_fma_f64 v[120:121], v[34:35], v[70:71], v[32:33]
	v_fma_f64 v[24:25], v[24:25], v[68:69], v[124:125]
	s_delay_alu instid0(VALU_DEP_3) | instskip(NEXT) | instid1(VALU_DEP_4)
	v_add_co_u32 v124, vcc_lo, s4, v40
	v_add_co_ci_u32_e32 v125, vcc_lo, s5, v41, vcc_lo
	v_fma_f64 v[11:12], v[50:51], v[70:71], v[11:12]
	v_fma_f64 v[6:7], v[42:43], v[70:71], v[6:7]
	s_clause 0x1
	global_load_b128 v[32:35], v[19:20], off offset:3072
	global_load_b128 v[48:51], v[19:20], off offset:3136
	v_cmp_ge_i32_e32 vcc_lo, v17, v22
	s_or_b32 s10, vcc_lo, s10
	s_waitcnt vmcnt(8)
	v_fma_f64 v[76:77], v[76:77], v[116:117], v[120:121]
	v_fma_f64 v[122:123], v[26:27], v[70:71], v[24:25]
	s_clause 0x1
	global_load_b128 v[24:27], v[19:20], off offset:3168
	global_load_b128 v[40:43], v[19:20], off offset:3104
	global_load_b128 v[68:71], v[124:125], off
	v_fma_f64 v[11:12], v[92:93], v[116:117], v[11:12]
	v_fma_f64 v[6:7], v[84:85], v[116:117], v[6:7]
	;; [unrolled: 1-line block ×4, first 2 shown]
	s_delay_alu instid0(VALU_DEP_4) | instskip(NEXT) | instid1(VALU_DEP_4)
	v_fma_f64 v[11:12], v[94:95], v[118:119], v[11:12]
	v_fma_f64 v[6:7], v[86:87], v[118:119], v[6:7]
	s_delay_alu instid0(VALU_DEP_3)
	v_fma_f64 v[122:123], v[66:67], v[118:119], v[64:65]
	s_clause 0x3
	global_load_b128 v[64:67], v[19:20], off offset:3120
	global_load_b128 v[76:79], v[19:20], off offset:3088
	;; [unrolled: 1-line block ×5, first 2 shown]
	v_add_co_u32 v19, s3, 0x1000, v19
	s_delay_alu instid0(VALU_DEP_1)
	v_add_co_ci_u32_e64 v20, s3, 0, v20, s3
	s_waitcnt vmcnt(13)
	v_fma_f64 v[72:73], v[72:73], v[28:29], v[120:121]
	v_fma_f64 v[60:61], v[60:61], v[28:29], v[122:123]
	;; [unrolled: 1-line block ×4, first 2 shown]
	s_delay_alu instid0(VALU_DEP_4) | instskip(NEXT) | instid1(VALU_DEP_4)
	v_fma_f64 v[28:29], v[74:75], v[30:31], v[72:73]
	v_fma_f64 v[60:61], v[62:63], v[30:31], v[60:61]
	s_delay_alu instid0(VALU_DEP_4) | instskip(NEXT) | instid1(VALU_DEP_4)
	v_fma_f64 v[11:12], v[90:91], v[30:31], v[11:12]
	v_fma_f64 v[6:7], v[82:83], v[30:31], v[6:7]
	s_waitcnt vmcnt(11)
	s_delay_alu instid0(VALU_DEP_4) | instskip(NEXT) | instid1(VALU_DEP_4)
	v_fma_f64 v[28:29], v[108:109], v[44:45], v[28:29]
	v_fma_f64 v[30:31], v[100:101], v[44:45], v[60:61]
	s_delay_alu instid0(VALU_DEP_4) | instskip(NEXT) | instid1(VALU_DEP_4)
	v_fma_f64 v[11:12], v[52:53], v[44:45], v[11:12]
	v_fma_f64 v[6:7], v[36:37], v[44:45], v[6:7]
	s_delay_alu instid0(VALU_DEP_4) | instskip(NEXT) | instid1(VALU_DEP_4)
	v_fma_f64 v[28:29], v[110:111], v[46:47], v[28:29]
	v_fma_f64 v[30:31], v[102:103], v[46:47], v[30:31]
	s_delay_alu instid0(VALU_DEP_4) | instskip(NEXT) | instid1(VALU_DEP_4)
	v_fma_f64 v[11:12], v[54:55], v[46:47], v[11:12]
	v_fma_f64 v[6:7], v[38:39], v[46:47], v[6:7]
	s_waitcnt vmcnt(10)
	s_delay_alu instid0(VALU_DEP_4) | instskip(NEXT) | instid1(VALU_DEP_4)
	v_fma_f64 v[28:29], v[104:105], v[56:57], v[28:29]
	v_fma_f64 v[30:31], v[96:97], v[56:57], v[30:31]
	s_delay_alu instid0(VALU_DEP_4) | instskip(NEXT) | instid1(VALU_DEP_4)
	v_fma_f64 v[11:12], v[13:14], v[56:57], v[11:12]
	v_fma_f64 v[6:7], v[112:113], v[56:57], v[6:7]
	;; [unrolled: 13-line block ×4, first 2 shown]
	s_delay_alu instid0(VALU_DEP_4) | instskip(NEXT) | instid1(VALU_DEP_4)
	v_fma_f64 v[13:14], v[78:79], v[118:119], v[13:14]
	v_fma_f64 v[15:16], v[66:67], v[118:119], v[15:16]
	s_delay_alu instid0(VALU_DEP_4) | instskip(NEXT) | instid1(VALU_DEP_4)
	v_fma_f64 v[11:12], v[94:95], v[118:119], v[11:12]
	v_fma_f64 v[6:7], v[86:87], v[118:119], v[6:7]
	s_and_not1_b32 exec_lo, exec_lo, s10
	s_cbranch_execnz .LBB6_21
; %bb.22:
	s_or_b32 exec_lo, exec_lo, s10
.LBB6_23:
	s_delay_alu instid0(SALU_CYCLE_1)
	s_or_b32 exec_lo, exec_lo, s7
.LBB6_24:
	s_delay_alu instid0(SALU_CYCLE_1)
	s_or_b32 exec_lo, exec_lo, s6
	s_cbranch_execz .LBB6_26
	s_branch .LBB6_37
.LBB6_25:
                                        ; implicit-def: $vgpr6_vgpr7
                                        ; implicit-def: $vgpr11_vgpr12
                                        ; implicit-def: $vgpr15_vgpr16
                                        ; implicit-def: $vgpr13_vgpr14
.LBB6_26:
	v_mov_b32_e32 v6, 0
	v_mov_b32_e32 v7, 0
	s_delay_alu instid0(VALU_DEP_1)
	v_dual_mov_b32 v12, v7 :: v_dual_mov_b32 v11, v6
	v_dual_mov_b32 v16, v7 :: v_dual_mov_b32 v15, v6
	;; [unrolled: 1-line block ×3, first 2 shown]
	s_and_saveexec_b32 s3, s2
	s_cbranch_execz .LBB6_36
; %bb.27:
	v_add_nc_u32_e32 v1, v23, v21
	v_mov_b32_e32 v13, 0
	v_mov_b32_e32 v14, 0
	v_not_b32_e32 v6, v23
	s_delay_alu instid0(VALU_DEP_3) | instskip(SKIP_4) | instid1(VALU_DEP_2)
	v_mov_b32_e32 v11, v13
	v_subrev_nc_u32_e32 v1, s12, v1
	s_mov_b32 s7, 0
	s_mov_b32 s6, exec_lo
	v_dual_mov_b32 v16, v14 :: v_dual_mov_b32 v15, v13
	v_dual_mov_b32 v12, v14 :: v_dual_add_nc_u32 v1, 8, v1
	s_delay_alu instid0(VALU_DEP_1) | instskip(NEXT) | instid1(VALU_DEP_1)
	v_max_i32_e32 v1, v1, v22
	v_add3_u32 v1, v1, s12, v6
	v_dual_mov_b32 v6, v13 :: v_dual_mov_b32 v7, v14
	s_delay_alu instid0(VALU_DEP_2) | instskip(NEXT) | instid1(VALU_DEP_1)
	v_sub_nc_u32_e32 v17, v1, v21
	v_lshrrev_b32_e32 v1, 3, v17
	s_delay_alu instid0(VALU_DEP_1) | instskip(NEXT) | instid1(VALU_DEP_1)
	v_add_nc_u32_e32 v1, 1, v1
	v_and_b32_e32 v1, 3, v1
	s_delay_alu instid0(VALU_DEP_1)
	v_cmpx_ne_u32_e32 0, v1
	s_cbranch_execz .LBB6_31
; %bb.28:
	v_mov_b32_e32 v6, 0
	v_dual_mov_b32 v7, 0 :: v_dual_lshlrev_b32 v18, 7, v1
	s_delay_alu instid0(VALU_DEP_1)
	v_dual_mov_b32 v12, v7 :: v_dual_mov_b32 v11, v6
	v_dual_mov_b32 v16, v7 :: v_dual_mov_b32 v15, v6
	;; [unrolled: 1-line block ×3, first 2 shown]
.LBB6_29:                               ; =>This Inner Loop Header: Depth=1
	v_ashrrev_i32_e32 v1, 31, v0
	v_add_nc_u32_e32 v18, 0xffffff80, v18
	s_delay_alu instid0(VALU_DEP_2) | instskip(NEXT) | instid1(VALU_DEP_2)
	v_lshlrev_b64 v[19:20], 2, v[0:1]
	v_cmp_eq_u32_e64 s2, 0, v18
	v_add_nc_u32_e32 v0, 8, v0
	s_delay_alu instid0(VALU_DEP_2) | instskip(NEXT) | instid1(VALU_DEP_3)
	s_or_b32 s7, s2, s7
	v_add_co_u32 v19, vcc_lo, s8, v19
	s_delay_alu instid0(VALU_DEP_4) | instskip(SKIP_4) | instid1(VALU_DEP_1)
	v_add_co_ci_u32_e32 v20, vcc_lo, s9, v20, vcc_lo
	global_load_b32 v1, v[19:20], off
	global_load_b128 v[23:26], v[4:5], off offset:16
	s_waitcnt vmcnt(1)
	v_subrev_nc_u32_e32 v1, s12, v1
	v_lshlrev_b32_e32 v19, 2, v1
	s_delay_alu instid0(VALU_DEP_1) | instskip(NEXT) | instid1(VALU_DEP_1)
	v_ashrrev_i32_e32 v20, 31, v19
	v_lshlrev_b64 v[19:20], 3, v[19:20]
	s_waitcnt lgkmcnt(0)
	s_delay_alu instid0(VALU_DEP_1) | instskip(NEXT) | instid1(VALU_DEP_2)
	v_add_co_u32 v19, vcc_lo, s4, v19
	v_add_co_ci_u32_e32 v20, vcc_lo, s5, v20, vcc_lo
	global_load_b128 v[27:30], v[4:5], off
	s_clause 0x1
	global_load_b128 v[31:34], v[19:20], off
	global_load_b128 v[35:38], v[19:20], off offset:16
	s_clause 0x5
	global_load_b128 v[39:42], v[4:5], off offset:32
	global_load_b128 v[43:46], v[4:5], off offset:48
	;; [unrolled: 1-line block ×6, first 2 shown]
	v_add_co_u32 v4, vcc_lo, 0x400, v4
	v_add_co_ci_u32_e32 v5, vcc_lo, 0, v5, vcc_lo
	s_waitcnt vmcnt(7)
	v_fma_f64 v[13:14], v[27:28], v[31:32], v[13:14]
	v_fma_f64 v[15:16], v[29:30], v[31:32], v[15:16]
	;; [unrolled: 1-line block ×4, first 2 shown]
	s_waitcnt vmcnt(5)
	s_delay_alu instid0(VALU_DEP_4) | instskip(NEXT) | instid1(VALU_DEP_4)
	v_fma_f64 v[13:14], v[39:40], v[33:34], v[13:14]
	v_fma_f64 v[15:16], v[41:42], v[33:34], v[15:16]
	s_waitcnt vmcnt(4)
	s_delay_alu instid0(VALU_DEP_4) | instskip(NEXT) | instid1(VALU_DEP_4)
	v_fma_f64 v[11:12], v[43:44], v[33:34], v[11:12]
	v_fma_f64 v[6:7], v[45:46], v[33:34], v[6:7]
	;; [unrolled: 4-line block ×6, first 2 shown]
	s_and_not1_b32 exec_lo, exec_lo, s7
	s_cbranch_execnz .LBB6_29
; %bb.30:
	s_or_b32 exec_lo, exec_lo, s7
.LBB6_31:
	s_delay_alu instid0(SALU_CYCLE_1) | instskip(NEXT) | instid1(SALU_CYCLE_1)
	s_or_b32 exec_lo, exec_lo, s6
	s_mov_b32 s6, exec_lo
	v_cmpx_lt_u32_e32 23, v17
	s_cbranch_execz .LBB6_35
; %bb.32:
	s_mov_b32 s7, 0
.LBB6_33:                               ; =>This Inner Loop Header: Depth=1
	v_ashrrev_i32_e32 v1, 31, v0
	s_delay_alu instid0(VALU_DEP_1) | instskip(SKIP_1) | instid1(VALU_DEP_2)
	v_lshlrev_b64 v[17:18], 2, v[0:1]
	v_add_nc_u32_e32 v0, 32, v0
	v_add_co_u32 v23, vcc_lo, s8, v17
	s_delay_alu instid0(VALU_DEP_3)
	v_add_co_ci_u32_e32 v24, vcc_lo, s9, v18, vcc_lo
	s_clause 0x2
	global_load_b32 v1, v[23:24], off
	global_load_b32 v63, v[23:24], off offset:32
	global_load_b32 v103, v[23:24], off offset:64
	global_load_b128 v[17:20], v[4:5], off offset:16
	global_load_b32 v117, v[23:24], off offset:96
	s_waitcnt vmcnt(4)
	v_subrev_nc_u32_e32 v1, s12, v1
	s_delay_alu instid0(VALU_DEP_1) | instskip(SKIP_2) | instid1(VALU_DEP_2)
	v_lshlrev_b32_e32 v23, 2, v1
	s_waitcnt vmcnt(3)
	v_subrev_nc_u32_e32 v1, s12, v63
	v_ashrrev_i32_e32 v24, 31, v23
	s_delay_alu instid0(VALU_DEP_2) | instskip(SKIP_2) | instid1(VALU_DEP_3)
	v_lshlrev_b32_e32 v63, 2, v1
	s_waitcnt vmcnt(2)
	v_subrev_nc_u32_e32 v1, s12, v103
	v_lshlrev_b64 v[23:24], 3, v[23:24]
	s_delay_alu instid0(VALU_DEP_3) | instskip(NEXT) | instid1(VALU_DEP_3)
	v_ashrrev_i32_e32 v64, 31, v63
	v_lshlrev_b32_e32 v103, 2, v1
	s_waitcnt vmcnt(0)
	v_subrev_nc_u32_e32 v1, s12, v117
	s_delay_alu instid0(VALU_DEP_3)
	v_lshlrev_b64 v[63:64], 3, v[63:64]
	s_waitcnt lgkmcnt(0)
	v_add_co_u32 v47, vcc_lo, s4, v23
	v_add_co_ci_u32_e32 v48, vcc_lo, s5, v24, vcc_lo
	v_ashrrev_i32_e32 v104, 31, v103
	global_load_b128 v[23:26], v[4:5], off
	global_load_b128 v[27:30], v[47:48], off
	s_clause 0x3
	global_load_b128 v[31:34], v[4:5], off offset:32
	global_load_b128 v[35:38], v[4:5], off offset:48
	;; [unrolled: 1-line block ×5, first 2 shown]
	s_clause 0x2
	global_load_b128 v[51:54], v[4:5], off offset:96
	global_load_b128 v[55:58], v[4:5], off offset:112
	;; [unrolled: 1-line block ×3, first 2 shown]
	v_add_co_u32 v87, vcc_lo, s4, v63
	v_add_co_ci_u32_e32 v88, vcc_lo, s5, v64, vcc_lo
	global_load_b128 v[63:66], v[4:5], off offset:1024
	global_load_b128 v[67:70], v[87:88], off
	s_clause 0x3
	global_load_b128 v[71:74], v[4:5], off offset:1056
	global_load_b128 v[75:78], v[4:5], off offset:1072
	;; [unrolled: 1-line block ×5, first 2 shown]
	s_clause 0x2
	global_load_b128 v[91:94], v[4:5], off offset:1120
	global_load_b128 v[95:98], v[4:5], off offset:1136
	;; [unrolled: 1-line block ×3, first 2 shown]
	v_lshlrev_b64 v[103:104], 3, v[103:104]
	s_delay_alu instid0(VALU_DEP_1) | instskip(NEXT) | instid1(VALU_DEP_2)
	v_add_co_u32 v111, vcc_lo, s4, v103
	v_add_co_ci_u32_e32 v112, vcc_lo, s5, v104, vcc_lo
	global_load_b128 v[103:106], v[4:5], off offset:2048
	global_load_b128 v[107:110], v[111:112], off
	s_waitcnt vmcnt(20)
	v_fma_f64 v[23:24], v[23:24], v[27:28], v[13:14]
	v_fma_f64 v[25:26], v[25:26], v[27:28], v[15:16]
	;; [unrolled: 1-line block ×4, first 2 shown]
	s_clause 0x1
	global_load_b128 v[11:14], v[4:5], off offset:2080
	global_load_b128 v[15:18], v[4:5], off offset:2096
	s_waitcnt vmcnt(21)
	v_fma_f64 v[19:20], v[31:32], v[29:30], v[23:24]
	v_fma_f64 v[115:116], v[33:34], v[29:30], v[25:26]
	s_waitcnt vmcnt(20)
	v_fma_f64 v[35:36], v[35:36], v[29:30], v[113:114]
	v_fma_f64 v[6:7], v[37:38], v[29:30], v[6:7]
	s_clause 0x1
	global_load_b128 v[23:26], v[4:5], off offset:2112
	global_load_b128 v[27:30], v[4:5], off offset:2128
	;; [unrolled: 1-line block ×3, first 2 shown]
	s_waitcnt vmcnt(20)
	v_fma_f64 v[19:20], v[39:40], v[47:48], v[19:20]
	v_fma_f64 v[111:112], v[41:42], v[47:48], v[115:116]
	;; [unrolled: 1-line block ×4, first 2 shown]
	s_clause 0x2
	global_load_b128 v[35:38], v[4:5], off offset:2144
	global_load_b128 v[39:42], v[4:5], off offset:2160
	;; [unrolled: 1-line block ×3, first 2 shown]
	v_lshlrev_b32_e32 v47, 2, v1
	s_delay_alu instid0(VALU_DEP_1) | instskip(NEXT) | instid1(VALU_DEP_1)
	v_ashrrev_i32_e32 v48, 31, v47
	v_lshlrev_b64 v[47:48], 3, v[47:48]
	s_waitcnt vmcnt(22)
	v_fma_f64 v[19:20], v[51:52], v[49:50], v[19:20]
	v_fma_f64 v[111:112], v[53:54], v[49:50], v[111:112]
	s_waitcnt vmcnt(21)
	v_fma_f64 v[55:56], v[55:56], v[49:50], v[113:114]
	v_fma_f64 v[6:7], v[57:58], v[49:50], v[6:7]
	v_add_co_u32 v113, vcc_lo, s4, v47
	v_add_co_ci_u32_e32 v114, vcc_lo, s5, v48, vcc_lo
	global_load_b128 v[47:50], v[4:5], off offset:3072
	global_load_b128 v[51:54], v[113:114], off
	v_cmp_ge_i32_e32 vcc_lo, v0, v22
	s_or_b32 s7, vcc_lo, s7
	s_waitcnt vmcnt(20)
	v_fma_f64 v[19:20], v[63:64], v[67:68], v[19:20]
	v_fma_f64 v[63:64], v[65:66], v[67:68], v[111:112]
	;; [unrolled: 1-line block ×4, first 2 shown]
	s_clause 0x1
	global_load_b128 v[55:58], v[4:5], off offset:3104
	global_load_b128 v[59:62], v[4:5], off offset:3120
	s_waitcnt vmcnt(21)
	v_fma_f64 v[19:20], v[71:72], v[69:70], v[19:20]
	v_fma_f64 v[111:112], v[73:74], v[69:70], v[63:64]
	s_waitcnt vmcnt(20)
	v_fma_f64 v[75:76], v[75:76], v[69:70], v[65:66]
	v_fma_f64 v[6:7], v[77:78], v[69:70], v[6:7]
	s_clause 0x1
	global_load_b128 v[63:66], v[4:5], off offset:3136
	global_load_b128 v[67:70], v[4:5], off offset:3152
	;; [unrolled: 1-line block ×3, first 2 shown]
	s_waitcnt vmcnt(20)
	v_fma_f64 v[19:20], v[79:80], v[87:88], v[19:20]
	v_fma_f64 v[111:112], v[81:82], v[87:88], v[111:112]
	;; [unrolled: 1-line block ×4, first 2 shown]
	s_clause 0x1
	global_load_b128 v[75:78], v[4:5], off offset:3168
	global_load_b128 v[79:82], v[4:5], off offset:3184
	v_add_co_u32 v4, s2, 0x1000, v4
	s_delay_alu instid0(VALU_DEP_1)
	v_add_co_ci_u32_e64 v5, s2, 0, v5, s2
	s_waitcnt vmcnt(21)
	v_fma_f64 v[19:20], v[91:92], v[89:90], v[19:20]
	v_fma_f64 v[85:86], v[93:94], v[89:90], v[111:112]
	s_waitcnt vmcnt(20)
	v_fma_f64 v[83:84], v[95:96], v[89:90], v[83:84]
	v_fma_f64 v[6:7], v[97:98], v[89:90], v[6:7]
	s_waitcnt vmcnt(17)
	s_delay_alu instid0(VALU_DEP_4) | instskip(NEXT) | instid1(VALU_DEP_4)
	v_fma_f64 v[19:20], v[103:104], v[107:108], v[19:20]
	v_fma_f64 v[85:86], v[105:106], v[107:108], v[85:86]
	s_delay_alu instid0(VALU_DEP_4) | instskip(NEXT) | instid1(VALU_DEP_4)
	v_fma_f64 v[83:84], v[99:100], v[107:108], v[83:84]
	v_fma_f64 v[6:7], v[101:102], v[107:108], v[6:7]
	s_waitcnt vmcnt(16)
	s_delay_alu instid0(VALU_DEP_4) | instskip(NEXT) | instid1(VALU_DEP_4)
	v_fma_f64 v[11:12], v[11:12], v[109:110], v[19:20]
	v_fma_f64 v[13:14], v[13:14], v[109:110], v[85:86]
	s_waitcnt vmcnt(15)
	s_delay_alu instid0(VALU_DEP_4) | instskip(NEXT) | instid1(VALU_DEP_4)
	v_fma_f64 v[15:16], v[15:16], v[109:110], v[83:84]
	v_fma_f64 v[6:7], v[17:18], v[109:110], v[6:7]
	s_waitcnt vmcnt(12)
	s_delay_alu instid0(VALU_DEP_4) | instskip(NEXT) | instid1(VALU_DEP_4)
	v_fma_f64 v[11:12], v[23:24], v[31:32], v[11:12]
	v_fma_f64 v[13:14], v[25:26], v[31:32], v[13:14]
	s_delay_alu instid0(VALU_DEP_4) | instskip(NEXT) | instid1(VALU_DEP_4)
	v_fma_f64 v[15:16], v[27:28], v[31:32], v[15:16]
	v_fma_f64 v[6:7], v[29:30], v[31:32], v[6:7]
	s_waitcnt vmcnt(11)
	s_delay_alu instid0(VALU_DEP_4) | instskip(NEXT) | instid1(VALU_DEP_4)
	v_fma_f64 v[11:12], v[35:36], v[33:34], v[11:12]
	v_fma_f64 v[13:14], v[37:38], v[33:34], v[13:14]
	s_waitcnt vmcnt(10)
	s_delay_alu instid0(VALU_DEP_4) | instskip(NEXT) | instid1(VALU_DEP_4)
	;; [unrolled: 15-line block ×4, first 2 shown]
	v_fma_f64 v[11:12], v[79:80], v[73:74], v[19:20]
	v_fma_f64 v[6:7], v[81:82], v[73:74], v[6:7]
	s_and_not1_b32 exec_lo, exec_lo, s7
	s_cbranch_execnz .LBB6_33
; %bb.34:
	s_or_b32 exec_lo, exec_lo, s7
.LBB6_35:
	s_delay_alu instid0(SALU_CYCLE_1)
	s_or_b32 exec_lo, exec_lo, s6
.LBB6_36:
	s_delay_alu instid0(SALU_CYCLE_1)
	s_or_b32 exec_lo, exec_lo, s3
.LBB6_37:
	v_mbcnt_lo_u32_b32 v24, -1, 0
	s_delay_alu instid0(VALU_DEP_1) | instskip(NEXT) | instid1(VALU_DEP_1)
	v_xor_b32_e32 v0, 4, v24
	v_cmp_gt_i32_e32 vcc_lo, 32, v0
	v_cndmask_b32_e32 v0, v24, v0, vcc_lo
	s_delay_alu instid0(VALU_DEP_1)
	v_lshlrev_b32_e32 v20, 2, v0
	ds_bpermute_b32 v0, v20, v13
	ds_bpermute_b32 v1, v20, v14
	;; [unrolled: 1-line block ×8, first 2 shown]
	s_waitcnt lgkmcnt(0)
	v_add_f64 v[0:1], v[13:14], v[0:1]
	v_add_f64 v[4:5], v[15:16], v[4:5]
	;; [unrolled: 1-line block ×4, first 2 shown]
	v_xor_b32_e32 v6, 2, v24
	s_delay_alu instid0(VALU_DEP_1) | instskip(SKIP_1) | instid1(VALU_DEP_1)
	v_cmp_gt_i32_e32 vcc_lo, 32, v6
	v_cndmask_b32_e32 v6, v24, v6, vcc_lo
	v_lshlrev_b32_e32 v11, 2, v6
	ds_bpermute_b32 v6, v11, v0
	ds_bpermute_b32 v7, v11, v1
	;; [unrolled: 1-line block ×8, first 2 shown]
	s_waitcnt lgkmcnt(6)
	v_add_f64 v[11:12], v[0:1], v[6:7]
	s_waitcnt lgkmcnt(4)
	v_add_f64 v[6:7], v[4:5], v[17:18]
	;; [unrolled: 2-line block ×3, first 2 shown]
	v_xor_b32_e32 v13, 1, v24
	s_waitcnt lgkmcnt(0)
	v_add_f64 v[4:5], v[15:16], v[22:23]
	s_delay_alu instid0(VALU_DEP_2) | instskip(SKIP_2) | instid1(VALU_DEP_2)
	v_cmp_gt_i32_e32 vcc_lo, 32, v13
	v_cndmask_b32_e32 v13, v24, v13, vcc_lo
	v_cmp_eq_u32_e32 vcc_lo, 7, v21
	v_lshlrev_b32_e32 v14, 2, v13
	ds_bpermute_b32 v19, v14, v11
	ds_bpermute_b32 v20, v14, v12
	;; [unrolled: 1-line block ×8, first 2 shown]
	s_and_b32 exec_lo, exec_lo, vcc_lo
	s_cbranch_execz .LBB6_10
; %bb.38:
	s_waitcnt lgkmcnt(6)
	v_add_f64 v[11:12], v[11:12], v[19:20]
	s_waitcnt lgkmcnt(4)
	v_add_f64 v[6:7], v[6:7], v[17:18]
	;; [unrolled: 2-line block ×4, first 2 shown]
	s_load_b64 s[0:1], s[0:1], 0x50
	v_lshlrev_b32_e32 v10, 2, v10
	s_mov_b32 s2, exec_lo
	v_mul_f64 v[4:5], v[2:3], v[11:12]
	v_mul_f64 v[6:7], v[2:3], v[6:7]
	;; [unrolled: 1-line block ×4, first 2 shown]
	v_cmpx_eq_f64_e32 0, v[8:9]
	s_xor_b32 s2, exec_lo, s2
	s_cbranch_execz .LBB6_40
; %bb.39:
	v_ashrrev_i32_e32 v11, 31, v10
	s_delay_alu instid0(VALU_DEP_1) | instskip(SKIP_1) | instid1(VALU_DEP_1)
	v_lshlrev_b64 v[8:9], 3, v[10:11]
                                        ; implicit-def: $vgpr10
	s_waitcnt lgkmcnt(0)
	v_add_co_u32 v8, vcc_lo, s0, v8
	s_delay_alu instid0(VALU_DEP_2)
	v_add_co_ci_u32_e32 v9, vcc_lo, s1, v9, vcc_lo
	s_clause 0x1
	global_store_b128 v[8:9], v[4:7], off
	global_store_b128 v[8:9], v[0:3], off offset:16
                                        ; implicit-def: $vgpr8_vgpr9
                                        ; implicit-def: $vgpr4_vgpr5
                                        ; implicit-def: $vgpr0_vgpr1
.LBB6_40:
	s_and_not1_saveexec_b32 s2, s2
	s_cbranch_execz .LBB6_10
; %bb.41:
	v_ashrrev_i32_e32 v11, 31, v10
	s_delay_alu instid0(VALU_DEP_1) | instskip(SKIP_1) | instid1(VALU_DEP_1)
	v_lshlrev_b64 v[10:11], 3, v[10:11]
	s_waitcnt lgkmcnt(0)
	v_add_co_u32 v18, vcc_lo, s0, v10
	s_delay_alu instid0(VALU_DEP_2)
	v_add_co_ci_u32_e32 v19, vcc_lo, s1, v11, vcc_lo
	s_clause 0x1
	global_load_b128 v[10:13], v[18:19], off
	global_load_b128 v[14:17], v[18:19], off offset:16
	s_waitcnt vmcnt(1)
	v_fma_f64 v[4:5], v[8:9], v[10:11], v[4:5]
	v_fma_f64 v[6:7], v[8:9], v[12:13], v[6:7]
	s_waitcnt vmcnt(0)
	v_fma_f64 v[0:1], v[8:9], v[14:15], v[0:1]
	v_fma_f64 v[2:3], v[8:9], v[16:17], v[2:3]
	s_clause 0x1
	global_store_b128 v[18:19], v[4:7], off
	global_store_b128 v[18:19], v[0:3], off offset:16
	s_nop 0
	s_sendmsg sendmsg(MSG_DEALLOC_VGPRS)
	s_endpgm
	.section	.rodata,"a",@progbits
	.p2align	6, 0x0
	.amdhsa_kernel _ZN9rocsparseL18bsrxmvn_4x4_kernelILj128ELj8EdiidddEEvT3_20rocsparse_direction_NS_24const_host_device_scalarIT1_EES1_PKS1_PKT2_SA_S7_PKT4_PKT5_S5_PT6_21rocsparse_index_base_b
		.amdhsa_group_segment_fixed_size 0
		.amdhsa_private_segment_fixed_size 0
		.amdhsa_kernarg_size 96
		.amdhsa_user_sgpr_count 15
		.amdhsa_user_sgpr_dispatch_ptr 0
		.amdhsa_user_sgpr_queue_ptr 0
		.amdhsa_user_sgpr_kernarg_segment_ptr 1
		.amdhsa_user_sgpr_dispatch_id 0
		.amdhsa_user_sgpr_private_segment_size 0
		.amdhsa_wavefront_size32 1
		.amdhsa_uses_dynamic_stack 0
		.amdhsa_enable_private_segment 0
		.amdhsa_system_sgpr_workgroup_id_x 1
		.amdhsa_system_sgpr_workgroup_id_y 0
		.amdhsa_system_sgpr_workgroup_id_z 0
		.amdhsa_system_sgpr_workgroup_info 0
		.amdhsa_system_vgpr_workitem_id 0
		.amdhsa_next_free_vgpr 129
		.amdhsa_next_free_sgpr 16
		.amdhsa_reserve_vcc 1
		.amdhsa_float_round_mode_32 0
		.amdhsa_float_round_mode_16_64 0
		.amdhsa_float_denorm_mode_32 3
		.amdhsa_float_denorm_mode_16_64 3
		.amdhsa_dx10_clamp 1
		.amdhsa_ieee_mode 1
		.amdhsa_fp16_overflow 0
		.amdhsa_workgroup_processor_mode 1
		.amdhsa_memory_ordered 1
		.amdhsa_forward_progress 0
		.amdhsa_shared_vgpr_count 0
		.amdhsa_exception_fp_ieee_invalid_op 0
		.amdhsa_exception_fp_denorm_src 0
		.amdhsa_exception_fp_ieee_div_zero 0
		.amdhsa_exception_fp_ieee_overflow 0
		.amdhsa_exception_fp_ieee_underflow 0
		.amdhsa_exception_fp_ieee_inexact 0
		.amdhsa_exception_int_div_zero 0
	.end_amdhsa_kernel
	.section	.text._ZN9rocsparseL18bsrxmvn_4x4_kernelILj128ELj8EdiidddEEvT3_20rocsparse_direction_NS_24const_host_device_scalarIT1_EES1_PKS1_PKT2_SA_S7_PKT4_PKT5_S5_PT6_21rocsparse_index_base_b,"axG",@progbits,_ZN9rocsparseL18bsrxmvn_4x4_kernelILj128ELj8EdiidddEEvT3_20rocsparse_direction_NS_24const_host_device_scalarIT1_EES1_PKS1_PKT2_SA_S7_PKT4_PKT5_S5_PT6_21rocsparse_index_base_b,comdat
.Lfunc_end6:
	.size	_ZN9rocsparseL18bsrxmvn_4x4_kernelILj128ELj8EdiidddEEvT3_20rocsparse_direction_NS_24const_host_device_scalarIT1_EES1_PKS1_PKT2_SA_S7_PKT4_PKT5_S5_PT6_21rocsparse_index_base_b, .Lfunc_end6-_ZN9rocsparseL18bsrxmvn_4x4_kernelILj128ELj8EdiidddEEvT3_20rocsparse_direction_NS_24const_host_device_scalarIT1_EES1_PKS1_PKT2_SA_S7_PKT4_PKT5_S5_PT6_21rocsparse_index_base_b
                                        ; -- End function
	.section	.AMDGPU.csdata,"",@progbits
; Kernel info:
; codeLenInByte = 5104
; NumSgprs: 18
; NumVgprs: 129
; ScratchSize: 0
; MemoryBound: 1
; FloatMode: 240
; IeeeMode: 1
; LDSByteSize: 0 bytes/workgroup (compile time only)
; SGPRBlocks: 2
; VGPRBlocks: 16
; NumSGPRsForWavesPerEU: 18
; NumVGPRsForWavesPerEU: 129
; Occupancy: 10
; WaveLimiterHint : 1
; COMPUTE_PGM_RSRC2:SCRATCH_EN: 0
; COMPUTE_PGM_RSRC2:USER_SGPR: 15
; COMPUTE_PGM_RSRC2:TRAP_HANDLER: 0
; COMPUTE_PGM_RSRC2:TGID_X_EN: 1
; COMPUTE_PGM_RSRC2:TGID_Y_EN: 0
; COMPUTE_PGM_RSRC2:TGID_Z_EN: 0
; COMPUTE_PGM_RSRC2:TIDIG_COMP_CNT: 0
	.section	.text._ZN9rocsparseL18bsrxmvn_4x4_kernelILj128ELj16EdiidddEEvT3_20rocsparse_direction_NS_24const_host_device_scalarIT1_EES1_PKS1_PKT2_SA_S7_PKT4_PKT5_S5_PT6_21rocsparse_index_base_b,"axG",@progbits,_ZN9rocsparseL18bsrxmvn_4x4_kernelILj128ELj16EdiidddEEvT3_20rocsparse_direction_NS_24const_host_device_scalarIT1_EES1_PKS1_PKT2_SA_S7_PKT4_PKT5_S5_PT6_21rocsparse_index_base_b,comdat
	.globl	_ZN9rocsparseL18bsrxmvn_4x4_kernelILj128ELj16EdiidddEEvT3_20rocsparse_direction_NS_24const_host_device_scalarIT1_EES1_PKS1_PKT2_SA_S7_PKT4_PKT5_S5_PT6_21rocsparse_index_base_b ; -- Begin function _ZN9rocsparseL18bsrxmvn_4x4_kernelILj128ELj16EdiidddEEvT3_20rocsparse_direction_NS_24const_host_device_scalarIT1_EES1_PKS1_PKT2_SA_S7_PKT4_PKT5_S5_PT6_21rocsparse_index_base_b
	.p2align	8
	.type	_ZN9rocsparseL18bsrxmvn_4x4_kernelILj128ELj16EdiidddEEvT3_20rocsparse_direction_NS_24const_host_device_scalarIT1_EES1_PKS1_PKT2_SA_S7_PKT4_PKT5_S5_PT6_21rocsparse_index_base_b,@function
_ZN9rocsparseL18bsrxmvn_4x4_kernelILj128ELj16EdiidddEEvT3_20rocsparse_direction_NS_24const_host_device_scalarIT1_EES1_PKS1_PKT2_SA_S7_PKT4_PKT5_S5_PT6_21rocsparse_index_base_b: ; @_ZN9rocsparseL18bsrxmvn_4x4_kernelILj128ELj16EdiidddEEvT3_20rocsparse_direction_NS_24const_host_device_scalarIT1_EES1_PKS1_PKT2_SA_S7_PKT4_PKT5_S5_PT6_21rocsparse_index_base_b
; %bb.0:
	s_clause 0x2
	s_load_b64 s[12:13], s[0:1], 0x58
	s_load_b64 s[4:5], s[0:1], 0x8
	;; [unrolled: 1-line block ×3, first 2 shown]
	s_waitcnt lgkmcnt(0)
	s_bitcmp1_b32 s13, 0
	v_dual_mov_b32 v11, s5 :: v_dual_mov_b32 v10, s4
	s_cselect_b32 s6, -1, 0
	s_delay_alu instid0(SALU_CYCLE_1)
	s_and_b32 vcc_lo, exec_lo, s6
	s_xor_b32 s6, s6, -1
	s_cbranch_vccnz .LBB7_2
; %bb.1:
	v_dual_mov_b32 v1, s4 :: v_dual_mov_b32 v2, s5
	flat_load_b64 v[10:11], v[1:2]
.LBB7_2:
	v_dual_mov_b32 v9, s3 :: v_dual_mov_b32 v8, s2
	s_and_not1_b32 vcc_lo, exec_lo, s6
	s_cbranch_vccnz .LBB7_4
; %bb.3:
	v_dual_mov_b32 v1, s2 :: v_dual_mov_b32 v2, s3
	flat_load_b64 v[8:9], v[1:2]
.LBB7_4:
	s_waitcnt vmcnt(0) lgkmcnt(0)
	v_cmp_neq_f64_e32 vcc_lo, 0, v[10:11]
	v_cmp_neq_f64_e64 s2, 1.0, v[8:9]
	s_delay_alu instid0(VALU_DEP_1) | instskip(NEXT) | instid1(SALU_CYCLE_1)
	s_or_b32 s2, vcc_lo, s2
	s_and_saveexec_b32 s3, s2
	s_cbranch_execz .LBB7_10
; %bb.5:
	s_clause 0x1
	s_load_b64 s[4:5], s[0:1], 0x18
	s_load_b64 s[2:3], s[0:1], 0x0
	v_lshrrev_b32_e32 v1, 4, v0
	s_delay_alu instid0(VALU_DEP_1)
	v_lshl_or_b32 v12, s15, 3, v1
	s_waitcnt lgkmcnt(0)
	s_cmp_lg_u64 s[4:5], 0
	s_cbranch_scc0 .LBB7_11
; %bb.6:
	s_load_b32 s6, s[0:1], 0x10
	s_mov_b32 s7, 0
                                        ; implicit-def: $vgpr1
	s_waitcnt lgkmcnt(0)
	v_cmp_gt_i32_e32 vcc_lo, s6, v12
	s_mov_b32 s6, 0
	s_and_saveexec_b32 s8, vcc_lo
	s_delay_alu instid0(SALU_CYCLE_1)
	s_xor_b32 s8, exec_lo, s8
	s_cbranch_execz .LBB7_8
; %bb.7:
	v_ashrrev_i32_e32 v13, 31, v12
	s_mov_b32 s6, exec_lo
	s_delay_alu instid0(VALU_DEP_1) | instskip(NEXT) | instid1(VALU_DEP_1)
	v_lshlrev_b64 v[1:2], 2, v[12:13]
	v_add_co_u32 v1, vcc_lo, s4, v1
	s_delay_alu instid0(VALU_DEP_2)
	v_add_co_ci_u32_e32 v2, vcc_lo, s5, v2, vcc_lo
	global_load_b32 v1, v[1:2], off
	s_waitcnt vmcnt(0)
	v_subrev_nc_u32_e32 v1, s12, v1
.LBB7_8:
	s_or_b32 exec_lo, exec_lo, s8
	s_delay_alu instid0(SALU_CYCLE_1)
	s_and_b32 vcc_lo, exec_lo, s7
	s_cbranch_vccz .LBB7_12
.LBB7_9:
	v_cmp_gt_i32_e32 vcc_lo, s2, v12
	s_and_not1_b32 s2, s6, exec_lo
	s_and_b32 s4, vcc_lo, exec_lo
	s_delay_alu instid0(SALU_CYCLE_1) | instskip(NEXT) | instid1(SALU_CYCLE_1)
	s_or_b32 s6, s2, s4
	s_and_b32 exec_lo, exec_lo, s6
	s_cbranch_execnz .LBB7_13
.LBB7_10:
	s_nop 0
	s_sendmsg sendmsg(MSG_DEALLOC_VGPRS)
	s_endpgm
.LBB7_11:
	s_mov_b32 s6, 0
                                        ; implicit-def: $vgpr1
	s_cbranch_execnz .LBB7_9
.LBB7_12:
	s_delay_alu instid0(VALU_DEP_1)
	v_mov_b32_e32 v12, v1
	s_and_b32 exec_lo, exec_lo, s6
	s_cbranch_execz .LBB7_10
.LBB7_13:
	s_load_b256 s[4:11], s[0:1], 0x20
	s_delay_alu instid0(VALU_DEP_1) | instskip(SKIP_1) | instid1(VALU_DEP_2)
	v_ashrrev_i32_e32 v13, 31, v12
	v_and_b32_e32 v29, 15, v0
	v_lshlrev_b64 v[1:2], 2, v[12:13]
	s_waitcnt lgkmcnt(0)
	s_delay_alu instid0(VALU_DEP_1) | instskip(NEXT) | instid1(VALU_DEP_2)
	v_add_co_u32 v3, vcc_lo, s4, v1
	v_add_co_ci_u32_e32 v4, vcc_lo, s5, v2, vcc_lo
	v_add_co_u32 v1, vcc_lo, s6, v1
	v_add_co_ci_u32_e32 v2, vcc_lo, s7, v2, vcc_lo
	global_load_b32 v31, v[3:4], off
	v_add_co_u32 v3, vcc_lo, v3, 4
	v_add_co_ci_u32_e32 v4, vcc_lo, 0, v4, vcc_lo
	s_cmp_eq_u64 s[6:7], 0
	s_load_b64 s[4:5], s[0:1], 0x40
	s_cselect_b32 vcc_lo, -1, 0
	s_cmp_eq_u32 s3, 1
	v_dual_cndmask_b32 v2, v2, v4 :: v_dual_cndmask_b32 v1, v1, v3
	global_load_b32 v2, v[1:2], off
	s_waitcnt vmcnt(1)
	v_subrev_nc_u32_e32 v0, s12, v31
	s_delay_alu instid0(VALU_DEP_1) | instskip(NEXT) | instid1(VALU_DEP_1)
	v_add_nc_u32_e32 v13, v0, v29
	v_ashrrev_i32_e32 v14, 31, v13
	s_waitcnt vmcnt(0)
	v_subrev_nc_u32_e32 v30, s12, v2
	s_delay_alu instid0(VALU_DEP_2) | instskip(NEXT) | instid1(VALU_DEP_2)
	v_lshlrev_b64 v[0:1], 7, v[13:14]
	v_cmp_lt_i32_e64 s2, v13, v30
	s_delay_alu instid0(VALU_DEP_2) | instskip(NEXT) | instid1(VALU_DEP_3)
	v_add_co_u32 v15, vcc_lo, s10, v0
	v_add_co_ci_u32_e32 v16, vcc_lo, s11, v1, vcc_lo
	s_cbranch_scc1 .LBB7_25
; %bb.14:
	v_mov_b32_e32 v17, 0
	v_mov_b32_e32 v18, 0
	s_delay_alu instid0(VALU_DEP_1)
	v_dual_mov_b32 v20, v18 :: v_dual_mov_b32 v19, v17
	v_dual_mov_b32 v24, v18 :: v_dual_mov_b32 v23, v17
	;; [unrolled: 1-line block ×3, first 2 shown]
	s_and_saveexec_b32 s6, s2
	s_cbranch_execz .LBB7_24
; %bb.15:
	v_dual_mov_b32 v21, 0 :: v_dual_add_nc_u32 v0, v31, v29
	v_not_b32_e32 v1, v31
	s_mov_b32 s10, 0
	s_mov_b32 s7, exec_lo
	s_delay_alu instid0(VALU_DEP_2) | instskip(SKIP_3) | instid1(VALU_DEP_4)
	v_subrev_nc_u32_e32 v0, s12, v0
	v_dual_mov_b32 v25, v13 :: v_dual_mov_b32 v22, 0
	v_mov_b32_e32 v19, v21
	v_dual_mov_b32 v17, v21 :: v_dual_mov_b32 v28, v16
	v_dual_mov_b32 v27, v15 :: v_dual_add_nc_u32 v0, 16, v0
	s_delay_alu instid0(VALU_DEP_4) | instskip(SKIP_2) | instid1(VALU_DEP_4)
	v_mov_b32_e32 v24, v22
	v_dual_mov_b32 v18, v22 :: v_dual_mov_b32 v23, v21
	v_mov_b32_e32 v20, v22
	v_max_i32_e32 v0, v0, v30
	s_delay_alu instid0(VALU_DEP_1) | instskip(NEXT) | instid1(VALU_DEP_1)
	v_add3_u32 v0, v0, s12, v1
	v_sub_nc_u32_e32 v0, v0, v29
	s_delay_alu instid0(VALU_DEP_1) | instskip(NEXT) | instid1(VALU_DEP_1)
	v_lshrrev_b32_e32 v1, 4, v0
	v_add_nc_u32_e32 v1, 1, v1
	s_delay_alu instid0(VALU_DEP_1) | instskip(NEXT) | instid1(VALU_DEP_1)
	v_and_b32_e32 v1, 3, v1
	v_cmpx_ne_u32_e32 0, v1
	s_cbranch_execz .LBB7_19
; %bb.16:
	v_dual_mov_b32 v17, 0 :: v_dual_mov_b32 v28, v16
	v_dual_mov_b32 v18, 0 :: v_dual_lshlrev_b32 v1, 7, v1
	v_mov_b32_e32 v27, v15
	s_delay_alu instid0(VALU_DEP_2) | instskip(NEXT) | instid1(VALU_DEP_4)
	v_dual_mov_b32 v25, v13 :: v_dual_mov_b32 v24, v18
	v_dual_mov_b32 v20, v18 :: v_dual_mov_b32 v19, v17
	;; [unrolled: 1-line block ×3, first 2 shown]
	v_mov_b32_e32 v21, v17
.LBB7_17:                               ; =>This Inner Loop Header: Depth=1
	s_delay_alu instid0(VALU_DEP_4) | instskip(SKIP_1) | instid1(VALU_DEP_2)
	v_ashrrev_i32_e32 v26, 31, v25
	v_add_nc_u32_e32 v1, 0xffffff80, v1
	v_lshlrev_b64 v[2:3], 2, v[25:26]
	s_delay_alu instid0(VALU_DEP_2) | instskip(SKIP_1) | instid1(VALU_DEP_2)
	v_cmp_eq_u32_e64 s3, 0, v1
	v_add_nc_u32_e32 v25, 16, v25
	s_or_b32 s10, s3, s10
	s_delay_alu instid0(VALU_DEP_3) | instskip(NEXT) | instid1(VALU_DEP_4)
	v_add_co_u32 v2, vcc_lo, s8, v2
	v_add_co_ci_u32_e32 v3, vcc_lo, s9, v3, vcc_lo
	global_load_b32 v6, v[2:3], off
	s_clause 0x6
	global_load_b128 v[2:5], v[27:28], off offset:48
	global_load_b128 v[32:35], v[27:28], off offset:32
	global_load_b128 v[36:39], v[27:28], off offset:16
	global_load_b128 v[40:43], v[27:28], off
	global_load_b128 v[44:47], v[27:28], off offset:112
	global_load_b128 v[48:51], v[27:28], off offset:96
	;; [unrolled: 1-line block ×3, first 2 shown]
	s_waitcnt vmcnt(7)
	v_subrev_nc_u32_e32 v6, s12, v6
	s_delay_alu instid0(VALU_DEP_1) | instskip(NEXT) | instid1(VALU_DEP_1)
	v_lshlrev_b32_e32 v6, 2, v6
	v_ashrrev_i32_e32 v7, 31, v6
	s_delay_alu instid0(VALU_DEP_1) | instskip(SKIP_1) | instid1(VALU_DEP_1)
	v_lshlrev_b64 v[6:7], 3, v[6:7]
	s_waitcnt lgkmcnt(0)
	v_add_co_u32 v6, vcc_lo, s4, v6
	s_delay_alu instid0(VALU_DEP_2)
	v_add_co_ci_u32_e32 v7, vcc_lo, s5, v7, vcc_lo
	global_load_b128 v[56:59], v[27:28], off offset:64
	s_clause 0x1
	global_load_b128 v[60:63], v[6:7], off
	global_load_b128 v[64:67], v[6:7], off offset:16
	v_add_co_u32 v27, vcc_lo, 0x800, v27
	v_add_co_ci_u32_e32 v28, vcc_lo, 0, v28, vcc_lo
	s_waitcnt vmcnt(1)
	v_fma_f64 v[6:7], v[40:41], v[60:61], v[21:22]
	v_fma_f64 v[21:22], v[32:33], v[60:61], v[23:24]
	;; [unrolled: 1-line block ×4, first 2 shown]
	s_delay_alu instid0(VALU_DEP_4) | instskip(NEXT) | instid1(VALU_DEP_4)
	v_fma_f64 v[6:7], v[42:43], v[62:63], v[6:7]
	v_fma_f64 v[21:22], v[34:35], v[62:63], v[21:22]
	s_delay_alu instid0(VALU_DEP_4) | instskip(NEXT) | instid1(VALU_DEP_4)
	v_fma_f64 v[19:20], v[58:59], v[62:63], v[19:20]
	v_fma_f64 v[17:18], v[50:51], v[62:63], v[17:18]
	s_waitcnt vmcnt(0)
	s_delay_alu instid0(VALU_DEP_4) | instskip(NEXT) | instid1(VALU_DEP_4)
	v_fma_f64 v[6:7], v[36:37], v[64:65], v[6:7]
	v_fma_f64 v[2:3], v[2:3], v[64:65], v[21:22]
	s_delay_alu instid0(VALU_DEP_4) | instskip(NEXT) | instid1(VALU_DEP_4)
	v_fma_f64 v[19:20], v[52:53], v[64:65], v[19:20]
	v_fma_f64 v[17:18], v[44:45], v[64:65], v[17:18]
	;; [unrolled: 3-line block ×4, first 2 shown]
	s_and_not1_b32 exec_lo, exec_lo, s10
	s_cbranch_execnz .LBB7_17
; %bb.18:
	s_or_b32 exec_lo, exec_lo, s10
.LBB7_19:
	s_delay_alu instid0(SALU_CYCLE_1) | instskip(NEXT) | instid1(SALU_CYCLE_1)
	s_or_b32 exec_lo, exec_lo, s7
	s_mov_b32 s7, exec_lo
	v_cmpx_lt_u32_e32 47, v0
	s_cbranch_execz .LBB7_23
; %bb.20:
	s_mov_b32 s10, 0
.LBB7_21:                               ; =>This Inner Loop Header: Depth=1
	v_ashrrev_i32_e32 v26, 31, v25
	v_add_co_u32 v120, vcc_lo, 0x1000, v27
	v_add_co_ci_u32_e32 v121, vcc_lo, 0, v28, vcc_lo
	s_delay_alu instid0(VALU_DEP_3)
	v_lshlrev_b64 v[112:113], 2, v[25:26]
	s_clause 0x15
	global_load_b128 v[0:3], v[27:28], off offset:48
	global_load_b128 v[32:35], v[27:28], off offset:32
	;; [unrolled: 1-line block ×3, first 2 shown]
	global_load_b128 v[36:39], v[27:28], off
	global_load_b128 v[40:43], v[27:28], off offset:112
	global_load_b128 v[44:47], v[27:28], off offset:96
	;; [unrolled: 1-line block ×14, first 2 shown]
	global_load_b128 v[96:99], v[120:121], off
	global_load_b128 v[100:103], v[120:121], off offset:16
	global_load_b128 v[104:107], v[120:121], off offset:112
	;; [unrolled: 1-line block ×3, first 2 shown]
	v_add_nc_u32_e32 v25, 64, v25
	v_add_co_u32 v27, s3, 0x2000, v27
	v_add_co_u32 v112, vcc_lo, s8, v112
	v_add_co_ci_u32_e32 v113, vcc_lo, s9, v113, vcc_lo
	v_add_co_ci_u32_e64 v28, s3, 0, v28, s3
	s_clause 0x3
	global_load_b32 v14, v[112:113], off
	global_load_b32 v26, v[112:113], off offset:64
	global_load_b32 v128, v[112:113], off offset:128
	;; [unrolled: 1-line block ×3, first 2 shown]
	s_waitcnt vmcnt(3)
	v_subrev_nc_u32_e32 v14, s12, v14
	s_waitcnt vmcnt(2)
	v_subrev_nc_u32_e32 v26, s12, v26
	s_delay_alu instid0(VALU_DEP_2) | instskip(NEXT) | instid1(VALU_DEP_2)
	v_lshlrev_b32_e32 v112, 2, v14
	v_lshlrev_b32_e32 v114, 2, v26
	s_waitcnt vmcnt(1)
	v_subrev_nc_u32_e32 v14, s12, v128
	s_delay_alu instid0(VALU_DEP_3) | instskip(NEXT) | instid1(VALU_DEP_3)
	v_ashrrev_i32_e32 v113, 31, v112
	v_ashrrev_i32_e32 v115, 31, v114
	s_delay_alu instid0(VALU_DEP_2) | instskip(NEXT) | instid1(VALU_DEP_2)
	v_lshlrev_b64 v[112:113], 3, v[112:113]
	v_lshlrev_b64 v[114:115], 3, v[114:115]
	s_waitcnt lgkmcnt(0)
	s_delay_alu instid0(VALU_DEP_2) | instskip(NEXT) | instid1(VALU_DEP_3)
	v_add_co_u32 v116, vcc_lo, s4, v112
	v_add_co_ci_u32_e32 v117, vcc_lo, s5, v113, vcc_lo
	s_delay_alu instid0(VALU_DEP_3) | instskip(NEXT) | instid1(VALU_DEP_4)
	v_add_co_u32 v122, vcc_lo, s4, v114
	v_add_co_ci_u32_e32 v123, vcc_lo, s5, v115, vcc_lo
	s_clause 0x1
	global_load_b128 v[112:115], v[116:117], off
	global_load_b128 v[116:119], v[116:117], off offset:16
	s_waitcnt vmcnt(1)
	v_fma_f64 v[21:22], v[36:37], v[112:113], v[21:22]
	v_fma_f64 v[19:20], v[52:53], v[112:113], v[19:20]
	;; [unrolled: 1-line block ×3, first 2 shown]
	v_lshlrev_b32_e32 v44, 2, v14
	v_subrev_nc_u32_e32 v14, s12, v129
	s_delay_alu instid0(VALU_DEP_2) | instskip(NEXT) | instid1(VALU_DEP_1)
	v_ashrrev_i32_e32 v45, 31, v44
	v_lshlrev_b64 v[44:45], 3, v[44:45]
	v_fma_f64 v[124:125], v[38:39], v[114:115], v[21:22]
	v_fma_f64 v[21:22], v[32:33], v[112:113], v[23:24]
	;; [unrolled: 1-line block ×3, first 2 shown]
	s_delay_alu instid0(VALU_DEP_4)
	v_add_co_u32 v54, vcc_lo, s4, v44
	v_fma_f64 v[112:113], v[46:47], v[114:115], v[17:18]
	v_add_co_ci_u32_e32 v55, vcc_lo, s5, v45, vcc_lo
	s_clause 0x1
	global_load_b128 v[36:39], v[120:121], off offset:80
	global_load_b128 v[17:20], v[120:121], off offset:2080
	;; [unrolled: 1-line block ×3, first 2 shown]
	s_waitcnt vmcnt(3)
	v_fma_f64 v[4:5], v[4:5], v[116:117], v[124:125]
	v_fma_f64 v[126:127], v[34:35], v[114:115], v[21:22]
	global_load_b128 v[21:24], v[122:123], off
	global_load_b128 v[32:35], v[120:121], off offset:64
	v_fma_f64 v[48:49], v[48:49], v[116:117], v[52:53]
	v_fma_f64 v[40:41], v[40:41], v[116:117], v[112:113]
	;; [unrolled: 1-line block ×3, first 2 shown]
	global_load_b128 v[4:7], v[54:55], off
	v_fma_f64 v[0:1], v[0:1], v[116:117], v[126:127]
	v_lshlrev_b32_e32 v116, 2, v14
	v_fma_f64 v[124:125], v[50:51], v[118:119], v[48:49]
	v_fma_f64 v[112:113], v[42:43], v[118:119], v[40:41]
	s_delay_alu instid0(VALU_DEP_3) | instskip(NEXT) | instid1(VALU_DEP_1)
	v_ashrrev_i32_e32 v117, 31, v116
	v_lshlrev_b64 v[116:117], 3, v[116:117]
	s_delay_alu instid0(VALU_DEP_1) | instskip(NEXT) | instid1(VALU_DEP_2)
	v_add_co_u32 v116, vcc_lo, s4, v116
	v_add_co_ci_u32_e32 v117, vcc_lo, s5, v117, vcc_lo
	v_cmp_ge_i32_e32 vcc_lo, v25, v30
	s_or_b32 s10, vcc_lo, s10
	v_fma_f64 v[122:123], v[2:3], v[118:119], v[0:1]
	s_clause 0x1
	global_load_b128 v[0:3], v[120:121], off offset:2048
	global_load_b128 v[48:51], v[120:121], off offset:2144
	global_load_b128 v[52:55], v[54:55], off offset:16
	global_load_b128 v[40:43], v[120:121], off offset:2112
	s_waitcnt vmcnt(6)
	v_fma_f64 v[68:69], v[68:69], v[21:22], v[114:115]
	v_fma_f64 v[60:61], v[60:61], v[21:22], v[122:123]
	v_fma_f64 v[84:85], v[84:85], v[21:22], v[124:125]
	v_fma_f64 v[21:22], v[76:77], v[21:22], v[112:113]
	s_delay_alu instid0(VALU_DEP_4)
	v_fma_f64 v[118:119], v[70:71], v[23:24], v[68:69]
	global_load_b128 v[68:71], v[116:117], off
	v_fma_f64 v[122:123], v[62:63], v[23:24], v[60:61]
	v_fma_f64 v[124:125], v[86:87], v[23:24], v[84:85]
	;; [unrolled: 1-line block ×3, first 2 shown]
	s_clause 0x3
	global_load_b128 v[21:24], v[120:121], off offset:2096
	global_load_b128 v[60:63], v[120:121], off offset:2064
	;; [unrolled: 1-line block ×5, first 2 shown]
	v_fma_f64 v[64:65], v[64:65], v[44:45], v[118:119]
	v_fma_f64 v[56:57], v[56:57], v[44:45], v[122:123]
	;; [unrolled: 1-line block ×4, first 2 shown]
	s_delay_alu instid0(VALU_DEP_4) | instskip(NEXT) | instid1(VALU_DEP_4)
	v_fma_f64 v[64:65], v[66:67], v[46:47], v[64:65]
	v_fma_f64 v[56:57], v[58:59], v[46:47], v[56:57]
	s_delay_alu instid0(VALU_DEP_4) | instskip(NEXT) | instid1(VALU_DEP_4)
	v_fma_f64 v[58:59], v[82:83], v[46:47], v[80:81]
	v_fma_f64 v[44:45], v[74:75], v[46:47], v[44:45]
	s_waitcnt vmcnt(10)
	s_delay_alu instid0(VALU_DEP_4) | instskip(NEXT) | instid1(VALU_DEP_4)
	v_fma_f64 v[46:47], v[96:97], v[4:5], v[64:65]
	v_fma_f64 v[56:57], v[92:93], v[4:5], v[56:57]
	s_delay_alu instid0(VALU_DEP_4) | instskip(NEXT) | instid1(VALU_DEP_4)
	v_fma_f64 v[32:33], v[32:33], v[4:5], v[58:59]
	v_fma_f64 v[4:5], v[108:109], v[4:5], v[44:45]
	s_delay_alu instid0(VALU_DEP_4) | instskip(NEXT) | instid1(VALU_DEP_4)
	v_fma_f64 v[44:45], v[98:99], v[6:7], v[46:47]
	v_fma_f64 v[46:47], v[94:95], v[6:7], v[56:57]
	s_delay_alu instid0(VALU_DEP_4) | instskip(NEXT) | instid1(VALU_DEP_4)
	v_fma_f64 v[32:33], v[34:35], v[6:7], v[32:33]
	v_fma_f64 v[4:5], v[110:111], v[6:7], v[4:5]
	s_waitcnt vmcnt(7)
	s_delay_alu instid0(VALU_DEP_4) | instskip(NEXT) | instid1(VALU_DEP_4)
	v_fma_f64 v[6:7], v[100:101], v[52:53], v[44:45]
	v_fma_f64 v[34:35], v[88:89], v[52:53], v[46:47]
	s_delay_alu instid0(VALU_DEP_4) | instskip(NEXT) | instid1(VALU_DEP_4)
	v_fma_f64 v[32:33], v[36:37], v[52:53], v[32:33]
	v_fma_f64 v[4:5], v[104:105], v[52:53], v[4:5]
	;; [unrolled: 13-line block ×4, first 2 shown]
	s_delay_alu instid0(VALU_DEP_4) | instskip(NEXT) | instid1(VALU_DEP_4)
	v_fma_f64 v[21:22], v[62:63], v[114:115], v[0:1]
	v_fma_f64 v[23:24], v[23:24], v[114:115], v[2:3]
	s_delay_alu instid0(VALU_DEP_4) | instskip(NEXT) | instid1(VALU_DEP_4)
	v_fma_f64 v[19:20], v[86:87], v[114:115], v[6:7]
	v_fma_f64 v[17:18], v[78:79], v[114:115], v[4:5]
	s_and_not1_b32 exec_lo, exec_lo, s10
	s_cbranch_execnz .LBB7_21
; %bb.22:
	s_or_b32 exec_lo, exec_lo, s10
.LBB7_23:
	s_delay_alu instid0(SALU_CYCLE_1)
	s_or_b32 exec_lo, exec_lo, s7
.LBB7_24:
	s_delay_alu instid0(SALU_CYCLE_1)
	s_or_b32 exec_lo, exec_lo, s6
	s_cbranch_execz .LBB7_26
	s_branch .LBB7_37
.LBB7_25:
                                        ; implicit-def: $vgpr17_vgpr18
                                        ; implicit-def: $vgpr19_vgpr20
                                        ; implicit-def: $vgpr23_vgpr24
                                        ; implicit-def: $vgpr21_vgpr22
.LBB7_26:
	v_mov_b32_e32 v17, 0
	v_mov_b32_e32 v18, 0
	s_delay_alu instid0(VALU_DEP_1)
	v_dual_mov_b32 v20, v18 :: v_dual_mov_b32 v19, v17
	v_dual_mov_b32 v24, v18 :: v_dual_mov_b32 v23, v17
	;; [unrolled: 1-line block ×3, first 2 shown]
	s_and_saveexec_b32 s3, s2
	s_cbranch_execz .LBB7_36
; %bb.27:
	v_dual_mov_b32 v21, 0 :: v_dual_add_nc_u32 v0, v31, v29
	v_mov_b32_e32 v22, 0
	v_not_b32_e32 v1, v31
	s_mov_b32 s7, 0
	s_delay_alu instid0(VALU_DEP_3) | instskip(NEXT) | instid1(VALU_DEP_3)
	v_subrev_nc_u32_e32 v0, s12, v0
	v_dual_mov_b32 v19, v21 :: v_dual_mov_b32 v24, v22
	s_mov_b32 s6, exec_lo
	s_delay_alu instid0(VALU_DEP_2) | instskip(SKIP_1) | instid1(VALU_DEP_2)
	v_dual_mov_b32 v23, v21 :: v_dual_add_nc_u32 v0, 16, v0
	v_mov_b32_e32 v20, v22
	v_max_i32_e32 v0, v0, v30
	s_delay_alu instid0(VALU_DEP_1) | instskip(NEXT) | instid1(VALU_DEP_1)
	v_add3_u32 v0, v0, s12, v1
	v_sub_nc_u32_e32 v0, v0, v29
	s_delay_alu instid0(VALU_DEP_1) | instskip(NEXT) | instid1(VALU_DEP_1)
	v_lshrrev_b32_e32 v1, 4, v0
	v_add_nc_u32_e32 v1, 1, v1
	s_delay_alu instid0(VALU_DEP_1) | instskip(SKIP_1) | instid1(VALU_DEP_2)
	v_and_b32_e32 v1, 3, v1
	v_dual_mov_b32 v17, v21 :: v_dual_mov_b32 v18, v22
	v_cmpx_ne_u32_e32 0, v1
	s_cbranch_execz .LBB7_31
; %bb.28:
	v_mov_b32_e32 v17, 0
	v_dual_mov_b32 v18, 0 :: v_dual_lshlrev_b32 v1, 7, v1
	s_delay_alu instid0(VALU_DEP_1)
	v_dual_mov_b32 v20, v18 :: v_dual_mov_b32 v19, v17
	v_dual_mov_b32 v24, v18 :: v_dual_mov_b32 v23, v17
	;; [unrolled: 1-line block ×3, first 2 shown]
.LBB7_29:                               ; =>This Inner Loop Header: Depth=1
	v_ashrrev_i32_e32 v14, 31, v13
	v_add_nc_u32_e32 v1, 0xffffff80, v1
	s_delay_alu instid0(VALU_DEP_2) | instskip(NEXT) | instid1(VALU_DEP_2)
	v_lshlrev_b64 v[2:3], 2, v[13:14]
	v_cmp_eq_u32_e64 s2, 0, v1
	v_add_nc_u32_e32 v13, 16, v13
	s_delay_alu instid0(VALU_DEP_2) | instskip(NEXT) | instid1(VALU_DEP_3)
	s_or_b32 s7, s2, s7
	v_add_co_u32 v2, vcc_lo, s8, v2
	s_delay_alu instid0(VALU_DEP_4) | instskip(SKIP_4) | instid1(VALU_DEP_1)
	v_add_co_ci_u32_e32 v3, vcc_lo, s9, v3, vcc_lo
	global_load_b32 v6, v[2:3], off
	global_load_b128 v[2:5], v[15:16], off offset:16
	s_waitcnt vmcnt(1)
	v_subrev_nc_u32_e32 v6, s12, v6
	v_lshlrev_b32_e32 v6, 2, v6
	s_delay_alu instid0(VALU_DEP_1) | instskip(NEXT) | instid1(VALU_DEP_1)
	v_ashrrev_i32_e32 v7, 31, v6
	v_lshlrev_b64 v[6:7], 3, v[6:7]
	s_waitcnt lgkmcnt(0)
	s_delay_alu instid0(VALU_DEP_1) | instskip(NEXT) | instid1(VALU_DEP_2)
	v_add_co_u32 v6, vcc_lo, s4, v6
	v_add_co_ci_u32_e32 v7, vcc_lo, s5, v7, vcc_lo
	global_load_b128 v[25:28], v[15:16], off
	s_clause 0x1
	global_load_b128 v[31:34], v[6:7], off
	global_load_b128 v[35:38], v[6:7], off offset:16
	s_clause 0x5
	global_load_b128 v[39:42], v[15:16], off offset:32
	global_load_b128 v[43:46], v[15:16], off offset:48
	;; [unrolled: 1-line block ×6, first 2 shown]
	v_add_co_u32 v15, vcc_lo, 0x800, v15
	v_add_co_ci_u32_e32 v16, vcc_lo, 0, v16, vcc_lo
	s_waitcnt vmcnt(7)
	v_fma_f64 v[6:7], v[25:26], v[31:32], v[21:22]
	v_fma_f64 v[21:22], v[27:28], v[31:32], v[23:24]
	;; [unrolled: 1-line block ×4, first 2 shown]
	s_waitcnt vmcnt(5)
	s_delay_alu instid0(VALU_DEP_4) | instskip(NEXT) | instid1(VALU_DEP_4)
	v_fma_f64 v[6:7], v[39:40], v[33:34], v[6:7]
	v_fma_f64 v[17:18], v[41:42], v[33:34], v[21:22]
	s_waitcnt vmcnt(4)
	s_delay_alu instid0(VALU_DEP_4) | instskip(NEXT) | instid1(VALU_DEP_4)
	v_fma_f64 v[2:3], v[43:44], v[33:34], v[2:3]
	v_fma_f64 v[4:5], v[45:46], v[33:34], v[4:5]
	;; [unrolled: 4-line block ×6, first 2 shown]
	s_and_not1_b32 exec_lo, exec_lo, s7
	s_cbranch_execnz .LBB7_29
; %bb.30:
	s_or_b32 exec_lo, exec_lo, s7
.LBB7_31:
	s_delay_alu instid0(SALU_CYCLE_1) | instskip(NEXT) | instid1(SALU_CYCLE_1)
	s_or_b32 exec_lo, exec_lo, s6
	s_mov_b32 s6, exec_lo
	v_cmpx_lt_u32_e32 47, v0
	s_cbranch_execz .LBB7_35
; %bb.32:
	s_mov_b32 s7, 0
.LBB7_33:                               ; =>This Inner Loop Header: Depth=1
	v_ashrrev_i32_e32 v14, 31, v13
	s_delay_alu instid0(VALU_DEP_1) | instskip(SKIP_1) | instid1(VALU_DEP_2)
	v_lshlrev_b64 v[0:1], 2, v[13:14]
	v_add_nc_u32_e32 v13, 64, v13
	v_add_co_u32 v4, vcc_lo, s8, v0
	s_delay_alu instid0(VALU_DEP_3)
	v_add_co_ci_u32_e32 v5, vcc_lo, s9, v1, vcc_lo
	s_clause 0x2
	global_load_b32 v6, v[4:5], off
	global_load_b32 v14, v[4:5], off offset:64
	global_load_b32 v103, v[4:5], off offset:128
	global_load_b128 v[0:3], v[15:16], off offset:16
	global_load_b32 v117, v[4:5], off offset:192
	s_waitcnt vmcnt(4)
	v_subrev_nc_u32_e32 v4, s12, v6
	s_waitcnt vmcnt(3)
	v_subrev_nc_u32_e32 v14, s12, v14
	s_delay_alu instid0(VALU_DEP_2) | instskip(NEXT) | instid1(VALU_DEP_2)
	v_lshlrev_b32_e32 v4, 2, v4
	v_lshlrev_b32_e32 v63, 2, v14
	s_waitcnt vmcnt(2)
	v_subrev_nc_u32_e32 v14, s12, v103
	s_delay_alu instid0(VALU_DEP_3) | instskip(NEXT) | instid1(VALU_DEP_3)
	v_ashrrev_i32_e32 v5, 31, v4
	v_ashrrev_i32_e32 v64, 31, v63
	s_delay_alu instid0(VALU_DEP_3)
	v_lshlrev_b32_e32 v103, 2, v14
	s_waitcnt vmcnt(0)
	v_subrev_nc_u32_e32 v14, s12, v117
	v_lshlrev_b64 v[4:5], 3, v[4:5]
	v_lshlrev_b64 v[63:64], 3, v[63:64]
	v_ashrrev_i32_e32 v104, 31, v103
	s_waitcnt lgkmcnt(0)
	s_delay_alu instid0(VALU_DEP_3) | instskip(NEXT) | instid1(VALU_DEP_4)
	v_add_co_u32 v47, vcc_lo, s4, v4
	v_add_co_ci_u32_e32 v48, vcc_lo, s5, v5, vcc_lo
	s_delay_alu instid0(VALU_DEP_4)
	v_add_co_u32 v87, vcc_lo, s4, v63
	global_load_b128 v[4:7], v[15:16], off
	global_load_b128 v[25:28], v[47:48], off
	s_clause 0x3
	global_load_b128 v[31:34], v[15:16], off offset:32
	global_load_b128 v[35:38], v[15:16], off offset:48
	;; [unrolled: 1-line block ×5, first 2 shown]
	s_clause 0x2
	global_load_b128 v[51:54], v[15:16], off offset:96
	global_load_b128 v[55:58], v[15:16], off offset:112
	;; [unrolled: 1-line block ×3, first 2 shown]
	v_add_co_ci_u32_e32 v88, vcc_lo, s5, v64, vcc_lo
	global_load_b128 v[63:66], v[15:16], off offset:2048
	global_load_b128 v[67:70], v[87:88], off
	s_clause 0x3
	global_load_b128 v[71:74], v[15:16], off offset:2080
	global_load_b128 v[75:78], v[15:16], off offset:2096
	;; [unrolled: 1-line block ×5, first 2 shown]
	s_clause 0x1
	global_load_b128 v[91:94], v[15:16], off offset:2160
	global_load_b128 v[95:98], v[15:16], off offset:2144
	v_lshlrev_b64 v[103:104], 3, v[103:104]
	v_add_co_u32 v111, vcc_lo, 0x1000, v15
	v_add_co_ci_u32_e32 v112, vcc_lo, 0, v16, vcc_lo
	v_add_co_u32 v15, s2, 0x2000, v15
	s_delay_alu instid0(VALU_DEP_4)
	v_add_co_u32 v113, vcc_lo, s4, v103
	v_add_co_ci_u32_e32 v114, vcc_lo, s5, v104, vcc_lo
	s_clause 0x1
	global_load_b128 v[99:102], v[111:112], off
	global_load_b128 v[103:106], v[111:112], off offset:16
	global_load_b128 v[107:110], v[113:114], off
	v_add_co_ci_u32_e64 v16, s2, 0, v16, s2
	s_waitcnt vmcnt(20)
	v_fma_f64 v[21:22], v[4:5], v[25:26], v[21:22]
	v_fma_f64 v[23:24], v[6:7], v[25:26], v[23:24]
	;; [unrolled: 1-line block ×4, first 2 shown]
	s_clause 0x1
	global_load_b128 v[0:3], v[111:112], off offset:32
	global_load_b128 v[4:7], v[111:112], off offset:48
	s_waitcnt vmcnt(21)
	v_fma_f64 v[31:32], v[31:32], v[27:28], v[21:22]
	v_fma_f64 v[33:34], v[33:34], v[27:28], v[23:24]
	s_waitcnt vmcnt(20)
	v_fma_f64 v[35:36], v[35:36], v[27:28], v[19:20]
	v_fma_f64 v[37:38], v[37:38], v[27:28], v[17:18]
	s_clause 0x1
	global_load_b128 v[17:20], v[111:112], off offset:64
	global_load_b128 v[21:24], v[111:112], off offset:80
	;; [unrolled: 1-line block ×3, first 2 shown]
	s_waitcnt vmcnt(20)
	v_fma_f64 v[113:114], v[39:40], v[47:48], v[31:32]
	v_fma_f64 v[115:116], v[41:42], v[47:48], v[33:34]
	;; [unrolled: 1-line block ×4, first 2 shown]
	s_clause 0x2
	global_load_b128 v[31:34], v[111:112], off offset:96
	global_load_b128 v[35:38], v[111:112], off offset:112
	;; [unrolled: 1-line block ×3, first 2 shown]
	v_lshlrev_b32_e32 v47, 2, v14
	s_delay_alu instid0(VALU_DEP_1)
	v_ashrrev_i32_e32 v48, 31, v47
	s_waitcnt vmcnt(22)
	v_fma_f64 v[51:52], v[51:52], v[49:50], v[113:114]
	v_fma_f64 v[53:54], v[53:54], v[49:50], v[115:116]
	s_waitcnt vmcnt(21)
	v_fma_f64 v[55:56], v[55:56], v[49:50], v[43:44]
	v_fma_f64 v[57:58], v[57:58], v[49:50], v[45:46]
	v_lshlrev_b64 v[43:44], 3, v[47:48]
	s_delay_alu instid0(VALU_DEP_1) | instskip(NEXT) | instid1(VALU_DEP_2)
	v_add_co_u32 v113, vcc_lo, s4, v43
	v_add_co_ci_u32_e32 v114, vcc_lo, s5, v44, vcc_lo
	global_load_b128 v[43:46], v[111:112], off offset:2048
	global_load_b128 v[47:50], v[113:114], off
	v_cmp_ge_i32_e32 vcc_lo, v13, v30
	s_or_b32 s7, vcc_lo, s7
	s_waitcnt vmcnt(20)
	v_fma_f64 v[63:64], v[63:64], v[67:68], v[51:52]
	v_fma_f64 v[65:66], v[65:66], v[67:68], v[53:54]
	;; [unrolled: 1-line block ×4, first 2 shown]
	s_clause 0x1
	global_load_b128 v[51:54], v[111:112], off offset:2080
	global_load_b128 v[55:58], v[111:112], off offset:2096
	s_waitcnt vmcnt(21)
	v_fma_f64 v[71:72], v[71:72], v[69:70], v[63:64]
	v_fma_f64 v[73:74], v[73:74], v[69:70], v[65:66]
	s_waitcnt vmcnt(20)
	v_fma_f64 v[75:76], v[75:76], v[69:70], v[59:60]
	v_fma_f64 v[77:78], v[77:78], v[69:70], v[61:62]
	s_clause 0x1
	global_load_b128 v[59:62], v[111:112], off offset:2112
	global_load_b128 v[63:66], v[111:112], off offset:2128
	;; [unrolled: 1-line block ×3, first 2 shown]
	s_waitcnt vmcnt(20)
	v_fma_f64 v[79:80], v[79:80], v[87:88], v[71:72]
	v_fma_f64 v[81:82], v[81:82], v[87:88], v[73:74]
	;; [unrolled: 1-line block ×4, first 2 shown]
	s_clause 0x1
	global_load_b128 v[71:74], v[111:112], off offset:2144
	global_load_b128 v[75:78], v[111:112], off offset:2160
	s_waitcnt vmcnt(20)
	v_fma_f64 v[79:80], v[95:96], v[89:90], v[79:80]
	v_fma_f64 v[81:82], v[97:98], v[89:90], v[81:82]
	;; [unrolled: 1-line block ×4, first 2 shown]
	s_waitcnt vmcnt(17)
	s_delay_alu instid0(VALU_DEP_4) | instskip(NEXT) | instid1(VALU_DEP_4)
	v_fma_f64 v[79:80], v[99:100], v[107:108], v[79:80]
	v_fma_f64 v[81:82], v[101:102], v[107:108], v[81:82]
	s_delay_alu instid0(VALU_DEP_4) | instskip(NEXT) | instid1(VALU_DEP_4)
	v_fma_f64 v[83:84], v[103:104], v[107:108], v[83:84]
	v_fma_f64 v[85:86], v[105:106], v[107:108], v[85:86]
	s_waitcnt vmcnt(16)
	s_delay_alu instid0(VALU_DEP_4) | instskip(NEXT) | instid1(VALU_DEP_4)
	v_fma_f64 v[0:1], v[0:1], v[109:110], v[79:80]
	v_fma_f64 v[2:3], v[2:3], v[109:110], v[81:82]
	s_waitcnt vmcnt(15)
	s_delay_alu instid0(VALU_DEP_4) | instskip(NEXT) | instid1(VALU_DEP_4)
	v_fma_f64 v[4:5], v[4:5], v[109:110], v[83:84]
	v_fma_f64 v[6:7], v[6:7], v[109:110], v[85:86]
	s_waitcnt vmcnt(12)
	s_delay_alu instid0(VALU_DEP_4) | instskip(NEXT) | instid1(VALU_DEP_4)
	v_fma_f64 v[0:1], v[17:18], v[25:26], v[0:1]
	v_fma_f64 v[2:3], v[19:20], v[25:26], v[2:3]
	s_delay_alu instid0(VALU_DEP_4) | instskip(NEXT) | instid1(VALU_DEP_4)
	v_fma_f64 v[4:5], v[21:22], v[25:26], v[4:5]
	v_fma_f64 v[6:7], v[23:24], v[25:26], v[6:7]
	s_waitcnt vmcnt(11)
	s_delay_alu instid0(VALU_DEP_4) | instskip(NEXT) | instid1(VALU_DEP_4)
	v_fma_f64 v[0:1], v[31:32], v[27:28], v[0:1]
	v_fma_f64 v[2:3], v[33:34], v[27:28], v[2:3]
	s_waitcnt vmcnt(10)
	s_delay_alu instid0(VALU_DEP_4) | instskip(NEXT) | instid1(VALU_DEP_4)
	v_fma_f64 v[4:5], v[35:36], v[27:28], v[4:5]
	v_fma_f64 v[6:7], v[37:38], v[27:28], v[6:7]
	;; [unrolled: 15-line block ×4, first 2 shown]
	s_and_not1_b32 exec_lo, exec_lo, s7
	s_cbranch_execnz .LBB7_33
; %bb.34:
	s_or_b32 exec_lo, exec_lo, s7
.LBB7_35:
	s_delay_alu instid0(SALU_CYCLE_1)
	s_or_b32 exec_lo, exec_lo, s6
.LBB7_36:
	s_delay_alu instid0(SALU_CYCLE_1)
	s_or_b32 exec_lo, exec_lo, s3
.LBB7_37:
	v_mbcnt_lo_u32_b32 v25, -1, 0
	s_delay_alu instid0(VALU_DEP_1) | instskip(SKIP_1) | instid1(VALU_DEP_2)
	v_xor_b32_e32 v0, 8, v25
	v_xor_b32_e32 v13, 4, v25
	v_cmp_gt_i32_e32 vcc_lo, 32, v0
	v_cndmask_b32_e32 v0, v25, v0, vcc_lo
	s_delay_alu instid0(VALU_DEP_3) | instskip(NEXT) | instid1(VALU_DEP_2)
	v_cmp_gt_i32_e32 vcc_lo, 32, v13
	v_lshlrev_b32_e32 v7, 2, v0
	v_cndmask_b32_e32 v13, v25, v13, vcc_lo
	ds_bpermute_b32 v0, v7, v21
	ds_bpermute_b32 v1, v7, v22
	;; [unrolled: 1-line block ×8, first 2 shown]
	s_waitcnt lgkmcnt(0)
	v_add_f64 v[0:1], v[21:22], v[0:1]
	v_add_f64 v[2:3], v[23:24], v[2:3]
	;; [unrolled: 1-line block ×3, first 2 shown]
	v_lshlrev_b32_e32 v20, 2, v13
	v_add_f64 v[6:7], v[17:18], v[6:7]
	ds_bpermute_b32 v13, v20, v0
	ds_bpermute_b32 v14, v20, v1
	;; [unrolled: 1-line block ×8, first 2 shown]
	s_waitcnt lgkmcnt(6)
	v_add_f64 v[0:1], v[0:1], v[13:14]
	s_waitcnt lgkmcnt(4)
	v_add_f64 v[2:3], v[2:3], v[15:16]
	;; [unrolled: 2-line block ×3, first 2 shown]
	v_xor_b32_e32 v4, 2, v25
	s_waitcnt lgkmcnt(0)
	v_add_f64 v[15:16], v[6:7], v[19:20]
	s_delay_alu instid0(VALU_DEP_2) | instskip(SKIP_1) | instid1(VALU_DEP_1)
	v_cmp_gt_i32_e32 vcc_lo, 32, v4
	v_cndmask_b32_e32 v4, v25, v4, vcc_lo
	v_lshlrev_b32_e32 v6, 2, v4
	ds_bpermute_b32 v4, v6, v0
	ds_bpermute_b32 v5, v6, v1
	;; [unrolled: 1-line block ×8, first 2 shown]
	s_waitcnt lgkmcnt(6)
	v_add_f64 v[6:7], v[0:1], v[4:5]
	s_waitcnt lgkmcnt(4)
	v_add_f64 v[4:5], v[2:3], v[17:18]
	;; [unrolled: 2-line block ×3, first 2 shown]
	v_xor_b32_e32 v13, 1, v25
	s_waitcnt lgkmcnt(0)
	v_add_f64 v[2:3], v[15:16], v[21:22]
	s_delay_alu instid0(VALU_DEP_2) | instskip(SKIP_2) | instid1(VALU_DEP_2)
	v_cmp_gt_i32_e32 vcc_lo, 32, v13
	v_cndmask_b32_e32 v13, v25, v13, vcc_lo
	v_cmp_eq_u32_e32 vcc_lo, 15, v29
	v_lshlrev_b32_e32 v14, 2, v13
	ds_bpermute_b32 v19, v14, v6
	ds_bpermute_b32 v20, v14, v7
	;; [unrolled: 1-line block ×8, first 2 shown]
	s_and_b32 exec_lo, exec_lo, vcc_lo
	s_cbranch_execz .LBB7_10
; %bb.38:
	s_waitcnt lgkmcnt(6)
	v_add_f64 v[6:7], v[6:7], v[19:20]
	s_waitcnt lgkmcnt(4)
	v_add_f64 v[17:18], v[4:5], v[17:18]
	;; [unrolled: 2-line block ×4, first 2 shown]
	s_load_b64 s[0:1], s[0:1], 0x50
	s_mov_b32 s2, exec_lo
	s_delay_alu instid0(VALU_DEP_4) | instskip(NEXT) | instid1(VALU_DEP_4)
	v_mul_f64 v[4:5], v[10:11], v[6:7]
	v_mul_f64 v[6:7], v[10:11], v[17:18]
	s_delay_alu instid0(VALU_DEP_4) | instskip(NEXT) | instid1(VALU_DEP_4)
	v_mul_f64 v[0:1], v[10:11], v[0:1]
	v_mul_f64 v[2:3], v[10:11], v[2:3]
	v_lshlrev_b32_e32 v10, 2, v12
	v_cmpx_eq_f64_e32 0, v[8:9]
	s_xor_b32 s2, exec_lo, s2
	s_cbranch_execz .LBB7_40
; %bb.39:
	s_delay_alu instid0(VALU_DEP_2) | instskip(NEXT) | instid1(VALU_DEP_1)
	v_ashrrev_i32_e32 v11, 31, v10
	v_lshlrev_b64 v[8:9], 3, v[10:11]
                                        ; implicit-def: $vgpr10
	s_waitcnt lgkmcnt(0)
	s_delay_alu instid0(VALU_DEP_1) | instskip(NEXT) | instid1(VALU_DEP_2)
	v_add_co_u32 v8, vcc_lo, s0, v8
	v_add_co_ci_u32_e32 v9, vcc_lo, s1, v9, vcc_lo
	s_clause 0x1
	global_store_b128 v[8:9], v[4:7], off
	global_store_b128 v[8:9], v[0:3], off offset:16
                                        ; implicit-def: $vgpr8_vgpr9
                                        ; implicit-def: $vgpr4_vgpr5
                                        ; implicit-def: $vgpr0_vgpr1
.LBB7_40:
	s_and_not1_saveexec_b32 s2, s2
	s_cbranch_execz .LBB7_10
; %bb.41:
	v_ashrrev_i32_e32 v11, 31, v10
	s_delay_alu instid0(VALU_DEP_1) | instskip(SKIP_1) | instid1(VALU_DEP_1)
	v_lshlrev_b64 v[10:11], 3, v[10:11]
	s_waitcnt lgkmcnt(0)
	v_add_co_u32 v18, vcc_lo, s0, v10
	s_delay_alu instid0(VALU_DEP_2)
	v_add_co_ci_u32_e32 v19, vcc_lo, s1, v11, vcc_lo
	s_clause 0x1
	global_load_b128 v[10:13], v[18:19], off
	global_load_b128 v[14:17], v[18:19], off offset:16
	s_waitcnt vmcnt(1)
	v_fma_f64 v[4:5], v[8:9], v[10:11], v[4:5]
	v_fma_f64 v[6:7], v[8:9], v[12:13], v[6:7]
	s_waitcnt vmcnt(0)
	v_fma_f64 v[0:1], v[8:9], v[14:15], v[0:1]
	v_fma_f64 v[2:3], v[8:9], v[16:17], v[2:3]
	s_clause 0x1
	global_store_b128 v[18:19], v[4:7], off
	global_store_b128 v[18:19], v[0:3], off offset:16
	s_nop 0
	s_sendmsg sendmsg(MSG_DEALLOC_VGPRS)
	s_endpgm
	.section	.rodata,"a",@progbits
	.p2align	6, 0x0
	.amdhsa_kernel _ZN9rocsparseL18bsrxmvn_4x4_kernelILj128ELj16EdiidddEEvT3_20rocsparse_direction_NS_24const_host_device_scalarIT1_EES1_PKS1_PKT2_SA_S7_PKT4_PKT5_S5_PT6_21rocsparse_index_base_b
		.amdhsa_group_segment_fixed_size 0
		.amdhsa_private_segment_fixed_size 0
		.amdhsa_kernarg_size 96
		.amdhsa_user_sgpr_count 15
		.amdhsa_user_sgpr_dispatch_ptr 0
		.amdhsa_user_sgpr_queue_ptr 0
		.amdhsa_user_sgpr_kernarg_segment_ptr 1
		.amdhsa_user_sgpr_dispatch_id 0
		.amdhsa_user_sgpr_private_segment_size 0
		.amdhsa_wavefront_size32 1
		.amdhsa_uses_dynamic_stack 0
		.amdhsa_enable_private_segment 0
		.amdhsa_system_sgpr_workgroup_id_x 1
		.amdhsa_system_sgpr_workgroup_id_y 0
		.amdhsa_system_sgpr_workgroup_id_z 0
		.amdhsa_system_sgpr_workgroup_info 0
		.amdhsa_system_vgpr_workitem_id 0
		.amdhsa_next_free_vgpr 130
		.amdhsa_next_free_sgpr 16
		.amdhsa_reserve_vcc 1
		.amdhsa_float_round_mode_32 0
		.amdhsa_float_round_mode_16_64 0
		.amdhsa_float_denorm_mode_32 3
		.amdhsa_float_denorm_mode_16_64 3
		.amdhsa_dx10_clamp 1
		.amdhsa_ieee_mode 1
		.amdhsa_fp16_overflow 0
		.amdhsa_workgroup_processor_mode 1
		.amdhsa_memory_ordered 1
		.amdhsa_forward_progress 0
		.amdhsa_shared_vgpr_count 0
		.amdhsa_exception_fp_ieee_invalid_op 0
		.amdhsa_exception_fp_denorm_src 0
		.amdhsa_exception_fp_ieee_div_zero 0
		.amdhsa_exception_fp_ieee_overflow 0
		.amdhsa_exception_fp_ieee_underflow 0
		.amdhsa_exception_fp_ieee_inexact 0
		.amdhsa_exception_int_div_zero 0
	.end_amdhsa_kernel
	.section	.text._ZN9rocsparseL18bsrxmvn_4x4_kernelILj128ELj16EdiidddEEvT3_20rocsparse_direction_NS_24const_host_device_scalarIT1_EES1_PKS1_PKT2_SA_S7_PKT4_PKT5_S5_PT6_21rocsparse_index_base_b,"axG",@progbits,_ZN9rocsparseL18bsrxmvn_4x4_kernelILj128ELj16EdiidddEEvT3_20rocsparse_direction_NS_24const_host_device_scalarIT1_EES1_PKS1_PKT2_SA_S7_PKT4_PKT5_S5_PT6_21rocsparse_index_base_b,comdat
.Lfunc_end7:
	.size	_ZN9rocsparseL18bsrxmvn_4x4_kernelILj128ELj16EdiidddEEvT3_20rocsparse_direction_NS_24const_host_device_scalarIT1_EES1_PKS1_PKT2_SA_S7_PKT4_PKT5_S5_PT6_21rocsparse_index_base_b, .Lfunc_end7-_ZN9rocsparseL18bsrxmvn_4x4_kernelILj128ELj16EdiidddEEvT3_20rocsparse_direction_NS_24const_host_device_scalarIT1_EES1_PKS1_PKT2_SA_S7_PKT4_PKT5_S5_PT6_21rocsparse_index_base_b
                                        ; -- End function
	.section	.AMDGPU.csdata,"",@progbits
; Kernel info:
; codeLenInByte = 5256
; NumSgprs: 18
; NumVgprs: 130
; ScratchSize: 0
; MemoryBound: 1
; FloatMode: 240
; IeeeMode: 1
; LDSByteSize: 0 bytes/workgroup (compile time only)
; SGPRBlocks: 2
; VGPRBlocks: 16
; NumSGPRsForWavesPerEU: 18
; NumVGPRsForWavesPerEU: 130
; Occupancy: 10
; WaveLimiterHint : 1
; COMPUTE_PGM_RSRC2:SCRATCH_EN: 0
; COMPUTE_PGM_RSRC2:USER_SGPR: 15
; COMPUTE_PGM_RSRC2:TRAP_HANDLER: 0
; COMPUTE_PGM_RSRC2:TGID_X_EN: 1
; COMPUTE_PGM_RSRC2:TGID_Y_EN: 0
; COMPUTE_PGM_RSRC2:TGID_Z_EN: 0
; COMPUTE_PGM_RSRC2:TIDIG_COMP_CNT: 0
	.section	.text._ZN9rocsparseL18bsrxmvn_4x4_kernelILj128ELj32EdiidddEEvT3_20rocsparse_direction_NS_24const_host_device_scalarIT1_EES1_PKS1_PKT2_SA_S7_PKT4_PKT5_S5_PT6_21rocsparse_index_base_b,"axG",@progbits,_ZN9rocsparseL18bsrxmvn_4x4_kernelILj128ELj32EdiidddEEvT3_20rocsparse_direction_NS_24const_host_device_scalarIT1_EES1_PKS1_PKT2_SA_S7_PKT4_PKT5_S5_PT6_21rocsparse_index_base_b,comdat
	.globl	_ZN9rocsparseL18bsrxmvn_4x4_kernelILj128ELj32EdiidddEEvT3_20rocsparse_direction_NS_24const_host_device_scalarIT1_EES1_PKS1_PKT2_SA_S7_PKT4_PKT5_S5_PT6_21rocsparse_index_base_b ; -- Begin function _ZN9rocsparseL18bsrxmvn_4x4_kernelILj128ELj32EdiidddEEvT3_20rocsparse_direction_NS_24const_host_device_scalarIT1_EES1_PKS1_PKT2_SA_S7_PKT4_PKT5_S5_PT6_21rocsparse_index_base_b
	.p2align	8
	.type	_ZN9rocsparseL18bsrxmvn_4x4_kernelILj128ELj32EdiidddEEvT3_20rocsparse_direction_NS_24const_host_device_scalarIT1_EES1_PKS1_PKT2_SA_S7_PKT4_PKT5_S5_PT6_21rocsparse_index_base_b,@function
_ZN9rocsparseL18bsrxmvn_4x4_kernelILj128ELj32EdiidddEEvT3_20rocsparse_direction_NS_24const_host_device_scalarIT1_EES1_PKS1_PKT2_SA_S7_PKT4_PKT5_S5_PT6_21rocsparse_index_base_b: ; @_ZN9rocsparseL18bsrxmvn_4x4_kernelILj128ELj32EdiidddEEvT3_20rocsparse_direction_NS_24const_host_device_scalarIT1_EES1_PKS1_PKT2_SA_S7_PKT4_PKT5_S5_PT6_21rocsparse_index_base_b
; %bb.0:
	s_clause 0x2
	s_load_b64 s[12:13], s[0:1], 0x58
	s_load_b64 s[4:5], s[0:1], 0x8
	;; [unrolled: 1-line block ×3, first 2 shown]
	s_waitcnt lgkmcnt(0)
	s_bitcmp1_b32 s13, 0
	v_dual_mov_b32 v2, s4 :: v_dual_mov_b32 v3, s5
	s_cselect_b32 s6, -1, 0
	s_delay_alu instid0(SALU_CYCLE_1)
	s_and_b32 vcc_lo, exec_lo, s6
	s_xor_b32 s6, s6, -1
	s_cbranch_vccnz .LBB8_2
; %bb.1:
	v_dual_mov_b32 v1, s4 :: v_dual_mov_b32 v2, s5
	flat_load_b64 v[2:3], v[1:2]
.LBB8_2:
	v_dual_mov_b32 v9, s3 :: v_dual_mov_b32 v8, s2
	s_and_not1_b32 vcc_lo, exec_lo, s6
	s_cbranch_vccnz .LBB8_4
; %bb.3:
	v_dual_mov_b32 v5, s3 :: v_dual_mov_b32 v4, s2
	flat_load_b64 v[8:9], v[4:5]
.LBB8_4:
	s_waitcnt vmcnt(0) lgkmcnt(0)
	v_cmp_neq_f64_e32 vcc_lo, 0, v[2:3]
	v_cmp_neq_f64_e64 s2, 1.0, v[8:9]
	s_delay_alu instid0(VALU_DEP_1) | instskip(NEXT) | instid1(SALU_CYCLE_1)
	s_or_b32 s2, vcc_lo, s2
	s_and_saveexec_b32 s3, s2
	s_cbranch_execz .LBB8_10
; %bb.5:
	s_clause 0x1
	s_load_b64 s[4:5], s[0:1], 0x18
	s_load_b64 s[2:3], s[0:1], 0x0
	v_lshrrev_b32_e32 v1, 5, v0
	s_delay_alu instid0(VALU_DEP_1)
	v_lshl_or_b32 v10, s15, 2, v1
	s_waitcnt lgkmcnt(0)
	s_cmp_lg_u64 s[4:5], 0
	s_cbranch_scc0 .LBB8_11
; %bb.6:
	s_load_b32 s6, s[0:1], 0x10
	s_mov_b32 s7, 0
                                        ; implicit-def: $vgpr1
	s_waitcnt lgkmcnt(0)
	v_cmp_gt_i32_e32 vcc_lo, s6, v10
	s_mov_b32 s6, 0
	s_and_saveexec_b32 s8, vcc_lo
	s_delay_alu instid0(SALU_CYCLE_1)
	s_xor_b32 s8, exec_lo, s8
	s_cbranch_execz .LBB8_8
; %bb.7:
	v_ashrrev_i32_e32 v11, 31, v10
	s_mov_b32 s6, exec_lo
	s_delay_alu instid0(VALU_DEP_1) | instskip(NEXT) | instid1(VALU_DEP_1)
	v_lshlrev_b64 v[4:5], 2, v[10:11]
	v_add_co_u32 v4, vcc_lo, s4, v4
	s_delay_alu instid0(VALU_DEP_2)
	v_add_co_ci_u32_e32 v5, vcc_lo, s5, v5, vcc_lo
	global_load_b32 v1, v[4:5], off
	s_waitcnt vmcnt(0)
	v_subrev_nc_u32_e32 v1, s12, v1
.LBB8_8:
	s_or_b32 exec_lo, exec_lo, s8
	s_delay_alu instid0(SALU_CYCLE_1)
	s_and_b32 vcc_lo, exec_lo, s7
	s_cbranch_vccz .LBB8_12
.LBB8_9:
	v_cmp_gt_i32_e32 vcc_lo, s2, v10
	s_and_not1_b32 s2, s6, exec_lo
	s_and_b32 s4, vcc_lo, exec_lo
	s_delay_alu instid0(SALU_CYCLE_1) | instskip(NEXT) | instid1(SALU_CYCLE_1)
	s_or_b32 s6, s2, s4
	s_and_b32 exec_lo, exec_lo, s6
	s_cbranch_execnz .LBB8_13
.LBB8_10:
	s_nop 0
	s_sendmsg sendmsg(MSG_DEALLOC_VGPRS)
	s_endpgm
.LBB8_11:
	s_mov_b32 s6, 0
                                        ; implicit-def: $vgpr1
	s_cbranch_execnz .LBB8_9
.LBB8_12:
	s_delay_alu instid0(VALU_DEP_1)
	v_mov_b32_e32 v10, v1
	s_and_b32 exec_lo, exec_lo, s6
	s_cbranch_execz .LBB8_10
.LBB8_13:
	s_load_b256 s[4:11], s[0:1], 0x20
	s_delay_alu instid0(VALU_DEP_1) | instskip(SKIP_1) | instid1(VALU_DEP_2)
	v_ashrrev_i32_e32 v11, 31, v10
	v_and_b32_e32 v21, 31, v0
	v_lshlrev_b64 v[4:5], 2, v[10:11]
	s_waitcnt lgkmcnt(0)
	s_delay_alu instid0(VALU_DEP_1) | instskip(NEXT) | instid1(VALU_DEP_2)
	v_add_co_u32 v6, vcc_lo, s4, v4
	v_add_co_ci_u32_e32 v7, vcc_lo, s5, v5, vcc_lo
	v_add_co_u32 v1, vcc_lo, s6, v4
	v_add_co_ci_u32_e32 v4, vcc_lo, s7, v5, vcc_lo
	global_load_b32 v23, v[6:7], off
	v_add_co_u32 v6, vcc_lo, v6, 4
	v_add_co_ci_u32_e32 v5, vcc_lo, 0, v7, vcc_lo
	s_cmp_eq_u64 s[6:7], 0
	s_load_b64 s[4:5], s[0:1], 0x40
	s_cselect_b32 vcc_lo, -1, 0
	s_cmp_eq_u32 s3, 1
	v_dual_cndmask_b32 v5, v4, v5 :: v_dual_cndmask_b32 v4, v1, v6
	global_load_b32 v6, v[4:5], off
	s_waitcnt vmcnt(1)
	v_subrev_nc_u32_e32 v0, s12, v23
	s_delay_alu instid0(VALU_DEP_1) | instskip(NEXT) | instid1(VALU_DEP_1)
	v_add_nc_u32_e32 v0, v0, v21
	v_ashrrev_i32_e32 v1, 31, v0
	s_waitcnt vmcnt(0)
	v_subrev_nc_u32_e32 v22, s12, v6
	s_delay_alu instid0(VALU_DEP_2) | instskip(NEXT) | instid1(VALU_DEP_2)
	v_lshlrev_b64 v[4:5], 7, v[0:1]
	v_cmp_lt_i32_e64 s2, v0, v22
	s_delay_alu instid0(VALU_DEP_2) | instskip(NEXT) | instid1(VALU_DEP_3)
	v_add_co_u32 v4, vcc_lo, s10, v4
	v_add_co_ci_u32_e32 v5, vcc_lo, s11, v5, vcc_lo
	s_cbranch_scc1 .LBB8_25
; %bb.14:
	v_mov_b32_e32 v6, 0
	v_mov_b32_e32 v7, 0
	s_delay_alu instid0(VALU_DEP_1)
	v_dual_mov_b32 v12, v7 :: v_dual_mov_b32 v11, v6
	v_dual_mov_b32 v16, v7 :: v_dual_mov_b32 v15, v6
	;; [unrolled: 1-line block ×3, first 2 shown]
	s_and_saveexec_b32 s6, s2
	s_cbranch_execz .LBB8_24
; %bb.15:
	v_add_nc_u32_e32 v1, v23, v21
	v_mov_b32_e32 v13, 0
	v_mov_b32_e32 v14, 0
	v_not_b32_e32 v6, v23
	s_delay_alu instid0(VALU_DEP_3) | instskip(SKIP_4) | instid1(VALU_DEP_2)
	v_mov_b32_e32 v11, v13
	v_subrev_nc_u32_e32 v1, s12, v1
	v_dual_mov_b32 v20, v5 :: v_dual_mov_b32 v19, v4
	s_mov_b32 s10, 0
	s_mov_b32 s7, exec_lo
	v_dual_mov_b32 v16, v14 :: v_dual_add_nc_u32 v1, 32, v1
	v_dual_mov_b32 v15, v13 :: v_dual_mov_b32 v12, v14
	v_mov_b32_e32 v17, v0
	s_delay_alu instid0(VALU_DEP_3) | instskip(NEXT) | instid1(VALU_DEP_1)
	v_max_i32_e32 v1, v1, v22
	v_add3_u32 v1, v1, s12, v6
	s_delay_alu instid0(VALU_DEP_1) | instskip(NEXT) | instid1(VALU_DEP_1)
	v_sub_nc_u32_e32 v1, v1, v21
	v_lshrrev_b32_e32 v6, 5, v1
	s_delay_alu instid0(VALU_DEP_1) | instskip(NEXT) | instid1(VALU_DEP_1)
	v_add_nc_u32_e32 v6, 1, v6
	v_and_b32_e32 v18, 3, v6
	v_dual_mov_b32 v6, v13 :: v_dual_mov_b32 v7, v14
	s_delay_alu instid0(VALU_DEP_2)
	v_cmpx_ne_u32_e32 0, v18
	s_cbranch_execz .LBB8_19
; %bb.16:
	v_mov_b32_e32 v6, 0
	v_dual_mov_b32 v7, 0 :: v_dual_lshlrev_b32 v24, 7, v18
	v_dual_mov_b32 v20, v5 :: v_dual_mov_b32 v17, v0
	s_delay_alu instid0(VALU_DEP_2) | instskip(NEXT) | instid1(VALU_DEP_4)
	v_dual_mov_b32 v19, v4 :: v_dual_mov_b32 v12, v7
	v_dual_mov_b32 v11, v6 :: v_dual_mov_b32 v16, v7
	;; [unrolled: 1-line block ×3, first 2 shown]
	v_mov_b32_e32 v13, v6
.LBB8_17:                               ; =>This Inner Loop Header: Depth=1
	v_ashrrev_i32_e32 v18, 31, v17
	v_add_nc_u32_e32 v24, 0xffffff80, v24
	s_delay_alu instid0(VALU_DEP_2) | instskip(NEXT) | instid1(VALU_DEP_2)
	v_lshlrev_b64 v[25:26], 2, v[17:18]
	v_cmp_eq_u32_e64 s3, 0, v24
	v_add_nc_u32_e32 v17, 32, v17
	s_delay_alu instid0(VALU_DEP_2) | instskip(NEXT) | instid1(VALU_DEP_3)
	s_or_b32 s10, s3, s10
	v_add_co_u32 v25, vcc_lo, s8, v25
	s_delay_alu instid0(VALU_DEP_4)
	v_add_co_ci_u32_e32 v26, vcc_lo, s9, v26, vcc_lo
	global_load_b32 v18, v[25:26], off
	s_clause 0x6
	global_load_b128 v[25:28], v[19:20], off offset:48
	global_load_b128 v[29:32], v[19:20], off offset:32
	;; [unrolled: 1-line block ×3, first 2 shown]
	global_load_b128 v[37:40], v[19:20], off
	global_load_b128 v[41:44], v[19:20], off offset:112
	global_load_b128 v[45:48], v[19:20], off offset:96
	;; [unrolled: 1-line block ×3, first 2 shown]
	s_waitcnt vmcnt(7)
	v_subrev_nc_u32_e32 v18, s12, v18
	s_delay_alu instid0(VALU_DEP_1) | instskip(NEXT) | instid1(VALU_DEP_1)
	v_lshlrev_b32_e32 v53, 2, v18
	v_ashrrev_i32_e32 v54, 31, v53
	s_delay_alu instid0(VALU_DEP_1) | instskip(SKIP_1) | instid1(VALU_DEP_1)
	v_lshlrev_b64 v[53:54], 3, v[53:54]
	s_waitcnt lgkmcnt(0)
	v_add_co_u32 v61, vcc_lo, s4, v53
	s_delay_alu instid0(VALU_DEP_2)
	v_add_co_ci_u32_e32 v62, vcc_lo, s5, v54, vcc_lo
	global_load_b128 v[53:56], v[19:20], off offset:64
	s_clause 0x1
	global_load_b128 v[57:60], v[61:62], off
	global_load_b128 v[61:64], v[61:62], off offset:16
	v_add_co_u32 v19, vcc_lo, 0x1000, v19
	v_add_co_ci_u32_e32 v20, vcc_lo, 0, v20, vcc_lo
	s_waitcnt vmcnt(1)
	v_fma_f64 v[13:14], v[37:38], v[57:58], v[13:14]
	v_fma_f64 v[15:16], v[29:30], v[57:58], v[15:16]
	;; [unrolled: 1-line block ×4, first 2 shown]
	s_delay_alu instid0(VALU_DEP_4) | instskip(NEXT) | instid1(VALU_DEP_4)
	v_fma_f64 v[13:14], v[39:40], v[59:60], v[13:14]
	v_fma_f64 v[15:16], v[31:32], v[59:60], v[15:16]
	s_delay_alu instid0(VALU_DEP_4) | instskip(NEXT) | instid1(VALU_DEP_4)
	v_fma_f64 v[11:12], v[55:56], v[59:60], v[11:12]
	v_fma_f64 v[6:7], v[47:48], v[59:60], v[6:7]
	s_waitcnt vmcnt(0)
	s_delay_alu instid0(VALU_DEP_4) | instskip(NEXT) | instid1(VALU_DEP_4)
	v_fma_f64 v[13:14], v[33:34], v[61:62], v[13:14]
	v_fma_f64 v[15:16], v[25:26], v[61:62], v[15:16]
	s_delay_alu instid0(VALU_DEP_4) | instskip(NEXT) | instid1(VALU_DEP_4)
	v_fma_f64 v[11:12], v[49:50], v[61:62], v[11:12]
	v_fma_f64 v[6:7], v[41:42], v[61:62], v[6:7]
	;; [unrolled: 3-line block ×4, first 2 shown]
	s_and_not1_b32 exec_lo, exec_lo, s10
	s_cbranch_execnz .LBB8_17
; %bb.18:
	s_or_b32 exec_lo, exec_lo, s10
.LBB8_19:
	s_delay_alu instid0(SALU_CYCLE_1) | instskip(NEXT) | instid1(SALU_CYCLE_1)
	s_or_b32 exec_lo, exec_lo, s7
	s_mov_b32 s7, exec_lo
	v_cmpx_lt_u32_e32 0x5f, v1
	s_cbranch_execz .LBB8_23
; %bb.20:
	s_mov_b32 s10, 0
.LBB8_21:                               ; =>This Inner Loop Header: Depth=1
	v_ashrrev_i32_e32 v18, 31, v17
	s_delay_alu instid0(VALU_DEP_1) | instskip(SKIP_1) | instid1(VALU_DEP_2)
	v_lshlrev_b64 v[24:25], 2, v[17:18]
	v_add_nc_u32_e32 v17, 0x80, v17
	v_add_co_u32 v52, vcc_lo, s8, v24
	s_delay_alu instid0(VALU_DEP_3)
	v_add_co_ci_u32_e32 v53, vcc_lo, s9, v25, vcc_lo
	s_clause 0x2
	global_load_b32 v1, v[52:53], off
	global_load_b32 v18, v[52:53], off offset:128
	global_load_b32 v120, v[52:53], off offset:256
	s_clause 0x6
	global_load_b128 v[24:27], v[19:20], off offset:48
	global_load_b128 v[28:31], v[19:20], off offset:32
	;; [unrolled: 1-line block ×3, first 2 shown]
	global_load_b128 v[36:39], v[19:20], off
	global_load_b128 v[40:43], v[19:20], off offset:112
	global_load_b128 v[44:47], v[19:20], off offset:96
	;; [unrolled: 1-line block ×3, first 2 shown]
	global_load_b32 v134, v[52:53], off offset:384
	s_waitcnt vmcnt(10)
	v_subrev_nc_u32_e32 v1, s12, v1
	s_delay_alu instid0(VALU_DEP_1) | instskip(SKIP_2) | instid1(VALU_DEP_2)
	v_lshlrev_b32_e32 v52, 2, v1
	s_waitcnt vmcnt(9)
	v_subrev_nc_u32_e32 v1, s12, v18
	v_ashrrev_i32_e32 v53, 31, v52
	s_delay_alu instid0(VALU_DEP_2) | instskip(SKIP_2) | instid1(VALU_DEP_3)
	v_lshlrev_b32_e32 v80, 2, v1
	s_waitcnt vmcnt(8)
	v_subrev_nc_u32_e32 v1, s12, v120
	v_lshlrev_b64 v[52:53], 3, v[52:53]
	s_delay_alu instid0(VALU_DEP_3) | instskip(NEXT) | instid1(VALU_DEP_3)
	v_ashrrev_i32_e32 v81, 31, v80
	v_lshlrev_b32_e32 v120, 2, v1
	s_waitcnt vmcnt(0)
	v_subrev_nc_u32_e32 v1, s12, v134
	s_delay_alu instid0(VALU_DEP_3)
	v_lshlrev_b64 v[80:81], 3, v[80:81]
	s_waitcnt lgkmcnt(0)
	v_add_co_u32 v60, vcc_lo, s4, v52
	v_add_co_ci_u32_e32 v61, vcc_lo, s5, v53, vcc_lo
	v_add_co_u32 v96, vcc_lo, 0x1000, v19
	global_load_b128 v[52:55], v[19:20], off offset:64
	s_clause 0x1
	global_load_b128 v[56:59], v[60:61], off
	global_load_b128 v[60:63], v[60:61], off offset:16
	v_add_co_ci_u32_e32 v97, vcc_lo, 0, v20, vcc_lo
	v_add_co_u32 v104, vcc_lo, v19, 0x2000
	v_add_co_ci_u32_e32 v105, vcc_lo, 0, v20, vcc_lo
	v_add_co_u32 v100, vcc_lo, s4, v80
	s_clause 0x3
	global_load_b128 v[64:67], v[96:97], off offset:96
	global_load_b128 v[68:71], v[96:97], off offset:48
	;; [unrolled: 1-line block ×3, first 2 shown]
	global_load_b128 v[76:79], v[104:105], off offset:-4096
	v_add_co_ci_u32_e32 v101, vcc_lo, s5, v81, vcc_lo
	global_load_b128 v[80:83], v[96:97], off offset:32
	global_load_b128 v[84:87], v[100:101], off
	s_clause 0x2
	global_load_b128 v[88:91], v[96:97], off offset:16
	global_load_b128 v[92:95], v[96:97], off offset:112
	;; [unrolled: 1-line block ×4, first 2 shown]
	v_ashrrev_i32_e32 v121, 31, v120
	v_add_co_u32 v128, vcc_lo, 0x2000, v19
	v_add_co_ci_u32_e32 v129, vcc_lo, 0, v20, vcc_lo
	s_delay_alu instid0(VALU_DEP_3)
	v_lshlrev_b64 v[120:121], 3, v[120:121]
	s_clause 0x3
	global_load_b128 v[104:107], v[104:105], off
	global_load_b128 v[108:111], v[128:129], off offset:96
	global_load_b128 v[112:115], v[128:129], off offset:48
	;; [unrolled: 1-line block ×3, first 2 shown]
	v_add_co_u32 v130, vcc_lo, s4, v120
	v_add_co_ci_u32_e32 v131, vcc_lo, s5, v121, vcc_lo
	global_load_b128 v[120:123], v[128:129], off offset:32
	global_load_b128 v[124:127], v[130:131], off
	v_add_co_u32 v132, vcc_lo, 0x3000, v19
	v_add_co_ci_u32_e32 v133, vcc_lo, 0, v20, vcc_lo
	v_add_co_u32 v19, s3, 0x4000, v19
	s_delay_alu instid0(VALU_DEP_1)
	v_add_co_ci_u32_e64 v20, s3, 0, v20, s3
	s_waitcnt vmcnt(17)
	v_fma_f64 v[13:14], v[36:37], v[56:57], v[13:14]
	v_fma_f64 v[15:16], v[28:29], v[56:57], v[15:16]
	v_fma_f64 v[11:12], v[52:53], v[56:57], v[11:12]
	v_fma_f64 v[6:7], v[44:45], v[56:57], v[6:7]
	s_delay_alu instid0(VALU_DEP_4) | instskip(NEXT) | instid1(VALU_DEP_4)
	v_fma_f64 v[52:53], v[38:39], v[58:59], v[13:14]
	v_fma_f64 v[15:16], v[30:31], v[58:59], v[15:16]
	s_delay_alu instid0(VALU_DEP_4) | instskip(NEXT) | instid1(VALU_DEP_4)
	v_fma_f64 v[54:55], v[54:55], v[58:59], v[11:12]
	v_fma_f64 v[6:7], v[46:47], v[58:59], v[6:7]
	s_clause 0x2
	global_load_b128 v[11:14], v[128:129], off offset:16
	global_load_b128 v[28:31], v[128:129], off offset:112
	;; [unrolled: 1-line block ×4, first 2 shown]
	s_waitcnt vmcnt(20)
	v_fma_f64 v[32:33], v[32:33], v[60:61], v[52:53]
	v_fma_f64 v[15:16], v[24:25], v[60:61], v[15:16]
	;; [unrolled: 1-line block ×4, first 2 shown]
	v_lshlrev_b32_e32 v40, 2, v1
	s_clause 0x2
	global_load_b128 v[52:55], v[132:133], off
	global_load_b128 v[56:59], v[132:133], off offset:96
	global_load_b128 v[128:131], v[132:133], off offset:64
	v_ashrrev_i32_e32 v41, 31, v40
	v_fma_f64 v[48:49], v[34:35], v[62:63], v[32:33]
	v_fma_f64 v[15:16], v[26:27], v[62:63], v[15:16]
	;; [unrolled: 1-line block ×4, first 2 shown]
	v_lshlrev_b64 v[24:25], 3, v[40:41]
	s_delay_alu instid0(VALU_DEP_1) | instskip(NEXT) | instid1(VALU_DEP_2)
	v_add_co_u32 v134, vcc_lo, s4, v24
	v_add_co_ci_u32_e32 v135, vcc_lo, s5, v25, vcc_lo
	global_load_b128 v[24:27], v[132:133], off offset:32
	global_load_b128 v[32:35], v[134:135], off
	v_cmp_ge_i32_e32 vcc_lo, v17, v22
	s_or_b32 s10, vcc_lo, s10
	s_waitcnt vmcnt(19)
	v_fma_f64 v[40:41], v[76:77], v[84:85], v[48:49]
	v_fma_f64 v[15:16], v[80:81], v[84:85], v[15:16]
	;; [unrolled: 1-line block ×4, first 2 shown]
	s_delay_alu instid0(VALU_DEP_4) | instskip(NEXT) | instid1(VALU_DEP_4)
	v_fma_f64 v[76:77], v[78:79], v[86:87], v[40:41]
	v_fma_f64 v[15:16], v[82:83], v[86:87], v[15:16]
	s_delay_alu instid0(VALU_DEP_4) | instskip(NEXT) | instid1(VALU_DEP_4)
	v_fma_f64 v[78:79], v[74:75], v[86:87], v[42:43]
	v_fma_f64 v[6:7], v[66:67], v[86:87], v[6:7]
	s_clause 0x3
	global_load_b128 v[40:43], v[132:133], off offset:48
	global_load_b128 v[48:51], v[132:133], off offset:112
	;; [unrolled: 1-line block ×5, first 2 shown]
	s_waitcnt vmcnt(20)
	v_fma_f64 v[76:77], v[88:89], v[100:101], v[76:77]
	v_fma_f64 v[15:16], v[68:69], v[100:101], v[15:16]
	v_fma_f64 v[68:69], v[96:97], v[100:101], v[78:79]
	v_fma_f64 v[6:7], v[92:93], v[100:101], v[6:7]
	s_delay_alu instid0(VALU_DEP_4) | instskip(NEXT) | instid1(VALU_DEP_4)
	v_fma_f64 v[76:77], v[90:91], v[102:103], v[76:77]
	v_fma_f64 v[15:16], v[70:71], v[102:103], v[15:16]
	s_delay_alu instid0(VALU_DEP_4) | instskip(NEXT) | instid1(VALU_DEP_4)
	v_fma_f64 v[68:69], v[98:99], v[102:103], v[68:69]
	v_fma_f64 v[6:7], v[94:95], v[102:103], v[6:7]
	s_waitcnt vmcnt(14)
	s_delay_alu instid0(VALU_DEP_4) | instskip(NEXT) | instid1(VALU_DEP_4)
	v_fma_f64 v[70:71], v[104:105], v[124:125], v[76:77]
	v_fma_f64 v[15:16], v[120:121], v[124:125], v[15:16]
	s_delay_alu instid0(VALU_DEP_4) | instskip(NEXT) | instid1(VALU_DEP_4)
	v_fma_f64 v[68:69], v[116:117], v[124:125], v[68:69]
	v_fma_f64 v[6:7], v[108:109], v[124:125], v[6:7]
	s_delay_alu instid0(VALU_DEP_4) | instskip(NEXT) | instid1(VALU_DEP_4)
	v_fma_f64 v[70:71], v[106:107], v[126:127], v[70:71]
	v_fma_f64 v[15:16], v[122:123], v[126:127], v[15:16]
	s_delay_alu instid0(VALU_DEP_4) | instskip(NEXT) | instid1(VALU_DEP_4)
	v_fma_f64 v[68:69], v[118:119], v[126:127], v[68:69]
	v_fma_f64 v[6:7], v[110:111], v[126:127], v[6:7]
	s_waitcnt vmcnt(10)
	s_delay_alu instid0(VALU_DEP_4) | instskip(NEXT) | instid1(VALU_DEP_4)
	v_fma_f64 v[11:12], v[11:12], v[44:45], v[70:71]
	v_fma_f64 v[15:16], v[112:113], v[44:45], v[15:16]
	s_delay_alu instid0(VALU_DEP_4) | instskip(NEXT) | instid1(VALU_DEP_4)
	v_fma_f64 v[36:37], v[36:37], v[44:45], v[68:69]
	v_fma_f64 v[6:7], v[28:29], v[44:45], v[6:7]
	;; [unrolled: 13-line block ×4, first 2 shown]
	s_delay_alu instid0(VALU_DEP_4) | instskip(NEXT) | instid1(VALU_DEP_4)
	v_fma_f64 v[13:14], v[66:67], v[74:75], v[11:12]
	v_fma_f64 v[15:16], v[42:43], v[74:75], v[24:25]
	s_delay_alu instid0(VALU_DEP_4) | instskip(NEXT) | instid1(VALU_DEP_4)
	v_fma_f64 v[11:12], v[62:63], v[74:75], v[26:27]
	v_fma_f64 v[6:7], v[50:51], v[74:75], v[6:7]
	s_and_not1_b32 exec_lo, exec_lo, s10
	s_cbranch_execnz .LBB8_21
; %bb.22:
	s_or_b32 exec_lo, exec_lo, s10
.LBB8_23:
	s_delay_alu instid0(SALU_CYCLE_1)
	s_or_b32 exec_lo, exec_lo, s7
.LBB8_24:
	s_delay_alu instid0(SALU_CYCLE_1)
	s_or_b32 exec_lo, exec_lo, s6
	s_cbranch_execz .LBB8_26
	s_branch .LBB8_37
.LBB8_25:
                                        ; implicit-def: $vgpr6_vgpr7
                                        ; implicit-def: $vgpr11_vgpr12
                                        ; implicit-def: $vgpr15_vgpr16
                                        ; implicit-def: $vgpr13_vgpr14
.LBB8_26:
	v_mov_b32_e32 v6, 0
	v_mov_b32_e32 v7, 0
	s_delay_alu instid0(VALU_DEP_1)
	v_dual_mov_b32 v12, v7 :: v_dual_mov_b32 v11, v6
	v_dual_mov_b32 v16, v7 :: v_dual_mov_b32 v15, v6
	;; [unrolled: 1-line block ×3, first 2 shown]
	s_and_saveexec_b32 s3, s2
	s_cbranch_execz .LBB8_36
; %bb.27:
	v_add_nc_u32_e32 v1, v23, v21
	v_mov_b32_e32 v13, 0
	v_mov_b32_e32 v14, 0
	v_not_b32_e32 v6, v23
	s_delay_alu instid0(VALU_DEP_3) | instskip(SKIP_4) | instid1(VALU_DEP_2)
	v_mov_b32_e32 v11, v13
	v_subrev_nc_u32_e32 v1, s12, v1
	s_mov_b32 s7, 0
	s_mov_b32 s6, exec_lo
	v_dual_mov_b32 v16, v14 :: v_dual_mov_b32 v15, v13
	v_dual_mov_b32 v12, v14 :: v_dual_add_nc_u32 v1, 32, v1
	s_delay_alu instid0(VALU_DEP_1) | instskip(NEXT) | instid1(VALU_DEP_1)
	v_max_i32_e32 v1, v1, v22
	v_add3_u32 v1, v1, s12, v6
	v_dual_mov_b32 v6, v13 :: v_dual_mov_b32 v7, v14
	s_delay_alu instid0(VALU_DEP_2) | instskip(NEXT) | instid1(VALU_DEP_1)
	v_sub_nc_u32_e32 v17, v1, v21
	v_lshrrev_b32_e32 v1, 5, v17
	s_delay_alu instid0(VALU_DEP_1) | instskip(NEXT) | instid1(VALU_DEP_1)
	v_add_nc_u32_e32 v1, 1, v1
	v_and_b32_e32 v1, 3, v1
	s_delay_alu instid0(VALU_DEP_1)
	v_cmpx_ne_u32_e32 0, v1
	s_cbranch_execz .LBB8_31
; %bb.28:
	v_mov_b32_e32 v6, 0
	v_dual_mov_b32 v7, 0 :: v_dual_lshlrev_b32 v18, 7, v1
	s_delay_alu instid0(VALU_DEP_1)
	v_dual_mov_b32 v12, v7 :: v_dual_mov_b32 v11, v6
	v_dual_mov_b32 v16, v7 :: v_dual_mov_b32 v15, v6
	;; [unrolled: 1-line block ×3, first 2 shown]
.LBB8_29:                               ; =>This Inner Loop Header: Depth=1
	v_ashrrev_i32_e32 v1, 31, v0
	v_add_nc_u32_e32 v18, 0xffffff80, v18
	s_delay_alu instid0(VALU_DEP_2) | instskip(NEXT) | instid1(VALU_DEP_2)
	v_lshlrev_b64 v[19:20], 2, v[0:1]
	v_cmp_eq_u32_e64 s2, 0, v18
	v_add_nc_u32_e32 v0, 32, v0
	s_delay_alu instid0(VALU_DEP_2) | instskip(NEXT) | instid1(VALU_DEP_3)
	s_or_b32 s7, s2, s7
	v_add_co_u32 v19, vcc_lo, s8, v19
	s_delay_alu instid0(VALU_DEP_4) | instskip(SKIP_4) | instid1(VALU_DEP_1)
	v_add_co_ci_u32_e32 v20, vcc_lo, s9, v20, vcc_lo
	global_load_b32 v1, v[19:20], off
	global_load_b128 v[23:26], v[4:5], off offset:16
	s_waitcnt vmcnt(1)
	v_subrev_nc_u32_e32 v1, s12, v1
	v_lshlrev_b32_e32 v19, 2, v1
	s_delay_alu instid0(VALU_DEP_1) | instskip(NEXT) | instid1(VALU_DEP_1)
	v_ashrrev_i32_e32 v20, 31, v19
	v_lshlrev_b64 v[19:20], 3, v[19:20]
	s_waitcnt lgkmcnt(0)
	s_delay_alu instid0(VALU_DEP_1) | instskip(NEXT) | instid1(VALU_DEP_2)
	v_add_co_u32 v19, vcc_lo, s4, v19
	v_add_co_ci_u32_e32 v20, vcc_lo, s5, v20, vcc_lo
	global_load_b128 v[27:30], v[4:5], off
	s_clause 0x1
	global_load_b128 v[31:34], v[19:20], off
	global_load_b128 v[35:38], v[19:20], off offset:16
	s_clause 0x5
	global_load_b128 v[39:42], v[4:5], off offset:32
	global_load_b128 v[43:46], v[4:5], off offset:48
	;; [unrolled: 1-line block ×6, first 2 shown]
	v_add_co_u32 v4, vcc_lo, 0x1000, v4
	v_add_co_ci_u32_e32 v5, vcc_lo, 0, v5, vcc_lo
	s_waitcnt vmcnt(7)
	v_fma_f64 v[13:14], v[27:28], v[31:32], v[13:14]
	v_fma_f64 v[15:16], v[29:30], v[31:32], v[15:16]
	;; [unrolled: 1-line block ×4, first 2 shown]
	s_waitcnt vmcnt(5)
	s_delay_alu instid0(VALU_DEP_4) | instskip(NEXT) | instid1(VALU_DEP_4)
	v_fma_f64 v[13:14], v[39:40], v[33:34], v[13:14]
	v_fma_f64 v[15:16], v[41:42], v[33:34], v[15:16]
	s_waitcnt vmcnt(4)
	s_delay_alu instid0(VALU_DEP_4) | instskip(NEXT) | instid1(VALU_DEP_4)
	v_fma_f64 v[11:12], v[43:44], v[33:34], v[11:12]
	v_fma_f64 v[6:7], v[45:46], v[33:34], v[6:7]
	;; [unrolled: 4-line block ×6, first 2 shown]
	s_and_not1_b32 exec_lo, exec_lo, s7
	s_cbranch_execnz .LBB8_29
; %bb.30:
	s_or_b32 exec_lo, exec_lo, s7
.LBB8_31:
	s_delay_alu instid0(SALU_CYCLE_1) | instskip(NEXT) | instid1(SALU_CYCLE_1)
	s_or_b32 exec_lo, exec_lo, s6
	s_mov_b32 s6, exec_lo
	v_cmpx_lt_u32_e32 0x5f, v17
	s_cbranch_execz .LBB8_35
; %bb.32:
	s_mov_b32 s7, 0
.LBB8_33:                               ; =>This Inner Loop Header: Depth=1
	v_ashrrev_i32_e32 v1, 31, v0
	s_delay_alu instid0(VALU_DEP_1) | instskip(SKIP_1) | instid1(VALU_DEP_2)
	v_lshlrev_b64 v[17:18], 2, v[0:1]
	v_add_nc_u32_e32 v0, 0x80, v0
	v_add_co_u32 v23, vcc_lo, s8, v17
	s_delay_alu instid0(VALU_DEP_3)
	v_add_co_ci_u32_e32 v24, vcc_lo, s9, v18, vcc_lo
	s_clause 0x2
	global_load_b32 v1, v[23:24], off
	global_load_b32 v67, v[23:24], off offset:128
	global_load_b32 v107, v[23:24], off offset:256
	global_load_b128 v[17:20], v[4:5], off offset:16
	global_load_b32 v121, v[23:24], off offset:384
	s_waitcnt vmcnt(4)
	v_subrev_nc_u32_e32 v1, s12, v1
	s_delay_alu instid0(VALU_DEP_1) | instskip(SKIP_2) | instid1(VALU_DEP_2)
	v_lshlrev_b32_e32 v23, 2, v1
	s_waitcnt vmcnt(3)
	v_subrev_nc_u32_e32 v1, s12, v67
	v_ashrrev_i32_e32 v24, 31, v23
	s_delay_alu instid0(VALU_DEP_2) | instskip(SKIP_2) | instid1(VALU_DEP_3)
	v_lshlrev_b32_e32 v67, 2, v1
	s_waitcnt vmcnt(2)
	v_subrev_nc_u32_e32 v1, s12, v107
	v_lshlrev_b64 v[23:24], 3, v[23:24]
	s_delay_alu instid0(VALU_DEP_3) | instskip(NEXT) | instid1(VALU_DEP_3)
	v_ashrrev_i32_e32 v68, 31, v67
	v_lshlrev_b32_e32 v107, 2, v1
	s_waitcnt vmcnt(0)
	v_subrev_nc_u32_e32 v1, s12, v121
	s_delay_alu instid0(VALU_DEP_3)
	v_lshlrev_b64 v[67:68], 3, v[67:68]
	s_waitcnt lgkmcnt(0)
	v_add_co_u32 v47, vcc_lo, s4, v23
	v_add_co_ci_u32_e32 v48, vcc_lo, s5, v24, vcc_lo
	v_add_co_u32 v99, vcc_lo, v4, 0x2000
	global_load_b128 v[23:26], v[4:5], off
	global_load_b128 v[27:30], v[47:48], off
	s_clause 0x3
	global_load_b128 v[31:34], v[4:5], off offset:32
	global_load_b128 v[35:38], v[4:5], off offset:48
	global_load_b128 v[39:42], v[4:5], off offset:64
	global_load_b128 v[43:46], v[4:5], off offset:80
	global_load_b128 v[47:50], v[47:48], off offset:16
	s_clause 0x1
	global_load_b128 v[51:54], v[4:5], off offset:112
	global_load_b128 v[55:58], v[4:5], off offset:96
	v_add_co_ci_u32_e32 v100, vcc_lo, 0, v5, vcc_lo
	v_add_co_u32 v95, vcc_lo, 0x1000, v4
	v_add_co_ci_u32_e32 v96, vcc_lo, 0, v5, vcc_lo
	v_add_co_u32 v87, vcc_lo, s4, v67
	v_add_co_ci_u32_e32 v88, vcc_lo, s5, v68, vcc_lo
	s_clause 0x2
	global_load_b128 v[59:62], v[99:100], off offset:-4096
	global_load_b128 v[63:66], v[95:96], off offset:32
	global_load_b128 v[67:70], v[95:96], off offset:16
	global_load_b128 v[71:74], v[87:88], off
	s_clause 0x2
	global_load_b128 v[75:78], v[95:96], off offset:48
	global_load_b128 v[79:82], v[95:96], off offset:64
	;; [unrolled: 1-line block ×4, first 2 shown]
	s_clause 0x1
	global_load_b128 v[91:94], v[95:96], off offset:96
	global_load_b128 v[95:98], v[95:96], off offset:112
	v_ashrrev_i32_e32 v108, 31, v107
	v_add_co_u32 v115, vcc_lo, 0x2000, v4
	v_add_co_ci_u32_e32 v116, vcc_lo, 0, v5, vcc_lo
	s_delay_alu instid0(VALU_DEP_3)
	v_lshlrev_b64 v[107:108], 3, v[107:108]
	s_clause 0x1
	global_load_b128 v[99:102], v[99:100], off
	global_load_b128 v[103:106], v[115:116], off offset:32
	v_add_co_u32 v117, vcc_lo, s4, v107
	v_add_co_ci_u32_e32 v118, vcc_lo, s5, v108, vcc_lo
	global_load_b128 v[107:110], v[115:116], off offset:16
	global_load_b128 v[111:114], v[117:118], off
	v_add_co_u32 v119, vcc_lo, 0x3000, v4
	v_add_co_ci_u32_e32 v120, vcc_lo, 0, v5, vcc_lo
	v_add_co_u32 v4, s2, 0x4000, v4
	s_delay_alu instid0(VALU_DEP_1)
	v_add_co_ci_u32_e64 v5, s2, 0, v5, s2
	s_waitcnt vmcnt(21)
	v_fma_f64 v[23:24], v[23:24], v[27:28], v[13:14]
	v_fma_f64 v[15:16], v[25:26], v[27:28], v[15:16]
	;; [unrolled: 1-line block ×4, first 2 shown]
	global_load_b128 v[11:14], v[115:116], off offset:48
	s_waitcnt vmcnt(21)
	v_fma_f64 v[19:20], v[31:32], v[29:30], v[23:24]
	v_fma_f64 v[31:32], v[33:34], v[29:30], v[15:16]
	s_waitcnt vmcnt(20)
	v_fma_f64 v[33:34], v[35:36], v[29:30], v[17:18]
	v_fma_f64 v[6:7], v[37:38], v[29:30], v[6:7]
	s_clause 0x1
	global_load_b128 v[15:18], v[115:116], off offset:64
	global_load_b128 v[23:26], v[115:116], off offset:80
	;; [unrolled: 1-line block ×3, first 2 shown]
	s_waitcnt vmcnt(20)
	v_fma_f64 v[19:20], v[39:40], v[47:48], v[19:20]
	v_fma_f64 v[117:118], v[41:42], v[47:48], v[31:32]
	;; [unrolled: 1-line block ×4, first 2 shown]
	s_clause 0x1
	global_load_b128 v[31:34], v[115:116], off offset:96
	global_load_b128 v[35:38], v[115:116], off offset:112
	v_lshlrev_b32_e32 v45, 2, v1
	global_load_b128 v[39:42], v[119:120], off
	v_ashrrev_i32_e32 v46, 31, v45
	s_waitcnt vmcnt(21)
	v_fma_f64 v[19:20], v[55:56], v[49:50], v[19:20]
	v_fma_f64 v[55:56], v[57:58], v[49:50], v[117:118]
	;; [unrolled: 1-line block ×4, first 2 shown]
	v_lshlrev_b64 v[43:44], 3, v[45:46]
	s_delay_alu instid0(VALU_DEP_1) | instskip(NEXT) | instid1(VALU_DEP_2)
	v_add_co_u32 v115, vcc_lo, s4, v43
	v_add_co_ci_u32_e32 v116, vcc_lo, s5, v44, vcc_lo
	global_load_b128 v[43:46], v[119:120], off offset:16
	global_load_b128 v[47:50], v[115:116], off
	v_cmp_ge_i32_e32 vcc_lo, v0, v22
	s_or_b32 s7, vcc_lo, s7
	s_waitcnt vmcnt(19)
	v_fma_f64 v[19:20], v[59:60], v[71:72], v[19:20]
	v_fma_f64 v[59:60], v[61:62], v[71:72], v[55:56]
	;; [unrolled: 1-line block ×4, first 2 shown]
	s_clause 0x1
	global_load_b128 v[51:54], v[119:120], off offset:32
	global_load_b128 v[55:58], v[119:120], off offset:48
	v_fma_f64 v[19:20], v[63:64], v[73:74], v[19:20]
	v_fma_f64 v[71:72], v[65:66], v[73:74], v[59:60]
	s_waitcnt vmcnt(20)
	v_fma_f64 v[75:76], v[75:76], v[73:74], v[61:62]
	v_fma_f64 v[6:7], v[77:78], v[73:74], v[6:7]
	s_clause 0x1
	global_load_b128 v[59:62], v[119:120], off offset:64
	global_load_b128 v[63:66], v[119:120], off offset:80
	;; [unrolled: 1-line block ×3, first 2 shown]
	s_waitcnt vmcnt(20)
	v_fma_f64 v[19:20], v[79:80], v[87:88], v[19:20]
	v_fma_f64 v[79:80], v[81:82], v[87:88], v[71:72]
	;; [unrolled: 1-line block ×4, first 2 shown]
	s_clause 0x1
	global_load_b128 v[71:74], v[119:120], off offset:96
	global_load_b128 v[75:78], v[119:120], off offset:112
	s_waitcnt vmcnt(21)
	v_fma_f64 v[19:20], v[91:92], v[89:90], v[19:20]
	v_fma_f64 v[79:80], v[93:94], v[89:90], v[79:80]
	s_waitcnt vmcnt(20)
	v_fma_f64 v[81:82], v[95:96], v[89:90], v[81:82]
	v_fma_f64 v[6:7], v[97:98], v[89:90], v[6:7]
	s_waitcnt vmcnt(16)
	s_delay_alu instid0(VALU_DEP_4) | instskip(NEXT) | instid1(VALU_DEP_4)
	v_fma_f64 v[19:20], v[99:100], v[111:112], v[19:20]
	v_fma_f64 v[79:80], v[101:102], v[111:112], v[79:80]
	s_delay_alu instid0(VALU_DEP_4) | instskip(NEXT) | instid1(VALU_DEP_4)
	v_fma_f64 v[81:82], v[107:108], v[111:112], v[81:82]
	v_fma_f64 v[6:7], v[109:110], v[111:112], v[6:7]
	;; [unrolled: 3-line block ×3, first 2 shown]
	s_waitcnt vmcnt(15)
	s_delay_alu instid0(VALU_DEP_4) | instskip(NEXT) | instid1(VALU_DEP_4)
	v_fma_f64 v[11:12], v[11:12], v[113:114], v[81:82]
	v_fma_f64 v[6:7], v[13:14], v[113:114], v[6:7]
	s_waitcnt vmcnt(12)
	s_delay_alu instid0(VALU_DEP_4) | instskip(NEXT) | instid1(VALU_DEP_4)
	v_fma_f64 v[13:14], v[15:16], v[27:28], v[19:20]
	v_fma_f64 v[15:16], v[17:18], v[27:28], v[79:80]
	s_delay_alu instid0(VALU_DEP_4) | instskip(NEXT) | instid1(VALU_DEP_4)
	v_fma_f64 v[11:12], v[23:24], v[27:28], v[11:12]
	v_fma_f64 v[6:7], v[25:26], v[27:28], v[6:7]
	s_waitcnt vmcnt(11)
	s_delay_alu instid0(VALU_DEP_4) | instskip(NEXT) | instid1(VALU_DEP_4)
	v_fma_f64 v[13:14], v[31:32], v[29:30], v[13:14]
	v_fma_f64 v[15:16], v[33:34], v[29:30], v[15:16]
	s_waitcnt vmcnt(10)
	s_delay_alu instid0(VALU_DEP_4) | instskip(NEXT) | instid1(VALU_DEP_4)
	v_fma_f64 v[11:12], v[35:36], v[29:30], v[11:12]
	v_fma_f64 v[6:7], v[37:38], v[29:30], v[6:7]
	s_waitcnt vmcnt(7)
	s_delay_alu instid0(VALU_DEP_4) | instskip(NEXT) | instid1(VALU_DEP_4)
	v_fma_f64 v[13:14], v[39:40], v[47:48], v[13:14]
	v_fma_f64 v[15:16], v[41:42], v[47:48], v[15:16]
	s_delay_alu instid0(VALU_DEP_4) | instskip(NEXT) | instid1(VALU_DEP_4)
	v_fma_f64 v[11:12], v[43:44], v[47:48], v[11:12]
	v_fma_f64 v[6:7], v[45:46], v[47:48], v[6:7]
	s_waitcnt vmcnt(6)
	s_delay_alu instid0(VALU_DEP_4) | instskip(NEXT) | instid1(VALU_DEP_4)
	v_fma_f64 v[13:14], v[51:52], v[49:50], v[13:14]
	v_fma_f64 v[15:16], v[53:54], v[49:50], v[15:16]
	;; [unrolled: 15-line block ×3, first 2 shown]
	s_waitcnt vmcnt(0)
	s_delay_alu instid0(VALU_DEP_4) | instskip(NEXT) | instid1(VALU_DEP_4)
	v_fma_f64 v[11:12], v[75:76], v[69:70], v[11:12]
	v_fma_f64 v[6:7], v[77:78], v[69:70], v[6:7]
	s_and_not1_b32 exec_lo, exec_lo, s7
	s_cbranch_execnz .LBB8_33
; %bb.34:
	s_or_b32 exec_lo, exec_lo, s7
.LBB8_35:
	s_delay_alu instid0(SALU_CYCLE_1)
	s_or_b32 exec_lo, exec_lo, s6
.LBB8_36:
	s_delay_alu instid0(SALU_CYCLE_1)
	s_or_b32 exec_lo, exec_lo, s3
.LBB8_37:
	v_mbcnt_lo_u32_b32 v24, -1, 0
	s_delay_alu instid0(VALU_DEP_1) | instskip(NEXT) | instid1(VALU_DEP_1)
	v_xor_b32_e32 v0, 16, v24
	v_cmp_gt_i32_e32 vcc_lo, 32, v0
	v_cndmask_b32_e32 v0, v24, v0, vcc_lo
	s_delay_alu instid0(VALU_DEP_1)
	v_lshlrev_b32_e32 v20, 2, v0
	ds_bpermute_b32 v0, v20, v13
	ds_bpermute_b32 v1, v20, v14
	s_waitcnt lgkmcnt(0)
	v_add_f64 v[0:1], v[13:14], v[0:1]
	v_xor_b32_e32 v13, 8, v24
	s_delay_alu instid0(VALU_DEP_1)
	v_cmp_gt_i32_e32 vcc_lo, 32, v13
	v_cndmask_b32_e32 v13, v24, v13, vcc_lo
	ds_bpermute_b32 v4, v20, v15
	ds_bpermute_b32 v5, v20, v16
	;; [unrolled: 1-line block ×6, first 2 shown]
	s_waitcnt lgkmcnt(4)
	v_add_f64 v[4:5], v[15:16], v[4:5]
	s_waitcnt lgkmcnt(2)
	v_add_f64 v[11:12], v[11:12], v[17:18]
	;; [unrolled: 2-line block ×3, first 2 shown]
	v_lshlrev_b32_e32 v20, 2, v13
	ds_bpermute_b32 v13, v20, v0
	ds_bpermute_b32 v14, v20, v1
	s_waitcnt lgkmcnt(0)
	v_add_f64 v[0:1], v[0:1], v[13:14]
	v_xor_b32_e32 v13, 4, v24
	s_delay_alu instid0(VALU_DEP_1)
	v_cmp_gt_i32_e32 vcc_lo, 32, v13
	ds_bpermute_b32 v15, v20, v4
	ds_bpermute_b32 v16, v20, v5
	;; [unrolled: 1-line block ×6, first 2 shown]
	v_cndmask_b32_e32 v13, v24, v13, vcc_lo
	s_waitcnt lgkmcnt(4)
	v_add_f64 v[4:5], v[4:5], v[15:16]
	s_waitcnt lgkmcnt(2)
	v_add_f64 v[11:12], v[11:12], v[17:18]
	;; [unrolled: 2-line block ×3, first 2 shown]
	v_lshlrev_b32_e32 v20, 2, v13
	ds_bpermute_b32 v13, v20, v0
	ds_bpermute_b32 v14, v20, v1
	s_waitcnt lgkmcnt(0)
	v_add_f64 v[0:1], v[0:1], v[13:14]
	ds_bpermute_b32 v15, v20, v4
	ds_bpermute_b32 v16, v20, v5
	;; [unrolled: 1-line block ×6, first 2 shown]
	s_waitcnt lgkmcnt(4)
	v_add_f64 v[4:5], v[4:5], v[15:16]
	s_waitcnt lgkmcnt(2)
	v_add_f64 v[13:14], v[11:12], v[17:18]
	;; [unrolled: 2-line block ×3, first 2 shown]
	v_xor_b32_e32 v6, 2, v24
	s_delay_alu instid0(VALU_DEP_1) | instskip(SKIP_1) | instid1(VALU_DEP_1)
	v_cmp_gt_i32_e32 vcc_lo, 32, v6
	v_cndmask_b32_e32 v6, v24, v6, vcc_lo
	v_lshlrev_b32_e32 v11, 2, v6
	ds_bpermute_b32 v6, v11, v0
	ds_bpermute_b32 v7, v11, v1
	;; [unrolled: 1-line block ×8, first 2 shown]
	s_waitcnt lgkmcnt(6)
	v_add_f64 v[11:12], v[0:1], v[6:7]
	s_waitcnt lgkmcnt(4)
	v_add_f64 v[6:7], v[4:5], v[17:18]
	;; [unrolled: 2-line block ×3, first 2 shown]
	v_xor_b32_e32 v13, 1, v24
	s_waitcnt lgkmcnt(0)
	v_add_f64 v[4:5], v[15:16], v[22:23]
	s_delay_alu instid0(VALU_DEP_2) | instskip(SKIP_2) | instid1(VALU_DEP_2)
	v_cmp_gt_i32_e32 vcc_lo, 32, v13
	v_cndmask_b32_e32 v13, v24, v13, vcc_lo
	v_cmp_eq_u32_e32 vcc_lo, 31, v21
	v_lshlrev_b32_e32 v14, 2, v13
	ds_bpermute_b32 v19, v14, v11
	ds_bpermute_b32 v20, v14, v12
	;; [unrolled: 1-line block ×8, first 2 shown]
	s_and_b32 exec_lo, exec_lo, vcc_lo
	s_cbranch_execz .LBB8_10
; %bb.38:
	s_waitcnt lgkmcnt(6)
	v_add_f64 v[11:12], v[11:12], v[19:20]
	s_waitcnt lgkmcnt(4)
	v_add_f64 v[6:7], v[6:7], v[17:18]
	;; [unrolled: 2-line block ×4, first 2 shown]
	s_load_b64 s[0:1], s[0:1], 0x50
	v_lshlrev_b32_e32 v10, 2, v10
	s_mov_b32 s2, exec_lo
	v_mul_f64 v[4:5], v[2:3], v[11:12]
	v_mul_f64 v[6:7], v[2:3], v[6:7]
	;; [unrolled: 1-line block ×4, first 2 shown]
	v_cmpx_eq_f64_e32 0, v[8:9]
	s_xor_b32 s2, exec_lo, s2
	s_cbranch_execz .LBB8_40
; %bb.39:
	v_ashrrev_i32_e32 v11, 31, v10
	s_delay_alu instid0(VALU_DEP_1) | instskip(SKIP_1) | instid1(VALU_DEP_1)
	v_lshlrev_b64 v[8:9], 3, v[10:11]
                                        ; implicit-def: $vgpr10
	s_waitcnt lgkmcnt(0)
	v_add_co_u32 v8, vcc_lo, s0, v8
	s_delay_alu instid0(VALU_DEP_2)
	v_add_co_ci_u32_e32 v9, vcc_lo, s1, v9, vcc_lo
	s_clause 0x1
	global_store_b128 v[8:9], v[4:7], off
	global_store_b128 v[8:9], v[0:3], off offset:16
                                        ; implicit-def: $vgpr8_vgpr9
                                        ; implicit-def: $vgpr4_vgpr5
                                        ; implicit-def: $vgpr0_vgpr1
.LBB8_40:
	s_and_not1_saveexec_b32 s2, s2
	s_cbranch_execz .LBB8_10
; %bb.41:
	v_ashrrev_i32_e32 v11, 31, v10
	s_delay_alu instid0(VALU_DEP_1) | instskip(SKIP_1) | instid1(VALU_DEP_1)
	v_lshlrev_b64 v[10:11], 3, v[10:11]
	s_waitcnt lgkmcnt(0)
	v_add_co_u32 v18, vcc_lo, s0, v10
	s_delay_alu instid0(VALU_DEP_2)
	v_add_co_ci_u32_e32 v19, vcc_lo, s1, v11, vcc_lo
	s_clause 0x1
	global_load_b128 v[10:13], v[18:19], off
	global_load_b128 v[14:17], v[18:19], off offset:16
	s_waitcnt vmcnt(1)
	v_fma_f64 v[4:5], v[8:9], v[10:11], v[4:5]
	v_fma_f64 v[6:7], v[8:9], v[12:13], v[6:7]
	s_waitcnt vmcnt(0)
	v_fma_f64 v[0:1], v[8:9], v[14:15], v[0:1]
	v_fma_f64 v[2:3], v[8:9], v[16:17], v[2:3]
	s_clause 0x1
	global_store_b128 v[18:19], v[4:7], off
	global_store_b128 v[18:19], v[0:3], off offset:16
	s_nop 0
	s_sendmsg sendmsg(MSG_DEALLOC_VGPRS)
	s_endpgm
	.section	.rodata,"a",@progbits
	.p2align	6, 0x0
	.amdhsa_kernel _ZN9rocsparseL18bsrxmvn_4x4_kernelILj128ELj32EdiidddEEvT3_20rocsparse_direction_NS_24const_host_device_scalarIT1_EES1_PKS1_PKT2_SA_S7_PKT4_PKT5_S5_PT6_21rocsparse_index_base_b
		.amdhsa_group_segment_fixed_size 0
		.amdhsa_private_segment_fixed_size 0
		.amdhsa_kernarg_size 96
		.amdhsa_user_sgpr_count 15
		.amdhsa_user_sgpr_dispatch_ptr 0
		.amdhsa_user_sgpr_queue_ptr 0
		.amdhsa_user_sgpr_kernarg_segment_ptr 1
		.amdhsa_user_sgpr_dispatch_id 0
		.amdhsa_user_sgpr_private_segment_size 0
		.amdhsa_wavefront_size32 1
		.amdhsa_uses_dynamic_stack 0
		.amdhsa_enable_private_segment 0
		.amdhsa_system_sgpr_workgroup_id_x 1
		.amdhsa_system_sgpr_workgroup_id_y 0
		.amdhsa_system_sgpr_workgroup_id_z 0
		.amdhsa_system_sgpr_workgroup_info 0
		.amdhsa_system_vgpr_workitem_id 0
		.amdhsa_next_free_vgpr 136
		.amdhsa_next_free_sgpr 16
		.amdhsa_reserve_vcc 1
		.amdhsa_float_round_mode_32 0
		.amdhsa_float_round_mode_16_64 0
		.amdhsa_float_denorm_mode_32 3
		.amdhsa_float_denorm_mode_16_64 3
		.amdhsa_dx10_clamp 1
		.amdhsa_ieee_mode 1
		.amdhsa_fp16_overflow 0
		.amdhsa_workgroup_processor_mode 1
		.amdhsa_memory_ordered 1
		.amdhsa_forward_progress 0
		.amdhsa_shared_vgpr_count 0
		.amdhsa_exception_fp_ieee_invalid_op 0
		.amdhsa_exception_fp_denorm_src 0
		.amdhsa_exception_fp_ieee_div_zero 0
		.amdhsa_exception_fp_ieee_overflow 0
		.amdhsa_exception_fp_ieee_underflow 0
		.amdhsa_exception_fp_ieee_inexact 0
		.amdhsa_exception_int_div_zero 0
	.end_amdhsa_kernel
	.section	.text._ZN9rocsparseL18bsrxmvn_4x4_kernelILj128ELj32EdiidddEEvT3_20rocsparse_direction_NS_24const_host_device_scalarIT1_EES1_PKS1_PKT2_SA_S7_PKT4_PKT5_S5_PT6_21rocsparse_index_base_b,"axG",@progbits,_ZN9rocsparseL18bsrxmvn_4x4_kernelILj128ELj32EdiidddEEvT3_20rocsparse_direction_NS_24const_host_device_scalarIT1_EES1_PKS1_PKT2_SA_S7_PKT4_PKT5_S5_PT6_21rocsparse_index_base_b,comdat
.Lfunc_end8:
	.size	_ZN9rocsparseL18bsrxmvn_4x4_kernelILj128ELj32EdiidddEEvT3_20rocsparse_direction_NS_24const_host_device_scalarIT1_EES1_PKS1_PKT2_SA_S7_PKT4_PKT5_S5_PT6_21rocsparse_index_base_b, .Lfunc_end8-_ZN9rocsparseL18bsrxmvn_4x4_kernelILj128ELj32EdiidddEEvT3_20rocsparse_direction_NS_24const_host_device_scalarIT1_EES1_PKS1_PKT2_SA_S7_PKT4_PKT5_S5_PT6_21rocsparse_index_base_b
                                        ; -- End function
	.section	.AMDGPU.csdata,"",@progbits
; Kernel info:
; codeLenInByte = 5524
; NumSgprs: 18
; NumVgprs: 136
; ScratchSize: 0
; MemoryBound: 1
; FloatMode: 240
; IeeeMode: 1
; LDSByteSize: 0 bytes/workgroup (compile time only)
; SGPRBlocks: 2
; VGPRBlocks: 16
; NumSGPRsForWavesPerEU: 18
; NumVGPRsForWavesPerEU: 136
; Occupancy: 10
; WaveLimiterHint : 1
; COMPUTE_PGM_RSRC2:SCRATCH_EN: 0
; COMPUTE_PGM_RSRC2:USER_SGPR: 15
; COMPUTE_PGM_RSRC2:TRAP_HANDLER: 0
; COMPUTE_PGM_RSRC2:TGID_X_EN: 1
; COMPUTE_PGM_RSRC2:TGID_Y_EN: 0
; COMPUTE_PGM_RSRC2:TGID_Z_EN: 0
; COMPUTE_PGM_RSRC2:TIDIG_COMP_CNT: 0
	.section	.text._ZN9rocsparseL18bsrxmvn_4x4_kernelILj128ELj64EdiidddEEvT3_20rocsparse_direction_NS_24const_host_device_scalarIT1_EES1_PKS1_PKT2_SA_S7_PKT4_PKT5_S5_PT6_21rocsparse_index_base_b,"axG",@progbits,_ZN9rocsparseL18bsrxmvn_4x4_kernelILj128ELj64EdiidddEEvT3_20rocsparse_direction_NS_24const_host_device_scalarIT1_EES1_PKS1_PKT2_SA_S7_PKT4_PKT5_S5_PT6_21rocsparse_index_base_b,comdat
	.globl	_ZN9rocsparseL18bsrxmvn_4x4_kernelILj128ELj64EdiidddEEvT3_20rocsparse_direction_NS_24const_host_device_scalarIT1_EES1_PKS1_PKT2_SA_S7_PKT4_PKT5_S5_PT6_21rocsparse_index_base_b ; -- Begin function _ZN9rocsparseL18bsrxmvn_4x4_kernelILj128ELj64EdiidddEEvT3_20rocsparse_direction_NS_24const_host_device_scalarIT1_EES1_PKS1_PKT2_SA_S7_PKT4_PKT5_S5_PT6_21rocsparse_index_base_b
	.p2align	8
	.type	_ZN9rocsparseL18bsrxmvn_4x4_kernelILj128ELj64EdiidddEEvT3_20rocsparse_direction_NS_24const_host_device_scalarIT1_EES1_PKS1_PKT2_SA_S7_PKT4_PKT5_S5_PT6_21rocsparse_index_base_b,@function
_ZN9rocsparseL18bsrxmvn_4x4_kernelILj128ELj64EdiidddEEvT3_20rocsparse_direction_NS_24const_host_device_scalarIT1_EES1_PKS1_PKT2_SA_S7_PKT4_PKT5_S5_PT6_21rocsparse_index_base_b: ; @_ZN9rocsparseL18bsrxmvn_4x4_kernelILj128ELj64EdiidddEEvT3_20rocsparse_direction_NS_24const_host_device_scalarIT1_EES1_PKS1_PKT2_SA_S7_PKT4_PKT5_S5_PT6_21rocsparse_index_base_b
; %bb.0:
	s_clause 0x2
	s_load_b64 s[12:13], s[0:1], 0x58
	s_load_b64 s[4:5], s[0:1], 0x8
	;; [unrolled: 1-line block ×3, first 2 shown]
	s_waitcnt lgkmcnt(0)
	s_bitcmp1_b32 s13, 0
	v_dual_mov_b32 v15, s5 :: v_dual_mov_b32 v14, s4
	s_cselect_b32 s6, -1, 0
	s_delay_alu instid0(SALU_CYCLE_1)
	s_and_b32 vcc_lo, exec_lo, s6
	s_xor_b32 s6, s6, -1
	s_cbranch_vccnz .LBB9_2
; %bb.1:
	v_dual_mov_b32 v1, s4 :: v_dual_mov_b32 v2, s5
	flat_load_b64 v[14:15], v[1:2]
.LBB9_2:
	v_dual_mov_b32 v13, s3 :: v_dual_mov_b32 v12, s2
	s_and_not1_b32 vcc_lo, exec_lo, s6
	s_cbranch_vccnz .LBB9_4
; %bb.3:
	v_dual_mov_b32 v1, s2 :: v_dual_mov_b32 v2, s3
	flat_load_b64 v[12:13], v[1:2]
.LBB9_4:
	s_waitcnt vmcnt(0) lgkmcnt(0)
	v_cmp_neq_f64_e32 vcc_lo, 0, v[14:15]
	v_cmp_neq_f64_e64 s2, 1.0, v[12:13]
	s_delay_alu instid0(VALU_DEP_1) | instskip(NEXT) | instid1(SALU_CYCLE_1)
	s_or_b32 s2, vcc_lo, s2
	s_and_saveexec_b32 s3, s2
	s_cbranch_execz .LBB9_10
; %bb.5:
	s_clause 0x1
	s_load_b64 s[4:5], s[0:1], 0x18
	s_load_b64 s[2:3], s[0:1], 0x0
	v_lshrrev_b32_e32 v1, 6, v0
	s_delay_alu instid0(VALU_DEP_1)
	v_lshl_or_b32 v16, s15, 1, v1
	s_waitcnt lgkmcnt(0)
	s_cmp_lg_u64 s[4:5], 0
	s_cbranch_scc0 .LBB9_11
; %bb.6:
	s_load_b32 s6, s[0:1], 0x10
	s_mov_b32 s7, 0
                                        ; implicit-def: $vgpr1
	s_waitcnt lgkmcnt(0)
	v_cmp_gt_i32_e32 vcc_lo, s6, v16
	s_mov_b32 s6, 0
	s_and_saveexec_b32 s8, vcc_lo
	s_delay_alu instid0(SALU_CYCLE_1)
	s_xor_b32 s8, exec_lo, s8
	s_cbranch_execz .LBB9_8
; %bb.7:
	v_ashrrev_i32_e32 v17, 31, v16
	s_mov_b32 s6, exec_lo
	s_delay_alu instid0(VALU_DEP_1) | instskip(NEXT) | instid1(VALU_DEP_1)
	v_lshlrev_b64 v[1:2], 2, v[16:17]
	v_add_co_u32 v1, vcc_lo, s4, v1
	s_delay_alu instid0(VALU_DEP_2)
	v_add_co_ci_u32_e32 v2, vcc_lo, s5, v2, vcc_lo
	global_load_b32 v1, v[1:2], off
	s_waitcnt vmcnt(0)
	v_subrev_nc_u32_e32 v1, s12, v1
.LBB9_8:
	s_or_b32 exec_lo, exec_lo, s8
	s_delay_alu instid0(SALU_CYCLE_1)
	s_and_b32 vcc_lo, exec_lo, s7
	s_cbranch_vccz .LBB9_12
.LBB9_9:
	v_cmp_gt_i32_e32 vcc_lo, s2, v16
	s_and_not1_b32 s2, s6, exec_lo
	s_and_b32 s4, vcc_lo, exec_lo
	s_delay_alu instid0(SALU_CYCLE_1) | instskip(NEXT) | instid1(SALU_CYCLE_1)
	s_or_b32 s6, s2, s4
	s_and_b32 exec_lo, exec_lo, s6
	s_cbranch_execnz .LBB9_13
.LBB9_10:
	s_nop 0
	s_sendmsg sendmsg(MSG_DEALLOC_VGPRS)
	s_endpgm
.LBB9_11:
	s_mov_b32 s6, 0
                                        ; implicit-def: $vgpr1
	s_cbranch_execnz .LBB9_9
.LBB9_12:
	s_delay_alu instid0(VALU_DEP_1)
	v_mov_b32_e32 v16, v1
	s_and_b32 exec_lo, exec_lo, s6
	s_cbranch_execz .LBB9_10
.LBB9_13:
	s_load_b256 s[4:11], s[0:1], 0x20
	s_delay_alu instid0(VALU_DEP_1) | instskip(SKIP_1) | instid1(VALU_DEP_2)
	v_ashrrev_i32_e32 v17, 31, v16
	v_and_b32_e32 v33, 63, v0
	v_lshlrev_b64 v[1:2], 2, v[16:17]
	s_waitcnt lgkmcnt(0)
	s_delay_alu instid0(VALU_DEP_1) | instskip(NEXT) | instid1(VALU_DEP_2)
	v_add_co_u32 v3, vcc_lo, s4, v1
	v_add_co_ci_u32_e32 v4, vcc_lo, s5, v2, vcc_lo
	v_add_co_u32 v1, vcc_lo, s6, v1
	v_add_co_ci_u32_e32 v2, vcc_lo, s7, v2, vcc_lo
	global_load_b32 v35, v[3:4], off
	v_add_co_u32 v3, vcc_lo, v3, 4
	v_add_co_ci_u32_e32 v4, vcc_lo, 0, v4, vcc_lo
	s_cmp_eq_u64 s[6:7], 0
	s_load_b64 s[4:5], s[0:1], 0x40
	s_cselect_b32 vcc_lo, -1, 0
	s_cmp_eq_u32 s3, 1
	v_dual_cndmask_b32 v2, v2, v4 :: v_dual_cndmask_b32 v1, v1, v3
	global_load_b32 v2, v[1:2], off
	s_waitcnt vmcnt(1)
	v_subrev_nc_u32_e32 v0, s12, v35
	s_delay_alu instid0(VALU_DEP_1) | instskip(NEXT) | instid1(VALU_DEP_1)
	v_add_nc_u32_e32 v17, v0, v33
	v_ashrrev_i32_e32 v18, 31, v17
	s_waitcnt vmcnt(0)
	v_subrev_nc_u32_e32 v34, s12, v2
	s_delay_alu instid0(VALU_DEP_2) | instskip(NEXT) | instid1(VALU_DEP_2)
	v_lshlrev_b64 v[0:1], 7, v[17:18]
	v_cmp_lt_i32_e64 s2, v17, v34
	s_delay_alu instid0(VALU_DEP_2) | instskip(NEXT) | instid1(VALU_DEP_3)
	v_add_co_u32 v19, vcc_lo, s10, v0
	v_add_co_ci_u32_e32 v20, vcc_lo, s11, v1, vcc_lo
	s_cbranch_scc1 .LBB9_25
; %bb.14:
	v_mov_b32_e32 v21, 0
	v_mov_b32_e32 v22, 0
	s_delay_alu instid0(VALU_DEP_1)
	v_dual_mov_b32 v24, v22 :: v_dual_mov_b32 v23, v21
	v_dual_mov_b32 v28, v22 :: v_dual_mov_b32 v27, v21
	;; [unrolled: 1-line block ×3, first 2 shown]
	s_and_saveexec_b32 s6, s2
	s_cbranch_execz .LBB9_24
; %bb.15:
	v_dual_mov_b32 v25, 0 :: v_dual_add_nc_u32 v0, v35, v33
	v_not_b32_e32 v1, v35
	s_mov_b32 s10, 0
	s_mov_b32 s7, exec_lo
	s_delay_alu instid0(VALU_DEP_2) | instskip(SKIP_3) | instid1(VALU_DEP_4)
	v_subrev_nc_u32_e32 v0, s12, v0
	v_dual_mov_b32 v29, v17 :: v_dual_mov_b32 v26, 0
	v_mov_b32_e32 v23, v25
	v_dual_mov_b32 v21, v25 :: v_dual_mov_b32 v32, v20
	v_dual_mov_b32 v31, v19 :: v_dual_add_nc_u32 v0, 64, v0
	s_delay_alu instid0(VALU_DEP_4) | instskip(SKIP_2) | instid1(VALU_DEP_4)
	v_mov_b32_e32 v28, v26
	v_dual_mov_b32 v22, v26 :: v_dual_mov_b32 v27, v25
	v_mov_b32_e32 v24, v26
	v_max_i32_e32 v0, v0, v34
	s_delay_alu instid0(VALU_DEP_1) | instskip(NEXT) | instid1(VALU_DEP_1)
	v_add3_u32 v0, v0, s12, v1
	v_sub_nc_u32_e32 v0, v0, v33
	s_delay_alu instid0(VALU_DEP_1) | instskip(NEXT) | instid1(VALU_DEP_1)
	v_lshrrev_b32_e32 v1, 6, v0
	v_add_nc_u32_e32 v1, 1, v1
	s_delay_alu instid0(VALU_DEP_1) | instskip(NEXT) | instid1(VALU_DEP_1)
	v_and_b32_e32 v1, 3, v1
	v_cmpx_ne_u32_e32 0, v1
	s_cbranch_execz .LBB9_19
; %bb.16:
	v_dual_mov_b32 v21, 0 :: v_dual_mov_b32 v32, v20
	v_dual_mov_b32 v22, 0 :: v_dual_lshlrev_b32 v1, 7, v1
	v_mov_b32_e32 v31, v19
	s_delay_alu instid0(VALU_DEP_2) | instskip(NEXT) | instid1(VALU_DEP_4)
	v_dual_mov_b32 v29, v17 :: v_dual_mov_b32 v28, v22
	v_dual_mov_b32 v24, v22 :: v_dual_mov_b32 v23, v21
	v_dual_mov_b32 v26, v22 :: v_dual_mov_b32 v27, v21
	v_mov_b32_e32 v25, v21
.LBB9_17:                               ; =>This Inner Loop Header: Depth=1
	s_delay_alu instid0(VALU_DEP_4) | instskip(SKIP_1) | instid1(VALU_DEP_2)
	v_ashrrev_i32_e32 v30, 31, v29
	v_add_nc_u32_e32 v1, 0xffffff80, v1
	v_lshlrev_b64 v[2:3], 2, v[29:30]
	s_delay_alu instid0(VALU_DEP_2) | instskip(SKIP_1) | instid1(VALU_DEP_2)
	v_cmp_eq_u32_e64 s3, 0, v1
	v_add_nc_u32_e32 v29, 64, v29
	s_or_b32 s10, s3, s10
	s_delay_alu instid0(VALU_DEP_3) | instskip(NEXT) | instid1(VALU_DEP_4)
	v_add_co_u32 v2, vcc_lo, s8, v2
	v_add_co_ci_u32_e32 v3, vcc_lo, s9, v3, vcc_lo
	global_load_b32 v10, v[2:3], off
	s_clause 0x6
	global_load_b128 v[2:5], v[31:32], off offset:48
	global_load_b128 v[6:9], v[31:32], off offset:32
	;; [unrolled: 1-line block ×3, first 2 shown]
	global_load_b128 v[40:43], v[31:32], off
	global_load_b128 v[44:47], v[31:32], off offset:112
	global_load_b128 v[48:51], v[31:32], off offset:96
	global_load_b128 v[52:55], v[31:32], off offset:80
	s_waitcnt vmcnt(7)
	v_subrev_nc_u32_e32 v10, s12, v10
	s_delay_alu instid0(VALU_DEP_1) | instskip(NEXT) | instid1(VALU_DEP_1)
	v_lshlrev_b32_e32 v10, 2, v10
	v_ashrrev_i32_e32 v11, 31, v10
	s_delay_alu instid0(VALU_DEP_1) | instskip(SKIP_1) | instid1(VALU_DEP_1)
	v_lshlrev_b64 v[10:11], 3, v[10:11]
	s_waitcnt lgkmcnt(0)
	v_add_co_u32 v10, vcc_lo, s4, v10
	s_delay_alu instid0(VALU_DEP_2)
	v_add_co_ci_u32_e32 v11, vcc_lo, s5, v11, vcc_lo
	global_load_b128 v[56:59], v[31:32], off offset:64
	s_clause 0x1
	global_load_b128 v[60:63], v[10:11], off
	global_load_b128 v[64:67], v[10:11], off offset:16
	v_add_co_u32 v31, vcc_lo, 0x2000, v31
	v_add_co_ci_u32_e32 v32, vcc_lo, 0, v32, vcc_lo
	s_waitcnt vmcnt(1)
	v_fma_f64 v[10:11], v[40:41], v[60:61], v[25:26]
	v_fma_f64 v[6:7], v[6:7], v[60:61], v[27:28]
	v_fma_f64 v[23:24], v[56:57], v[60:61], v[23:24]
	v_fma_f64 v[21:22], v[48:49], v[60:61], v[21:22]
	s_delay_alu instid0(VALU_DEP_4) | instskip(NEXT) | instid1(VALU_DEP_4)
	v_fma_f64 v[10:11], v[42:43], v[62:63], v[10:11]
	v_fma_f64 v[6:7], v[8:9], v[62:63], v[6:7]
	s_delay_alu instid0(VALU_DEP_4) | instskip(NEXT) | instid1(VALU_DEP_4)
	v_fma_f64 v[8:9], v[58:59], v[62:63], v[23:24]
	v_fma_f64 v[21:22], v[50:51], v[62:63], v[21:22]
	s_waitcnt vmcnt(0)
	s_delay_alu instid0(VALU_DEP_4) | instskip(NEXT) | instid1(VALU_DEP_4)
	v_fma_f64 v[10:11], v[36:37], v[64:65], v[10:11]
	v_fma_f64 v[2:3], v[2:3], v[64:65], v[6:7]
	s_delay_alu instid0(VALU_DEP_4) | instskip(NEXT) | instid1(VALU_DEP_4)
	v_fma_f64 v[6:7], v[52:53], v[64:65], v[8:9]
	v_fma_f64 v[8:9], v[44:45], v[64:65], v[21:22]
	;; [unrolled: 3-line block ×4, first 2 shown]
	s_and_not1_b32 exec_lo, exec_lo, s10
	s_cbranch_execnz .LBB9_17
; %bb.18:
	s_or_b32 exec_lo, exec_lo, s10
.LBB9_19:
	s_delay_alu instid0(SALU_CYCLE_1) | instskip(NEXT) | instid1(SALU_CYCLE_1)
	s_or_b32 exec_lo, exec_lo, s7
	s_mov_b32 s7, exec_lo
	v_cmpx_lt_u32_e32 0xbf, v0
	s_cbranch_execz .LBB9_23
; %bb.20:
	s_mov_b32 s10, 0
.LBB9_21:                               ; =>This Inner Loop Header: Depth=1
	v_ashrrev_i32_e32 v30, 31, v29
	v_add_co_u32 v84, vcc_lo, 0x2000, v31
	v_add_co_ci_u32_e32 v85, vcc_lo, 0, v32, vcc_lo
	v_add_co_u32 v120, vcc_lo, 0x4000, v31
	s_delay_alu instid0(VALU_DEP_4) | instskip(SKIP_3) | instid1(VALU_DEP_4)
	v_lshlrev_b64 v[112:113], 2, v[29:30]
	v_add_co_ci_u32_e32 v121, vcc_lo, 0, v32, vcc_lo
	v_add_co_u32 v122, vcc_lo, 0x6000, v31
	v_add_co_ci_u32_e32 v123, vcc_lo, 0, v32, vcc_lo
	v_add_co_u32 v112, vcc_lo, s8, v112
	v_add_co_ci_u32_e32 v113, vcc_lo, s9, v113, vcc_lo
	s_clause 0x15
	global_load_b128 v[0:3], v[31:32], off offset:48
	global_load_b128 v[36:39], v[31:32], off offset:32
	;; [unrolled: 1-line block ×3, first 2 shown]
	global_load_b128 v[40:43], v[31:32], off
	global_load_b128 v[8:11], v[31:32], off offset:112
	global_load_b128 v[44:47], v[31:32], off offset:96
	;; [unrolled: 1-line block ×6, first 2 shown]
	global_load_b128 v[64:67], v[84:85], off
	global_load_b128 v[68:71], v[84:85], off offset:16
	global_load_b128 v[72:75], v[84:85], off offset:112
	;; [unrolled: 1-line block ×7, first 2 shown]
	global_load_b128 v[96:99], v[120:121], off
	global_load_b128 v[100:103], v[120:121], off offset:16
	global_load_b128 v[104:107], v[120:121], off offset:112
	;; [unrolled: 1-line block ×3, first 2 shown]
	s_clause 0x3
	global_load_b32 v18, v[112:113], off
	global_load_b32 v30, v[112:113], off offset:256
	global_load_b32 v130, v[112:113], off offset:512
	global_load_b32 v131, v[112:113], off offset:768
	v_add_nc_u32_e32 v29, 0x100, v29
	v_add_co_u32 v31, s3, 0x8000, v31
	s_delay_alu instid0(VALU_DEP_1) | instskip(SKIP_4) | instid1(VALU_DEP_2)
	v_add_co_ci_u32_e64 v32, s3, 0, v32, s3
	s_waitcnt vmcnt(3)
	v_subrev_nc_u32_e32 v18, s12, v18
	s_waitcnt vmcnt(2)
	v_subrev_nc_u32_e32 v30, s12, v30
	v_lshlrev_b32_e32 v112, 2, v18
	s_waitcnt vmcnt(1)
	v_subrev_nc_u32_e32 v18, s12, v130
	s_delay_alu instid0(VALU_DEP_2) | instskip(NEXT) | instid1(VALU_DEP_1)
	v_ashrrev_i32_e32 v113, 31, v112
	v_lshlrev_b64 v[112:113], 3, v[112:113]
	s_waitcnt lgkmcnt(0)
	s_delay_alu instid0(VALU_DEP_1) | instskip(NEXT) | instid1(VALU_DEP_2)
	v_add_co_u32 v116, vcc_lo, s4, v112
	v_add_co_ci_u32_e32 v117, vcc_lo, s5, v113, vcc_lo
	s_clause 0x1
	global_load_b128 v[112:115], v[116:117], off
	global_load_b128 v[116:119], v[116:117], off offset:16
	s_waitcnt vmcnt(1)
	v_fma_f64 v[25:26], v[40:41], v[112:113], v[25:26]
	v_fma_f64 v[23:24], v[52:53], v[112:113], v[23:24]
	;; [unrolled: 1-line block ×3, first 2 shown]
	v_lshlrev_b32_e32 v44, 2, v18
	v_subrev_nc_u32_e32 v18, s12, v131
	s_delay_alu instid0(VALU_DEP_2) | instskip(NEXT) | instid1(VALU_DEP_1)
	v_ashrrev_i32_e32 v45, 31, v44
	v_lshlrev_b64 v[44:45], 3, v[44:45]
	v_fma_f64 v[124:125], v[42:43], v[114:115], v[25:26]
	v_lshlrev_b32_e32 v25, 2, v30
	v_fma_f64 v[52:53], v[54:55], v[114:115], v[23:24]
	s_delay_alu instid0(VALU_DEP_2) | instskip(NEXT) | instid1(VALU_DEP_1)
	v_ashrrev_i32_e32 v26, 31, v25
	v_lshlrev_b64 v[25:26], 3, v[25:26]
	s_delay_alu instid0(VALU_DEP_1) | instskip(NEXT) | instid1(VALU_DEP_2)
	v_add_co_u32 v126, vcc_lo, s4, v25
	v_add_co_ci_u32_e32 v127, vcc_lo, s5, v26, vcc_lo
	v_fma_f64 v[25:26], v[36:37], v[112:113], v[27:28]
	v_add_co_u32 v54, vcc_lo, s4, v44
	v_fma_f64 v[112:113], v[46:47], v[114:115], v[21:22]
	v_add_co_ci_u32_e32 v55, vcc_lo, s5, v45, vcc_lo
	s_waitcnt vmcnt(0)
	v_fma_f64 v[4:5], v[4:5], v[116:117], v[124:125]
	v_fma_f64 v[48:49], v[48:49], v[116:117], v[52:53]
	v_fma_f64 v[128:129], v[38:39], v[114:115], v[25:26]
	global_load_b128 v[25:28], v[126:127], off
	s_clause 0x1
	global_load_b128 v[36:39], v[120:121], off offset:80
	global_load_b128 v[40:43], v[120:121], off offset:64
	global_load_b128 v[44:47], v[126:127], off offset:16
	global_load_b128 v[21:24], v[122:123], off
	v_fma_f64 v[8:9], v[8:9], v[116:117], v[112:113]
	v_fma_f64 v[114:115], v[6:7], v[118:119], v[4:5]
	global_load_b128 v[4:7], v[54:55], off
	v_fma_f64 v[124:125], v[50:51], v[118:119], v[48:49]
	v_fma_f64 v[0:1], v[0:1], v[116:117], v[128:129]
	v_lshlrev_b32_e32 v116, 2, v18
	v_fma_f64 v[112:113], v[10:11], v[118:119], v[8:9]
	s_delay_alu instid0(VALU_DEP_2) | instskip(NEXT) | instid1(VALU_DEP_1)
	v_ashrrev_i32_e32 v117, 31, v116
	v_lshlrev_b64 v[116:117], 3, v[116:117]
	s_delay_alu instid0(VALU_DEP_1) | instskip(NEXT) | instid1(VALU_DEP_2)
	v_add_co_u32 v116, vcc_lo, s4, v116
	v_add_co_ci_u32_e32 v117, vcc_lo, s5, v117, vcc_lo
	v_cmp_ge_i32_e32 vcc_lo, v29, v34
	s_or_b32 s10, vcc_lo, s10
	v_fma_f64 v[120:121], v[2:3], v[118:119], v[0:1]
	s_clause 0x1
	global_load_b128 v[0:3], v[122:123], off offset:32
	global_load_b128 v[48:51], v[122:123], off offset:96
	;; [unrolled: 1-line block ×4, first 2 shown]
	s_waitcnt vmcnt(9)
	v_fma_f64 v[64:65], v[64:65], v[25:26], v[114:115]
	v_fma_f64 v[60:61], v[60:61], v[25:26], v[120:121]
	;; [unrolled: 1-line block ×4, first 2 shown]
	s_delay_alu instid0(VALU_DEP_4)
	v_fma_f64 v[118:119], v[66:67], v[27:28], v[64:65]
	global_load_b128 v[64:67], v[116:117], off
	v_fma_f64 v[120:121], v[62:63], v[27:28], v[60:61]
	v_fma_f64 v[124:125], v[86:87], v[27:28], v[84:85]
	;; [unrolled: 1-line block ×3, first 2 shown]
	s_clause 0x3
	global_load_b128 v[25:28], v[122:123], off offset:48
	global_load_b128 v[60:63], v[122:123], off offset:112
	;; [unrolled: 1-line block ×5, first 2 shown]
	s_waitcnt vmcnt(12)
	v_fma_f64 v[68:69], v[68:69], v[44:45], v[118:119]
	v_fma_f64 v[56:57], v[56:57], v[44:45], v[120:121]
	;; [unrolled: 1-line block ×4, first 2 shown]
	s_delay_alu instid0(VALU_DEP_4) | instskip(NEXT) | instid1(VALU_DEP_4)
	v_fma_f64 v[68:69], v[70:71], v[46:47], v[68:69]
	v_fma_f64 v[56:57], v[58:59], v[46:47], v[56:57]
	s_delay_alu instid0(VALU_DEP_4) | instskip(NEXT) | instid1(VALU_DEP_4)
	v_fma_f64 v[58:59], v[82:83], v[46:47], v[80:81]
	v_fma_f64 v[44:45], v[74:75], v[46:47], v[44:45]
	s_waitcnt vmcnt(10)
	s_delay_alu instid0(VALU_DEP_4) | instskip(NEXT) | instid1(VALU_DEP_4)
	v_fma_f64 v[46:47], v[96:97], v[4:5], v[68:69]
	v_fma_f64 v[56:57], v[92:93], v[4:5], v[56:57]
	s_delay_alu instid0(VALU_DEP_4) | instskip(NEXT) | instid1(VALU_DEP_4)
	v_fma_f64 v[40:41], v[40:41], v[4:5], v[58:59]
	v_fma_f64 v[4:5], v[108:109], v[4:5], v[44:45]
	s_delay_alu instid0(VALU_DEP_4) | instskip(NEXT) | instid1(VALU_DEP_4)
	v_fma_f64 v[44:45], v[98:99], v[6:7], v[46:47]
	v_fma_f64 v[46:47], v[94:95], v[6:7], v[56:57]
	s_delay_alu instid0(VALU_DEP_4) | instskip(NEXT) | instid1(VALU_DEP_4)
	v_fma_f64 v[40:41], v[42:43], v[6:7], v[40:41]
	v_fma_f64 v[4:5], v[110:111], v[6:7], v[4:5]
	s_waitcnt vmcnt(7)
	s_delay_alu instid0(VALU_DEP_4) | instskip(NEXT) | instid1(VALU_DEP_4)
	v_fma_f64 v[6:7], v[100:101], v[52:53], v[44:45]
	v_fma_f64 v[42:43], v[88:89], v[52:53], v[46:47]
	s_delay_alu instid0(VALU_DEP_4) | instskip(NEXT) | instid1(VALU_DEP_4)
	v_fma_f64 v[36:37], v[36:37], v[52:53], v[40:41]
	v_fma_f64 v[4:5], v[104:105], v[52:53], v[4:5]
	;; [unrolled: 13-line block ×4, first 2 shown]
	s_delay_alu instid0(VALU_DEP_4) | instskip(NEXT) | instid1(VALU_DEP_4)
	v_fma_f64 v[25:26], v[86:87], v[114:115], v[6:7]
	v_fma_f64 v[27:28], v[27:28], v[114:115], v[0:1]
	s_delay_alu instid0(VALU_DEP_4) | instskip(NEXT) | instid1(VALU_DEP_4)
	v_fma_f64 v[23:24], v[78:79], v[114:115], v[2:3]
	v_fma_f64 v[21:22], v[62:63], v[114:115], v[4:5]
	s_and_not1_b32 exec_lo, exec_lo, s10
	s_cbranch_execnz .LBB9_21
; %bb.22:
	s_or_b32 exec_lo, exec_lo, s10
.LBB9_23:
	s_delay_alu instid0(SALU_CYCLE_1)
	s_or_b32 exec_lo, exec_lo, s7
.LBB9_24:
	s_delay_alu instid0(SALU_CYCLE_1)
	s_or_b32 exec_lo, exec_lo, s6
	s_cbranch_execz .LBB9_26
	s_branch .LBB9_37
.LBB9_25:
                                        ; implicit-def: $vgpr21_vgpr22
                                        ; implicit-def: $vgpr23_vgpr24
                                        ; implicit-def: $vgpr27_vgpr28
                                        ; implicit-def: $vgpr25_vgpr26
.LBB9_26:
	v_mov_b32_e32 v21, 0
	v_mov_b32_e32 v22, 0
	s_delay_alu instid0(VALU_DEP_1)
	v_dual_mov_b32 v24, v22 :: v_dual_mov_b32 v23, v21
	v_dual_mov_b32 v28, v22 :: v_dual_mov_b32 v27, v21
	;; [unrolled: 1-line block ×3, first 2 shown]
	s_and_saveexec_b32 s3, s2
	s_cbranch_execz .LBB9_36
; %bb.27:
	v_dual_mov_b32 v25, 0 :: v_dual_add_nc_u32 v0, v35, v33
	v_mov_b32_e32 v26, 0
	v_not_b32_e32 v1, v35
	s_mov_b32 s7, 0
	s_delay_alu instid0(VALU_DEP_3) | instskip(NEXT) | instid1(VALU_DEP_3)
	v_subrev_nc_u32_e32 v0, s12, v0
	v_dual_mov_b32 v23, v25 :: v_dual_mov_b32 v28, v26
	s_mov_b32 s6, exec_lo
	s_delay_alu instid0(VALU_DEP_2) | instskip(SKIP_1) | instid1(VALU_DEP_2)
	v_dual_mov_b32 v27, v25 :: v_dual_add_nc_u32 v0, 64, v0
	v_mov_b32_e32 v24, v26
	v_max_i32_e32 v0, v0, v34
	s_delay_alu instid0(VALU_DEP_1) | instskip(NEXT) | instid1(VALU_DEP_1)
	v_add3_u32 v0, v0, s12, v1
	v_sub_nc_u32_e32 v0, v0, v33
	s_delay_alu instid0(VALU_DEP_1) | instskip(NEXT) | instid1(VALU_DEP_1)
	v_lshrrev_b32_e32 v1, 6, v0
	v_add_nc_u32_e32 v1, 1, v1
	s_delay_alu instid0(VALU_DEP_1) | instskip(SKIP_1) | instid1(VALU_DEP_2)
	v_and_b32_e32 v1, 3, v1
	v_dual_mov_b32 v21, v25 :: v_dual_mov_b32 v22, v26
	v_cmpx_ne_u32_e32 0, v1
	s_cbranch_execz .LBB9_31
; %bb.28:
	v_mov_b32_e32 v21, 0
	v_dual_mov_b32 v22, 0 :: v_dual_lshlrev_b32 v1, 7, v1
	s_delay_alu instid0(VALU_DEP_1)
	v_dual_mov_b32 v24, v22 :: v_dual_mov_b32 v23, v21
	v_dual_mov_b32 v28, v22 :: v_dual_mov_b32 v27, v21
	;; [unrolled: 1-line block ×3, first 2 shown]
.LBB9_29:                               ; =>This Inner Loop Header: Depth=1
	v_ashrrev_i32_e32 v18, 31, v17
	v_add_nc_u32_e32 v1, 0xffffff80, v1
	s_delay_alu instid0(VALU_DEP_2) | instskip(NEXT) | instid1(VALU_DEP_2)
	v_lshlrev_b64 v[2:3], 2, v[17:18]
	v_cmp_eq_u32_e64 s2, 0, v1
	v_add_nc_u32_e32 v17, 64, v17
	s_delay_alu instid0(VALU_DEP_2) | instskip(NEXT) | instid1(VALU_DEP_3)
	s_or_b32 s7, s2, s7
	v_add_co_u32 v2, vcc_lo, s8, v2
	s_delay_alu instid0(VALU_DEP_4) | instskip(SKIP_4) | instid1(VALU_DEP_1)
	v_add_co_ci_u32_e32 v3, vcc_lo, s9, v3, vcc_lo
	global_load_b32 v6, v[2:3], off
	global_load_b128 v[2:5], v[19:20], off offset:16
	s_waitcnt vmcnt(1)
	v_subrev_nc_u32_e32 v6, s12, v6
	v_lshlrev_b32_e32 v6, 2, v6
	s_delay_alu instid0(VALU_DEP_1) | instskip(NEXT) | instid1(VALU_DEP_1)
	v_ashrrev_i32_e32 v7, 31, v6
	v_lshlrev_b64 v[6:7], 3, v[6:7]
	s_waitcnt lgkmcnt(0)
	s_delay_alu instid0(VALU_DEP_1) | instskip(NEXT) | instid1(VALU_DEP_2)
	v_add_co_u32 v10, vcc_lo, s4, v6
	v_add_co_ci_u32_e32 v11, vcc_lo, s5, v7, vcc_lo
	global_load_b128 v[6:9], v[19:20], off
	s_clause 0x1
	global_load_b128 v[29:32], v[10:11], off
	global_load_b128 v[35:38], v[10:11], off offset:16
	s_clause 0x5
	global_load_b128 v[39:42], v[19:20], off offset:32
	global_load_b128 v[43:46], v[19:20], off offset:48
	;; [unrolled: 1-line block ×6, first 2 shown]
	v_add_co_u32 v19, vcc_lo, 0x2000, v19
	v_add_co_ci_u32_e32 v20, vcc_lo, 0, v20, vcc_lo
	s_waitcnt vmcnt(7)
	v_fma_f64 v[6:7], v[6:7], v[29:30], v[25:26]
	v_fma_f64 v[8:9], v[8:9], v[29:30], v[27:28]
	;; [unrolled: 1-line block ×4, first 2 shown]
	s_waitcnt vmcnt(5)
	s_delay_alu instid0(VALU_DEP_4) | instskip(NEXT) | instid1(VALU_DEP_4)
	v_fma_f64 v[6:7], v[39:40], v[31:32], v[6:7]
	v_fma_f64 v[8:9], v[41:42], v[31:32], v[8:9]
	s_waitcnt vmcnt(4)
	s_delay_alu instid0(VALU_DEP_4) | instskip(NEXT) | instid1(VALU_DEP_4)
	v_fma_f64 v[2:3], v[43:44], v[31:32], v[2:3]
	v_fma_f64 v[4:5], v[45:46], v[31:32], v[4:5]
	s_waitcnt vmcnt(3)
	s_delay_alu instid0(VALU_DEP_4) | instskip(NEXT) | instid1(VALU_DEP_4)
	v_fma_f64 v[6:7], v[47:48], v[35:36], v[6:7]
	v_fma_f64 v[8:9], v[49:50], v[35:36], v[8:9]
	s_waitcnt vmcnt(2)
	s_delay_alu instid0(VALU_DEP_4) | instskip(NEXT) | instid1(VALU_DEP_4)
	v_fma_f64 v[2:3], v[51:52], v[35:36], v[2:3]
	v_fma_f64 v[4:5], v[53:54], v[35:36], v[4:5]
	s_waitcnt vmcnt(1)
	s_delay_alu instid0(VALU_DEP_4) | instskip(NEXT) | instid1(VALU_DEP_4)
	v_fma_f64 v[25:26], v[55:56], v[37:38], v[6:7]
	v_fma_f64 v[27:28], v[57:58], v[37:38], v[8:9]
	s_waitcnt vmcnt(0)
	s_delay_alu instid0(VALU_DEP_4) | instskip(NEXT) | instid1(VALU_DEP_4)
	v_fma_f64 v[23:24], v[59:60], v[37:38], v[2:3]
	v_fma_f64 v[21:22], v[61:62], v[37:38], v[4:5]
	s_and_not1_b32 exec_lo, exec_lo, s7
	s_cbranch_execnz .LBB9_29
; %bb.30:
	s_or_b32 exec_lo, exec_lo, s7
.LBB9_31:
	s_delay_alu instid0(SALU_CYCLE_1) | instskip(NEXT) | instid1(SALU_CYCLE_1)
	s_or_b32 exec_lo, exec_lo, s6
	s_mov_b32 s6, exec_lo
	v_cmpx_lt_u32_e32 0xbf, v0
	s_cbranch_execz .LBB9_35
; %bb.32:
	s_mov_b32 s7, 0
.LBB9_33:                               ; =>This Inner Loop Header: Depth=1
	v_ashrrev_i32_e32 v18, 31, v17
	s_delay_alu instid0(VALU_DEP_1) | instskip(SKIP_1) | instid1(VALU_DEP_2)
	v_lshlrev_b64 v[0:1], 2, v[17:18]
	v_add_nc_u32_e32 v17, 0x100, v17
	v_add_co_u32 v4, vcc_lo, s8, v0
	s_delay_alu instid0(VALU_DEP_3)
	v_add_co_ci_u32_e32 v5, vcc_lo, s9, v1, vcc_lo
	s_clause 0x2
	global_load_b32 v6, v[4:5], off
	global_load_b32 v18, v[4:5], off offset:256
	global_load_b32 v103, v[4:5], off offset:512
	global_load_b128 v[0:3], v[19:20], off offset:16
	global_load_b32 v119, v[4:5], off offset:768
	s_waitcnt vmcnt(4)
	v_subrev_nc_u32_e32 v4, s12, v6
	s_waitcnt vmcnt(3)
	v_subrev_nc_u32_e32 v18, s12, v18
	s_delay_alu instid0(VALU_DEP_2) | instskip(NEXT) | instid1(VALU_DEP_2)
	v_lshlrev_b32_e32 v4, 2, v4
	v_lshlrev_b32_e32 v63, 2, v18
	s_waitcnt vmcnt(2)
	v_subrev_nc_u32_e32 v18, s12, v103
	s_delay_alu instid0(VALU_DEP_3) | instskip(NEXT) | instid1(VALU_DEP_3)
	v_ashrrev_i32_e32 v5, 31, v4
	v_ashrrev_i32_e32 v64, 31, v63
	s_delay_alu instid0(VALU_DEP_3)
	v_lshlrev_b32_e32 v103, 2, v18
	s_waitcnt vmcnt(0)
	v_subrev_nc_u32_e32 v18, s12, v119
	v_lshlrev_b64 v[4:5], 3, v[4:5]
	v_lshlrev_b64 v[63:64], 3, v[63:64]
	v_ashrrev_i32_e32 v104, 31, v103
	s_waitcnt lgkmcnt(0)
	s_delay_alu instid0(VALU_DEP_3) | instskip(NEXT) | instid1(VALU_DEP_4)
	v_add_co_u32 v47, vcc_lo, s4, v4
	v_add_co_ci_u32_e32 v48, vcc_lo, s5, v5, vcc_lo
	v_add_co_u32 v95, vcc_lo, 0x2000, v19
	global_load_b128 v[4:7], v[19:20], off
	global_load_b128 v[8:11], v[47:48], off
	s_clause 0x3
	global_load_b128 v[29:32], v[19:20], off offset:32
	global_load_b128 v[35:38], v[19:20], off offset:48
	global_load_b128 v[39:42], v[19:20], off offset:64
	global_load_b128 v[43:46], v[19:20], off offset:80
	global_load_b128 v[47:50], v[47:48], off offset:16
	s_clause 0x1
	global_load_b128 v[51:54], v[19:20], off offset:112
	global_load_b128 v[55:58], v[19:20], off offset:96
	v_add_co_ci_u32_e32 v96, vcc_lo, 0, v20, vcc_lo
	v_add_co_u32 v87, vcc_lo, s4, v63
	v_add_co_ci_u32_e32 v88, vcc_lo, s5, v64, vcc_lo
	s_clause 0x1
	global_load_b128 v[59:62], v[95:96], off
	global_load_b128 v[63:66], v[95:96], off offset:16
	global_load_b128 v[67:70], v[87:88], off
	s_clause 0x3
	global_load_b128 v[71:74], v[95:96], off offset:32
	global_load_b128 v[75:78], v[95:96], off offset:48
	;; [unrolled: 1-line block ×5, first 2 shown]
	s_clause 0x1
	global_load_b128 v[91:94], v[95:96], off offset:96
	global_load_b128 v[95:98], v[95:96], off offset:112
	v_lshlrev_b64 v[103:104], 3, v[103:104]
	v_add_co_u32 v111, vcc_lo, 0x4000, v19
	v_add_co_ci_u32_e32 v112, vcc_lo, 0, v20, vcc_lo
	s_delay_alu instid0(VALU_DEP_3) | instskip(NEXT) | instid1(VALU_DEP_4)
	v_add_co_u32 v113, vcc_lo, s4, v103
	v_add_co_ci_u32_e32 v114, vcc_lo, s5, v104, vcc_lo
	s_clause 0x1
	global_load_b128 v[99:102], v[111:112], off
	global_load_b128 v[103:106], v[111:112], off offset:16
	global_load_b128 v[107:110], v[113:114], off
	v_add_co_u32 v117, vcc_lo, 0x6000, v19
	v_add_co_ci_u32_e32 v118, vcc_lo, 0, v20, vcc_lo
	v_add_co_u32 v19, s2, 0x8000, v19
	s_delay_alu instid0(VALU_DEP_1)
	v_add_co_ci_u32_e64 v20, s2, 0, v20, s2
	s_waitcnt vmcnt(20)
	v_fma_f64 v[25:26], v[4:5], v[8:9], v[25:26]
	v_fma_f64 v[27:28], v[6:7], v[8:9], v[27:28]
	v_fma_f64 v[23:24], v[0:1], v[8:9], v[23:24]
	v_fma_f64 v[8:9], v[2:3], v[8:9], v[21:22]
	s_clause 0x1
	global_load_b128 v[0:3], v[111:112], off offset:32
	global_load_b128 v[4:7], v[111:112], off offset:48
	s_waitcnt vmcnt(21)
	v_fma_f64 v[29:30], v[29:30], v[10:11], v[25:26]
	v_fma_f64 v[31:32], v[31:32], v[10:11], v[27:28]
	s_waitcnt vmcnt(20)
	v_fma_f64 v[35:36], v[35:36], v[10:11], v[23:24]
	v_fma_f64 v[37:38], v[37:38], v[10:11], v[8:9]
	s_clause 0x1
	global_load_b128 v[8:11], v[111:112], off offset:64
	global_load_b128 v[21:24], v[111:112], off offset:80
	;; [unrolled: 1-line block ×3, first 2 shown]
	s_waitcnt vmcnt(20)
	v_fma_f64 v[113:114], v[39:40], v[47:48], v[29:30]
	v_fma_f64 v[115:116], v[41:42], v[47:48], v[31:32]
	;; [unrolled: 1-line block ×4, first 2 shown]
	s_clause 0x1
	global_load_b128 v[29:32], v[111:112], off offset:96
	global_load_b128 v[35:38], v[111:112], off offset:112
	v_lshlrev_b32_e32 v47, 2, v18
	global_load_b128 v[39:42], v[117:118], off
	v_ashrrev_i32_e32 v48, 31, v47
	s_waitcnt vmcnt(21)
	v_fma_f64 v[55:56], v[55:56], v[49:50], v[113:114]
	v_fma_f64 v[57:58], v[57:58], v[49:50], v[115:116]
	;; [unrolled: 1-line block ×4, first 2 shown]
	v_lshlrev_b64 v[43:44], 3, v[47:48]
	s_delay_alu instid0(VALU_DEP_1) | instskip(NEXT) | instid1(VALU_DEP_2)
	v_add_co_u32 v111, vcc_lo, s4, v43
	v_add_co_ci_u32_e32 v112, vcc_lo, s5, v44, vcc_lo
	global_load_b128 v[43:46], v[117:118], off offset:16
	global_load_b128 v[47:50], v[111:112], off
	v_cmp_ge_i32_e32 vcc_lo, v17, v34
	s_or_b32 s7, vcc_lo, s7
	s_waitcnt vmcnt(20)
	v_fma_f64 v[59:60], v[59:60], v[67:68], v[55:56]
	v_fma_f64 v[61:62], v[61:62], v[67:68], v[57:58]
	;; [unrolled: 1-line block ×4, first 2 shown]
	s_clause 0x1
	global_load_b128 v[51:54], v[117:118], off offset:32
	global_load_b128 v[55:58], v[117:118], off offset:48
	s_waitcnt vmcnt(21)
	v_fma_f64 v[71:72], v[71:72], v[69:70], v[59:60]
	v_fma_f64 v[73:74], v[73:74], v[69:70], v[61:62]
	s_waitcnt vmcnt(20)
	v_fma_f64 v[75:76], v[75:76], v[69:70], v[63:64]
	v_fma_f64 v[77:78], v[77:78], v[69:70], v[65:66]
	s_clause 0x1
	global_load_b128 v[59:62], v[117:118], off offset:64
	global_load_b128 v[63:66], v[117:118], off offset:80
	;; [unrolled: 1-line block ×3, first 2 shown]
	s_waitcnt vmcnt(20)
	v_fma_f64 v[79:80], v[79:80], v[87:88], v[71:72]
	v_fma_f64 v[81:82], v[81:82], v[87:88], v[73:74]
	;; [unrolled: 1-line block ×4, first 2 shown]
	s_clause 0x1
	global_load_b128 v[71:74], v[117:118], off offset:96
	global_load_b128 v[75:78], v[117:118], off offset:112
	s_waitcnt vmcnt(21)
	v_fma_f64 v[79:80], v[91:92], v[89:90], v[79:80]
	v_fma_f64 v[81:82], v[93:94], v[89:90], v[81:82]
	s_waitcnt vmcnt(20)
	v_fma_f64 v[83:84], v[95:96], v[89:90], v[83:84]
	v_fma_f64 v[85:86], v[97:98], v[89:90], v[85:86]
	s_waitcnt vmcnt(17)
	s_delay_alu instid0(VALU_DEP_4) | instskip(NEXT) | instid1(VALU_DEP_4)
	v_fma_f64 v[79:80], v[99:100], v[107:108], v[79:80]
	v_fma_f64 v[81:82], v[101:102], v[107:108], v[81:82]
	s_delay_alu instid0(VALU_DEP_4) | instskip(NEXT) | instid1(VALU_DEP_4)
	v_fma_f64 v[83:84], v[103:104], v[107:108], v[83:84]
	v_fma_f64 v[85:86], v[105:106], v[107:108], v[85:86]
	s_waitcnt vmcnt(16)
	s_delay_alu instid0(VALU_DEP_4) | instskip(NEXT) | instid1(VALU_DEP_4)
	v_fma_f64 v[0:1], v[0:1], v[109:110], v[79:80]
	v_fma_f64 v[2:3], v[2:3], v[109:110], v[81:82]
	s_waitcnt vmcnt(15)
	s_delay_alu instid0(VALU_DEP_4) | instskip(NEXT) | instid1(VALU_DEP_4)
	v_fma_f64 v[4:5], v[4:5], v[109:110], v[83:84]
	v_fma_f64 v[6:7], v[6:7], v[109:110], v[85:86]
	s_waitcnt vmcnt(12)
	s_delay_alu instid0(VALU_DEP_4) | instskip(NEXT) | instid1(VALU_DEP_4)
	v_fma_f64 v[0:1], v[8:9], v[25:26], v[0:1]
	v_fma_f64 v[2:3], v[10:11], v[25:26], v[2:3]
	s_delay_alu instid0(VALU_DEP_4) | instskip(NEXT) | instid1(VALU_DEP_4)
	v_fma_f64 v[4:5], v[21:22], v[25:26], v[4:5]
	v_fma_f64 v[6:7], v[23:24], v[25:26], v[6:7]
	s_waitcnt vmcnt(11)
	s_delay_alu instid0(VALU_DEP_4) | instskip(NEXT) | instid1(VALU_DEP_4)
	v_fma_f64 v[0:1], v[29:30], v[27:28], v[0:1]
	v_fma_f64 v[2:3], v[31:32], v[27:28], v[2:3]
	s_waitcnt vmcnt(10)
	s_delay_alu instid0(VALU_DEP_4) | instskip(NEXT) | instid1(VALU_DEP_4)
	;; [unrolled: 15-line block ×4, first 2 shown]
	v_fma_f64 v[23:24], v[75:76], v[69:70], v[4:5]
	v_fma_f64 v[21:22], v[77:78], v[69:70], v[6:7]
	s_and_not1_b32 exec_lo, exec_lo, s7
	s_cbranch_execnz .LBB9_33
; %bb.34:
	s_or_b32 exec_lo, exec_lo, s7
.LBB9_35:
	s_delay_alu instid0(SALU_CYCLE_1)
	s_or_b32 exec_lo, exec_lo, s6
.LBB9_36:
	s_delay_alu instid0(SALU_CYCLE_1)
	s_or_b32 exec_lo, exec_lo, s3
.LBB9_37:
	v_mbcnt_lo_u32_b32 v29, -1, 0
	s_delay_alu instid0(VALU_DEP_1) | instskip(SKIP_1) | instid1(VALU_DEP_2)
	v_or_b32_e32 v0, 32, v29
	v_xor_b32_e32 v8, 16, v29
	v_cmp_gt_i32_e32 vcc_lo, 32, v0
	v_cndmask_b32_e32 v0, v29, v0, vcc_lo
	s_delay_alu instid0(VALU_DEP_3) | instskip(NEXT) | instid1(VALU_DEP_2)
	v_cmp_gt_i32_e32 vcc_lo, 32, v8
	v_lshlrev_b32_e32 v7, 2, v0
	v_cndmask_b32_e32 v8, v29, v8, vcc_lo
	ds_bpermute_b32 v0, v7, v25
	ds_bpermute_b32 v1, v7, v26
	;; [unrolled: 1-line block ×8, first 2 shown]
	v_lshlrev_b32_e32 v20, 2, v8
	s_waitcnt lgkmcnt(0)
	v_add_f64 v[0:1], v[25:26], v[0:1]
	v_add_f64 v[2:3], v[27:28], v[2:3]
	;; [unrolled: 1-line block ×4, first 2 shown]
	ds_bpermute_b32 v8, v20, v0
	ds_bpermute_b32 v9, v20, v1
	;; [unrolled: 1-line block ×8, first 2 shown]
	s_waitcnt lgkmcnt(6)
	v_add_f64 v[0:1], v[0:1], v[8:9]
	v_xor_b32_e32 v8, 8, v29
	s_waitcnt lgkmcnt(4)
	v_add_f64 v[2:3], v[2:3], v[10:11]
	s_waitcnt lgkmcnt(2)
	v_add_f64 v[4:5], v[4:5], v[17:18]
	s_waitcnt lgkmcnt(0)
	v_add_f64 v[6:7], v[6:7], v[19:20]
	v_cmp_gt_i32_e32 vcc_lo, 32, v8
	v_cndmask_b32_e32 v8, v29, v8, vcc_lo
	s_delay_alu instid0(VALU_DEP_1)
	v_lshlrev_b32_e32 v20, 2, v8
	ds_bpermute_b32 v8, v20, v0
	ds_bpermute_b32 v9, v20, v1
	;; [unrolled: 1-line block ×8, first 2 shown]
	s_waitcnt lgkmcnt(6)
	v_add_f64 v[0:1], v[0:1], v[8:9]
	v_xor_b32_e32 v8, 4, v29
	s_waitcnt lgkmcnt(4)
	v_add_f64 v[2:3], v[2:3], v[10:11]
	s_waitcnt lgkmcnt(2)
	v_add_f64 v[4:5], v[4:5], v[17:18]
	;; [unrolled: 2-line block ×3, first 2 shown]
	v_cmp_gt_i32_e32 vcc_lo, 32, v8
	v_cndmask_b32_e32 v8, v29, v8, vcc_lo
	s_delay_alu instid0(VALU_DEP_1)
	v_lshlrev_b32_e32 v20, 2, v8
	ds_bpermute_b32 v8, v20, v0
	ds_bpermute_b32 v9, v20, v1
	;; [unrolled: 1-line block ×8, first 2 shown]
	s_waitcnt lgkmcnt(6)
	v_add_f64 v[0:1], v[0:1], v[8:9]
	s_waitcnt lgkmcnt(4)
	v_add_f64 v[2:3], v[2:3], v[10:11]
	;; [unrolled: 2-line block ×3, first 2 shown]
	v_xor_b32_e32 v4, 2, v29
	s_waitcnt lgkmcnt(0)
	v_add_f64 v[10:11], v[6:7], v[19:20]
	s_delay_alu instid0(VALU_DEP_2) | instskip(SKIP_1) | instid1(VALU_DEP_1)
	v_cmp_gt_i32_e32 vcc_lo, 32, v4
	v_cndmask_b32_e32 v4, v29, v4, vcc_lo
	v_lshlrev_b32_e32 v6, 2, v4
	ds_bpermute_b32 v4, v6, v0
	ds_bpermute_b32 v5, v6, v1
	;; [unrolled: 1-line block ×8, first 2 shown]
	s_waitcnt lgkmcnt(6)
	v_add_f64 v[6:7], v[0:1], v[4:5]
	s_waitcnt lgkmcnt(4)
	v_add_f64 v[4:5], v[2:3], v[17:18]
	;; [unrolled: 2-line block ×3, first 2 shown]
	v_xor_b32_e32 v8, 1, v29
	s_waitcnt lgkmcnt(0)
	v_add_f64 v[2:3], v[10:11], v[21:22]
	s_delay_alu instid0(VALU_DEP_2) | instskip(SKIP_2) | instid1(VALU_DEP_2)
	v_cmp_gt_i32_e32 vcc_lo, 32, v8
	v_cndmask_b32_e32 v8, v29, v8, vcc_lo
	v_cmp_eq_u32_e32 vcc_lo, 63, v33
	v_lshlrev_b32_e32 v9, 2, v8
	ds_bpermute_b32 v19, v9, v6
	ds_bpermute_b32 v20, v9, v7
	;; [unrolled: 1-line block ×8, first 2 shown]
	s_and_b32 exec_lo, exec_lo, vcc_lo
	s_cbranch_execz .LBB9_10
; %bb.38:
	s_waitcnt lgkmcnt(6)
	v_add_f64 v[6:7], v[6:7], v[19:20]
	s_waitcnt lgkmcnt(4)
	v_add_f64 v[17:18], v[4:5], v[17:18]
	s_waitcnt lgkmcnt(2)
	v_add_f64 v[0:1], v[0:1], v[10:11]
	s_waitcnt lgkmcnt(0)
	v_add_f64 v[2:3], v[2:3], v[8:9]
	s_load_b64 s[0:1], s[0:1], 0x50
	v_lshlrev_b32_e32 v8, 2, v16
	s_mov_b32 s2, exec_lo
	v_mul_f64 v[4:5], v[14:15], v[6:7]
	v_mul_f64 v[6:7], v[14:15], v[17:18]
	;; [unrolled: 1-line block ×4, first 2 shown]
	v_cmpx_eq_f64_e32 0, v[12:13]
	s_xor_b32 s2, exec_lo, s2
	s_cbranch_execz .LBB9_40
; %bb.39:
	v_ashrrev_i32_e32 v9, 31, v8
                                        ; implicit-def: $vgpr12_vgpr13
	s_delay_alu instid0(VALU_DEP_1) | instskip(SKIP_1) | instid1(VALU_DEP_1)
	v_lshlrev_b64 v[8:9], 3, v[8:9]
	s_waitcnt lgkmcnt(0)
	v_add_co_u32 v8, vcc_lo, s0, v8
	s_delay_alu instid0(VALU_DEP_2)
	v_add_co_ci_u32_e32 v9, vcc_lo, s1, v9, vcc_lo
	s_clause 0x1
	global_store_b128 v[8:9], v[4:7], off
	global_store_b128 v[8:9], v[0:3], off offset:16
                                        ; implicit-def: $vgpr8
                                        ; implicit-def: $vgpr4_vgpr5
                                        ; implicit-def: $vgpr0_vgpr1
.LBB9_40:
	s_and_not1_saveexec_b32 s2, s2
	s_cbranch_execz .LBB9_10
; %bb.41:
	v_ashrrev_i32_e32 v9, 31, v8
	s_delay_alu instid0(VALU_DEP_1) | instskip(SKIP_1) | instid1(VALU_DEP_1)
	v_lshlrev_b64 v[8:9], 3, v[8:9]
	s_waitcnt lgkmcnt(0)
	v_add_co_u32 v18, vcc_lo, s0, v8
	s_delay_alu instid0(VALU_DEP_2)
	v_add_co_ci_u32_e32 v19, vcc_lo, s1, v9, vcc_lo
	s_clause 0x1
	global_load_b128 v[8:11], v[18:19], off
	global_load_b128 v[14:17], v[18:19], off offset:16
	s_waitcnt vmcnt(1)
	v_fma_f64 v[4:5], v[12:13], v[8:9], v[4:5]
	v_fma_f64 v[6:7], v[12:13], v[10:11], v[6:7]
	s_waitcnt vmcnt(0)
	v_fma_f64 v[0:1], v[12:13], v[14:15], v[0:1]
	v_fma_f64 v[2:3], v[12:13], v[16:17], v[2:3]
	s_clause 0x1
	global_store_b128 v[18:19], v[4:7], off
	global_store_b128 v[18:19], v[0:3], off offset:16
	s_nop 0
	s_sendmsg sendmsg(MSG_DEALLOC_VGPRS)
	s_endpgm
	.section	.rodata,"a",@progbits
	.p2align	6, 0x0
	.amdhsa_kernel _ZN9rocsparseL18bsrxmvn_4x4_kernelILj128ELj64EdiidddEEvT3_20rocsparse_direction_NS_24const_host_device_scalarIT1_EES1_PKS1_PKT2_SA_S7_PKT4_PKT5_S5_PT6_21rocsparse_index_base_b
		.amdhsa_group_segment_fixed_size 0
		.amdhsa_private_segment_fixed_size 0
		.amdhsa_kernarg_size 96
		.amdhsa_user_sgpr_count 15
		.amdhsa_user_sgpr_dispatch_ptr 0
		.amdhsa_user_sgpr_queue_ptr 0
		.amdhsa_user_sgpr_kernarg_segment_ptr 1
		.amdhsa_user_sgpr_dispatch_id 0
		.amdhsa_user_sgpr_private_segment_size 0
		.amdhsa_wavefront_size32 1
		.amdhsa_uses_dynamic_stack 0
		.amdhsa_enable_private_segment 0
		.amdhsa_system_sgpr_workgroup_id_x 1
		.amdhsa_system_sgpr_workgroup_id_y 0
		.amdhsa_system_sgpr_workgroup_id_z 0
		.amdhsa_system_sgpr_workgroup_info 0
		.amdhsa_system_vgpr_workitem_id 0
		.amdhsa_next_free_vgpr 132
		.amdhsa_next_free_sgpr 16
		.amdhsa_reserve_vcc 1
		.amdhsa_float_round_mode_32 0
		.amdhsa_float_round_mode_16_64 0
		.amdhsa_float_denorm_mode_32 3
		.amdhsa_float_denorm_mode_16_64 3
		.amdhsa_dx10_clamp 1
		.amdhsa_ieee_mode 1
		.amdhsa_fp16_overflow 0
		.amdhsa_workgroup_processor_mode 1
		.amdhsa_memory_ordered 1
		.amdhsa_forward_progress 0
		.amdhsa_shared_vgpr_count 0
		.amdhsa_exception_fp_ieee_invalid_op 0
		.amdhsa_exception_fp_denorm_src 0
		.amdhsa_exception_fp_ieee_div_zero 0
		.amdhsa_exception_fp_ieee_overflow 0
		.amdhsa_exception_fp_ieee_underflow 0
		.amdhsa_exception_fp_ieee_inexact 0
		.amdhsa_exception_int_div_zero 0
	.end_amdhsa_kernel
	.section	.text._ZN9rocsparseL18bsrxmvn_4x4_kernelILj128ELj64EdiidddEEvT3_20rocsparse_direction_NS_24const_host_device_scalarIT1_EES1_PKS1_PKT2_SA_S7_PKT4_PKT5_S5_PT6_21rocsparse_index_base_b,"axG",@progbits,_ZN9rocsparseL18bsrxmvn_4x4_kernelILj128ELj64EdiidddEEvT3_20rocsparse_direction_NS_24const_host_device_scalarIT1_EES1_PKS1_PKT2_SA_S7_PKT4_PKT5_S5_PT6_21rocsparse_index_base_b,comdat
.Lfunc_end9:
	.size	_ZN9rocsparseL18bsrxmvn_4x4_kernelILj128ELj64EdiidddEEvT3_20rocsparse_direction_NS_24const_host_device_scalarIT1_EES1_PKS1_PKT2_SA_S7_PKT4_PKT5_S5_PT6_21rocsparse_index_base_b, .Lfunc_end9-_ZN9rocsparseL18bsrxmvn_4x4_kernelILj128ELj64EdiidddEEvT3_20rocsparse_direction_NS_24const_host_device_scalarIT1_EES1_PKS1_PKT2_SA_S7_PKT4_PKT5_S5_PT6_21rocsparse_index_base_b
                                        ; -- End function
	.section	.AMDGPU.csdata,"",@progbits
; Kernel info:
; codeLenInByte = 5592
; NumSgprs: 18
; NumVgprs: 132
; ScratchSize: 0
; MemoryBound: 1
; FloatMode: 240
; IeeeMode: 1
; LDSByteSize: 0 bytes/workgroup (compile time only)
; SGPRBlocks: 2
; VGPRBlocks: 16
; NumSGPRsForWavesPerEU: 18
; NumVGPRsForWavesPerEU: 132
; Occupancy: 10
; WaveLimiterHint : 1
; COMPUTE_PGM_RSRC2:SCRATCH_EN: 0
; COMPUTE_PGM_RSRC2:USER_SGPR: 15
; COMPUTE_PGM_RSRC2:TRAP_HANDLER: 0
; COMPUTE_PGM_RSRC2:TGID_X_EN: 1
; COMPUTE_PGM_RSRC2:TGID_Y_EN: 0
; COMPUTE_PGM_RSRC2:TGID_Z_EN: 0
; COMPUTE_PGM_RSRC2:TIDIG_COMP_CNT: 0
	.section	.text._ZN9rocsparseL18bsrxmvn_4x4_kernelILj128ELj4E21rocsparse_complex_numIfEiiS2_S2_S2_EEvT3_20rocsparse_direction_NS_24const_host_device_scalarIT1_EES3_PKS3_PKT2_SC_S9_PKT4_PKT5_S7_PT6_21rocsparse_index_base_b,"axG",@progbits,_ZN9rocsparseL18bsrxmvn_4x4_kernelILj128ELj4E21rocsparse_complex_numIfEiiS2_S2_S2_EEvT3_20rocsparse_direction_NS_24const_host_device_scalarIT1_EES3_PKS3_PKT2_SC_S9_PKT4_PKT5_S7_PT6_21rocsparse_index_base_b,comdat
	.globl	_ZN9rocsparseL18bsrxmvn_4x4_kernelILj128ELj4E21rocsparse_complex_numIfEiiS2_S2_S2_EEvT3_20rocsparse_direction_NS_24const_host_device_scalarIT1_EES3_PKS3_PKT2_SC_S9_PKT4_PKT5_S7_PT6_21rocsparse_index_base_b ; -- Begin function _ZN9rocsparseL18bsrxmvn_4x4_kernelILj128ELj4E21rocsparse_complex_numIfEiiS2_S2_S2_EEvT3_20rocsparse_direction_NS_24const_host_device_scalarIT1_EES3_PKS3_PKT2_SC_S9_PKT4_PKT5_S7_PT6_21rocsparse_index_base_b
	.p2align	8
	.type	_ZN9rocsparseL18bsrxmvn_4x4_kernelILj128ELj4E21rocsparse_complex_numIfEiiS2_S2_S2_EEvT3_20rocsparse_direction_NS_24const_host_device_scalarIT1_EES3_PKS3_PKT2_SC_S9_PKT4_PKT5_S7_PT6_21rocsparse_index_base_b,@function
_ZN9rocsparseL18bsrxmvn_4x4_kernelILj128ELj4E21rocsparse_complex_numIfEiiS2_S2_S2_EEvT3_20rocsparse_direction_NS_24const_host_device_scalarIT1_EES3_PKS3_PKT2_SC_S9_PKT4_PKT5_S7_PT6_21rocsparse_index_base_b: ; @_ZN9rocsparseL18bsrxmvn_4x4_kernelILj128ELj4E21rocsparse_complex_numIfEiiS2_S2_S2_EEvT3_20rocsparse_direction_NS_24const_host_device_scalarIT1_EES3_PKS3_PKT2_SC_S9_PKT4_PKT5_S7_PT6_21rocsparse_index_base_b
; %bb.0:
	s_clause 0x2
	s_load_b64 s[12:13], s[0:1], 0x58
	s_load_b64 s[4:5], s[0:1], 0x8
	;; [unrolled: 1-line block ×3, first 2 shown]
	s_waitcnt lgkmcnt(0)
	s_bitcmp1_b32 s13, 0
	v_mov_b32_e32 v115, s4
	s_cselect_b32 s6, -1, 0
	s_delay_alu instid0(SALU_CYCLE_1)
	s_and_b32 vcc_lo, exec_lo, s6
	s_xor_b32 s6, s6, -1
	s_cbranch_vccz .LBB10_14
; %bb.1:
	v_cndmask_b32_e64 v1, 0, 1, s6
	v_mov_b32_e32 v116, s5
	s_and_not1_b32 vcc_lo, exec_lo, s6
	s_cbranch_vccz .LBB10_15
.LBB10_2:
	s_delay_alu instid0(VALU_DEP_2)
	v_cmp_ne_u32_e32 vcc_lo, 1, v1
	v_mov_b32_e32 v113, s2
	s_cbranch_vccz .LBB10_16
.LBB10_3:
	v_cmp_ne_u32_e32 vcc_lo, 1, v1
	v_mov_b32_e32 v114, s3
	s_cbranch_vccnz .LBB10_5
.LBB10_4:
	v_dual_mov_b32 v1, s2 :: v_dual_mov_b32 v2, s3
	flat_load_b32 v114, v[1:2] offset:4
.LBB10_5:
	s_waitcnt vmcnt(0) lgkmcnt(0)
	v_cmp_eq_f32_e32 vcc_lo, 0, v115
	v_cmp_eq_f32_e64 s2, 0, v116
	s_delay_alu instid0(VALU_DEP_1)
	s_and_b32 s4, vcc_lo, s2
	s_mov_b32 s2, -1
	s_and_saveexec_b32 s3, s4
; %bb.6:
	v_cmp_neq_f32_e32 vcc_lo, 1.0, v113
	v_cmp_neq_f32_e64 s2, 0, v114
	s_delay_alu instid0(VALU_DEP_1) | instskip(NEXT) | instid1(SALU_CYCLE_1)
	s_or_b32 s2, vcc_lo, s2
	s_or_not1_b32 s2, s2, exec_lo
; %bb.7:
	s_or_b32 exec_lo, exec_lo, s3
	s_and_saveexec_b32 s3, s2
	s_cbranch_execz .LBB10_13
; %bb.8:
	s_clause 0x1
	s_load_b64 s[4:5], s[0:1], 0x18
	s_load_b64 s[2:3], s[0:1], 0x0
	v_lshrrev_b32_e32 v1, 2, v0
	s_delay_alu instid0(VALU_DEP_1)
	v_lshl_or_b32 v104, s15, 5, v1
	s_waitcnt lgkmcnt(0)
	s_cmp_lg_u64 s[4:5], 0
	s_cbranch_scc0 .LBB10_17
; %bb.9:
	s_load_b32 s6, s[0:1], 0x10
	s_mov_b32 s7, 0
                                        ; implicit-def: $vgpr1
	s_waitcnt lgkmcnt(0)
	v_cmp_gt_i32_e32 vcc_lo, s6, v104
	s_mov_b32 s6, 0
	s_and_saveexec_b32 s8, vcc_lo
	s_delay_alu instid0(SALU_CYCLE_1)
	s_xor_b32 s8, exec_lo, s8
	s_cbranch_execz .LBB10_11
; %bb.10:
	v_ashrrev_i32_e32 v105, 31, v104
	s_mov_b32 s6, exec_lo
	s_delay_alu instid0(VALU_DEP_1) | instskip(NEXT) | instid1(VALU_DEP_1)
	v_lshlrev_b64 v[1:2], 2, v[104:105]
	v_add_co_u32 v1, vcc_lo, s4, v1
	s_delay_alu instid0(VALU_DEP_2)
	v_add_co_ci_u32_e32 v2, vcc_lo, s5, v2, vcc_lo
	global_load_b32 v1, v[1:2], off
	s_waitcnt vmcnt(0)
	v_subrev_nc_u32_e32 v1, s12, v1
.LBB10_11:
	s_or_b32 exec_lo, exec_lo, s8
	s_delay_alu instid0(SALU_CYCLE_1)
	s_and_b32 vcc_lo, exec_lo, s7
	s_cbranch_vccz .LBB10_18
.LBB10_12:
	v_cmp_gt_i32_e32 vcc_lo, s2, v104
	s_and_not1_b32 s2, s6, exec_lo
	s_and_b32 s4, vcc_lo, exec_lo
	s_delay_alu instid0(SALU_CYCLE_1) | instskip(NEXT) | instid1(SALU_CYCLE_1)
	s_or_b32 s6, s2, s4
	s_and_b32 exec_lo, exec_lo, s6
	s_cbranch_execnz .LBB10_19
.LBB10_13:
	s_nop 0
	s_sendmsg sendmsg(MSG_DEALLOC_VGPRS)
	s_endpgm
.LBB10_14:
	v_dual_mov_b32 v1, s4 :: v_dual_mov_b32 v2, s5
	flat_load_b32 v115, v[1:2]
	v_cndmask_b32_e64 v1, 0, 1, s6
	v_mov_b32_e32 v116, s5
	s_and_not1_b32 vcc_lo, exec_lo, s6
	s_cbranch_vccnz .LBB10_2
.LBB10_15:
	v_dual_mov_b32 v2, s4 :: v_dual_mov_b32 v3, s5
	flat_load_b32 v116, v[2:3] offset:4
	v_cmp_ne_u32_e32 vcc_lo, 1, v1
	v_mov_b32_e32 v113, s2
	s_cbranch_vccnz .LBB10_3
.LBB10_16:
	v_dual_mov_b32 v2, s2 :: v_dual_mov_b32 v3, s3
	flat_load_b32 v113, v[2:3]
	v_cmp_ne_u32_e32 vcc_lo, 1, v1
	v_mov_b32_e32 v114, s3
	s_cbranch_vccz .LBB10_4
	s_branch .LBB10_5
.LBB10_17:
	s_mov_b32 s6, 0
                                        ; implicit-def: $vgpr1
	s_cbranch_execnz .LBB10_12
.LBB10_18:
	s_delay_alu instid0(VALU_DEP_1)
	v_mov_b32_e32 v104, v1
	s_and_b32 exec_lo, exec_lo, s6
	s_cbranch_execz .LBB10_13
.LBB10_19:
	s_load_b256 s[4:11], s[0:1], 0x20
	s_delay_alu instid0(VALU_DEP_1) | instskip(SKIP_1) | instid1(VALU_DEP_2)
	v_ashrrev_i32_e32 v105, 31, v104
	v_and_b32_e32 v117, 3, v0
	v_lshlrev_b64 v[1:2], 2, v[104:105]
	s_waitcnt lgkmcnt(0)
	s_delay_alu instid0(VALU_DEP_1) | instskip(NEXT) | instid1(VALU_DEP_2)
	v_add_co_u32 v3, vcc_lo, s4, v1
	v_add_co_ci_u32_e32 v4, vcc_lo, s5, v2, vcc_lo
	v_add_co_u32 v1, vcc_lo, s6, v1
	v_add_co_ci_u32_e32 v2, vcc_lo, s7, v2, vcc_lo
	global_load_b32 v127, v[3:4], off
	v_add_co_u32 v3, vcc_lo, v3, 4
	v_add_co_ci_u32_e32 v4, vcc_lo, 0, v4, vcc_lo
	s_cmp_eq_u64 s[6:7], 0
	s_load_b64 s[4:5], s[0:1], 0x40
	s_cselect_b32 vcc_lo, -1, 0
	s_cmp_eq_u32 s3, 1
	v_dual_cndmask_b32 v2, v2, v4 :: v_dual_cndmask_b32 v1, v1, v3
	global_load_b32 v2, v[1:2], off
	s_waitcnt vmcnt(1)
	v_subrev_nc_u32_e32 v0, s12, v127
	s_delay_alu instid0(VALU_DEP_1) | instskip(NEXT) | instid1(VALU_DEP_1)
	v_add_nc_u32_e32 v105, v0, v117
	v_ashrrev_i32_e32 v106, 31, v105
	s_waitcnt vmcnt(0)
	v_subrev_nc_u32_e32 v120, s12, v2
	s_delay_alu instid0(VALU_DEP_2) | instskip(NEXT) | instid1(VALU_DEP_2)
	v_lshlrev_b64 v[0:1], 7, v[105:106]
	v_cmp_lt_i32_e64 s2, v105, v120
	s_delay_alu instid0(VALU_DEP_2) | instskip(NEXT) | instid1(VALU_DEP_3)
	v_add_co_u32 v107, vcc_lo, s10, v0
	v_add_co_ci_u32_e32 v108, vcc_lo, s11, v1, vcc_lo
	s_cbranch_scc1 .LBB10_31
; %bb.20:
	v_dual_mov_b32 v118, 0 :: v_dual_mov_b32 v125, 0
	v_dual_mov_b32 v123, 0 :: v_dual_mov_b32 v124, 0
	;; [unrolled: 1-line block ×4, first 2 shown]
	s_mov_b32 s3, 0
	s_and_saveexec_b32 s6, s2
	s_cbranch_execz .LBB10_30
; %bb.21:
	v_dual_mov_b32 v119, 0 :: v_dual_add_nc_u32 v0, v127, v117
	v_not_b32_e32 v1, v127
	v_dual_mov_b32 v124, 0 :: v_dual_mov_b32 v123, 0
	s_delay_alu instid0(VALU_DEP_3) | instskip(SKIP_2) | instid1(VALU_DEP_3)
	v_subrev_nc_u32_e32 v0, s12, v0
	v_dual_mov_b32 v125, 0 :: v_dual_mov_b32 v118, 0
	v_dual_mov_b32 v110, v108 :: v_dual_mov_b32 v109, v107
	v_dual_mov_b32 v121, 0 :: v_dual_add_nc_u32 v0, 4, v0
	v_mov_b32_e32 v111, v105
	s_mov_b32 s10, 0
	s_mov_b32 s7, exec_lo
	s_delay_alu instid0(VALU_DEP_2) | instskip(SKIP_1) | instid1(VALU_DEP_2)
	v_max_i32_e32 v0, v0, v120
	v_mov_b32_e32 v126, 0
	v_add3_u32 v0, v0, s12, v1
	s_delay_alu instid0(VALU_DEP_1) | instskip(NEXT) | instid1(VALU_DEP_1)
	v_sub_nc_u32_e32 v0, v0, v117
	v_lshrrev_b32_e32 v1, 2, v0
	s_delay_alu instid0(VALU_DEP_1) | instskip(NEXT) | instid1(VALU_DEP_1)
	v_dual_mov_b32 v122, 0 :: v_dual_add_nc_u32 v1, 1, v1
	v_and_b32_e32 v1, 3, v1
	s_delay_alu instid0(VALU_DEP_1)
	v_cmpx_ne_u32_e32 0, v1
	s_cbranch_execz .LBB10_25
; %bb.22:
	v_dual_mov_b32 v111, v105 :: v_dual_mov_b32 v110, v108
	v_dual_mov_b32 v118, 0 :: v_dual_lshlrev_b32 v1, 7, v1
	v_dual_mov_b32 v109, v107 :: v_dual_mov_b32 v124, 0
	v_dual_mov_b32 v125, 0 :: v_dual_mov_b32 v122, 0
	;; [unrolled: 1-line block ×3, first 2 shown]
	v_mov_b32_e32 v121, 0
	v_mov_b32_e32 v119, 0
.LBB10_23:                              ; =>This Inner Loop Header: Depth=1
	v_ashrrev_i32_e32 v112, 31, v111
	s_delay_alu instid0(VALU_DEP_1) | instskip(NEXT) | instid1(VALU_DEP_1)
	v_lshlrev_b64 v[2:3], 2, v[111:112]
	v_add_co_u32 v2, vcc_lo, s8, v2
	s_delay_alu instid0(VALU_DEP_2)
	v_add_co_ci_u32_e32 v3, vcc_lo, s9, v3, vcc_lo
	global_load_b32 v34, v[2:3], off
	s_clause 0x7
	global_load_b128 v[2:5], v[109:110], off offset:48
	global_load_b128 v[6:9], v[109:110], off offset:32
	;; [unrolled: 1-line block ×3, first 2 shown]
	global_load_b128 v[14:17], v[109:110], off
	global_load_b128 v[18:21], v[109:110], off offset:112
	global_load_b128 v[22:25], v[109:110], off offset:96
	;; [unrolled: 1-line block ×4, first 2 shown]
	s_waitcnt vmcnt(8)
	v_subrev_nc_u32_e32 v34, s12, v34
	s_delay_alu instid0(VALU_DEP_1) | instskip(NEXT) | instid1(VALU_DEP_1)
	v_lshlrev_b32_e32 v34, 2, v34
	v_ashrrev_i32_e32 v35, 31, v34
	s_delay_alu instid0(VALU_DEP_1) | instskip(SKIP_1) | instid1(VALU_DEP_1)
	v_lshlrev_b64 v[34:35], 3, v[34:35]
	s_waitcnt lgkmcnt(0)
	v_add_co_u32 v38, vcc_lo, s4, v34
	s_delay_alu instid0(VALU_DEP_2)
	v_add_co_ci_u32_e32 v39, vcc_lo, s5, v35, vcc_lo
	v_add_co_u32 v109, vcc_lo, 0x200, v109
	v_add_co_ci_u32_e32 v110, vcc_lo, 0, v110, vcc_lo
	s_clause 0x1
	global_load_b128 v[34:37], v[38:39], off
	global_load_b128 v[38:41], v[38:39], off offset:16
	v_add_nc_u32_e32 v1, 0xffffff80, v1
	s_waitcnt vmcnt(1)
	v_dual_fmac_f32 v126, v6, v34 :: v_dual_add_nc_u32 v111, 4, v111
	v_fmac_f32_e32 v118, v15, v34
	v_fmac_f32_e32 v119, v7, v34
	;; [unrolled: 1-line block ×4, first 2 shown]
	v_fma_f32 v7, -v7, v35, v126
	v_fmac_f32_e32 v118, v14, v35
	v_fmac_f32_e32 v125, v14, v34
	;; [unrolled: 1-line block ×6, first 2 shown]
	v_fma_f32 v15, -v15, v35, v125
	v_dual_fmac_f32 v124, v30, v34 :: v_dual_fmac_f32 v119, v9, v36
	v_cmp_eq_u32_e32 vcc_lo, 0, v1
	s_delay_alu instid0(VALU_DEP_4) | instskip(NEXT) | instid1(VALU_DEP_4)
	v_fmac_f32_e32 v118, v16, v37
	v_fmac_f32_e32 v15, v16, v36
	s_delay_alu instid0(VALU_DEP_4)
	v_fma_f32 v6, -v31, v35, v124
	v_fmac_f32_e32 v123, v22, v34
	s_waitcnt vmcnt(0)
	v_dual_fmac_f32 v7, v8, v36 :: v_dual_fmac_f32 v118, v11, v38
	v_dual_fmac_f32 v122, v33, v36 :: v_dual_fmac_f32 v119, v8, v37
	v_fmac_f32_e32 v6, v32, v36
	v_fma_f32 v14, -v23, v35, v123
	s_delay_alu instid0(VALU_DEP_3) | instskip(SKIP_2) | instid1(VALU_DEP_4)
	v_dual_fmac_f32 v121, v25, v36 :: v_dual_fmac_f32 v122, v32, v37
	v_fma_f32 v15, -v17, v37, v15
	v_fma_f32 v7, -v9, v37, v7
	v_fmac_f32_e32 v14, v24, v36
	v_fma_f32 v6, -v33, v37, v6
	v_fmac_f32_e32 v121, v24, v37
	v_fmac_f32_e32 v15, v10, v38
	v_dual_fmac_f32 v119, v3, v38 :: v_dual_fmac_f32 v118, v10, v39
	v_fma_f32 v8, -v25, v37, v14
	v_fmac_f32_e32 v7, v2, v38
	v_fmac_f32_e32 v6, v26, v38
	s_delay_alu instid0(VALU_DEP_4)
	v_dual_fmac_f32 v122, v27, v38 :: v_dual_fmac_f32 v119, v2, v39
	v_fmac_f32_e32 v121, v19, v38
	v_fma_f32 v9, -v11, v39, v15
	v_fmac_f32_e32 v8, v18, v38
	v_fma_f32 v2, -v27, v39, v6
	v_fmac_f32_e32 v122, v26, v39
	v_fmac_f32_e32 v121, v18, v39
	;; [unrolled: 1-line block ×3, first 2 shown]
	v_fma_f32 v6, -v19, v39, v8
	v_fmac_f32_e32 v2, v28, v40
	v_fmac_f32_e32 v118, v13, v40
	v_fma_f32 v3, -v3, v39, v7
	v_fmac_f32_e32 v119, v5, v40
	v_fmac_f32_e32 v6, v20, v40
	;; [unrolled: 3-line block ×3, first 2 shown]
	v_dual_fmac_f32 v122, v29, v40 :: v_dual_fmac_f32 v119, v4, v41
	v_fmac_f32_e32 v121, v21, v40
	v_fma_f32 v124, -v29, v41, v2
	s_delay_alu instid0(VALU_DEP_4) | instskip(NEXT) | instid1(VALU_DEP_4)
	v_fma_f32 v126, -v5, v41, v3
	v_fmac_f32_e32 v122, v28, v41
	v_fma_f32 v123, -v21, v41, v6
	v_fmac_f32_e32 v121, v20, v41
	s_or_b32 s10, vcc_lo, s10
	s_delay_alu instid0(SALU_CYCLE_1)
	s_and_not1_b32 exec_lo, exec_lo, s10
	s_cbranch_execnz .LBB10_23
; %bb.24:
	s_or_b32 exec_lo, exec_lo, s10
.LBB10_25:
	s_delay_alu instid0(SALU_CYCLE_1) | instskip(NEXT) | instid1(SALU_CYCLE_1)
	s_or_b32 exec_lo, exec_lo, s7
	s_mov_b32 s7, exec_lo
	v_cmpx_lt_u32_e32 11, v0
	s_cbranch_execz .LBB10_29
; %bb.26:
	s_mov_b32 s10, 0
.LBB10_27:                              ; =>This Inner Loop Header: Depth=1
	v_ashrrev_i32_e32 v112, 31, v111
	s_clause 0x1c
	global_load_b128 v[0:3], v[109:110], off offset:48
	global_load_b128 v[72:75], v[109:110], off offset:32
	;; [unrolled: 1-line block ×3, first 2 shown]
	global_load_b128 v[80:83], v[109:110], off
	global_load_b128 v[12:15], v[109:110], off offset:112
	global_load_b128 v[32:35], v[109:110], off offset:96
	;; [unrolled: 1-line block ×25, first 2 shown]
	v_lshlrev_b64 v[140:141], 2, v[111:112]
	s_delay_alu instid0(VALU_DEP_1) | instskip(NEXT) | instid1(VALU_DEP_2)
	v_add_co_u32 v140, vcc_lo, s8, v140
	v_add_co_ci_u32_e32 v141, vcc_lo, s9, v141, vcc_lo
	s_clause 0x3
	global_load_b32 v106, v[140:141], off
	global_load_b32 v112, v[140:141], off offset:16
	global_load_b32 v148, v[140:141], off offset:32
	;; [unrolled: 1-line block ×3, first 2 shown]
	s_waitcnt vmcnt(3)
	v_subrev_nc_u32_e32 v106, s12, v106
	s_waitcnt vmcnt(2)
	v_subrev_nc_u32_e32 v112, s12, v112
	s_delay_alu instid0(VALU_DEP_2) | instskip(NEXT) | instid1(VALU_DEP_1)
	v_lshlrev_b32_e32 v140, 2, v106
	v_ashrrev_i32_e32 v141, 31, v140
	s_delay_alu instid0(VALU_DEP_1) | instskip(SKIP_1) | instid1(VALU_DEP_1)
	v_lshlrev_b64 v[140:141], 3, v[140:141]
	s_waitcnt lgkmcnt(0)
	v_add_co_u32 v144, vcc_lo, s4, v140
	s_delay_alu instid0(VALU_DEP_2)
	v_add_co_ci_u32_e32 v145, vcc_lo, s5, v141, vcc_lo
	s_clause 0x1
	global_load_b128 v[140:143], v[144:145], off
	global_load_b128 v[144:147], v[144:145], off offset:16
	s_waitcnt vmcnt(1)
	v_fmac_f32_e32 v118, v81, v140
	v_fmac_f32_e32 v122, v89, v140
	;; [unrolled: 1-line block ×7, first 2 shown]
	v_fma_f32 v73, -v73, v141, v126
	v_fmac_f32_e32 v119, v72, v141
	v_fma_f32 v89, -v89, v141, v124
	v_fmac_f32_e32 v118, v83, v142
	v_fma_f32 v81, -v81, v141, v125
	v_subrev_nc_u32_e32 v124, s12, v148
	v_fmac_f32_e32 v119, v75, v142
	v_subrev_nc_u32_e32 v125, s12, v149
	v_fmac_f32_e32 v118, v82, v143
	v_fmac_f32_e32 v81, v82, v142
	;; [unrolled: 1-line block ×4, first 2 shown]
	v_dual_fmac_f32 v89, v90, v142 :: v_dual_fmac_f32 v122, v88, v141
	v_fmac_f32_e32 v121, v33, v140
	v_fma_f32 v106, -v83, v143, v81
	v_fma_f32 v150, -v75, v143, v73
	s_clause 0x1
	global_load_b128 v[80:83], v[109:110], off offset:1632
	global_load_b128 v[72:75], v[109:110], off offset:1600
	v_dual_fmac_f32 v122, v91, v142 :: v_dual_fmac_f32 v123, v32, v140
	s_waitcnt vmcnt(2)
	v_fmac_f32_e32 v150, v0, v144
	v_fma_f32 v151, -v91, v143, v89
	s_delay_alu instid0(VALU_DEP_3)
	v_dual_fmac_f32 v121, v32, v141 :: v_dual_fmac_f32 v122, v90, v143
	v_fma_f32 v33, -v33, v141, v123
	v_dual_fmac_f32 v118, v5, v144 :: v_dual_lshlrev_b32 v123, 2, v125
	global_load_b128 v[88:91], v[109:110], off offset:1616
	v_fmac_f32_e32 v121, v35, v142
	v_dual_fmac_f32 v33, v34, v142 :: v_dual_lshlrev_b32 v32, 2, v112
	v_fmac_f32_e32 v106, v4, v144
	v_fmac_f32_e32 v119, v1, v144
	s_delay_alu instid0(VALU_DEP_4) | instskip(NEXT) | instid1(VALU_DEP_4)
	v_fmac_f32_e32 v121, v34, v143
	v_fma_f32 v148, -v35, v143, v33
	v_lshlrev_b32_e32 v34, 2, v124
	v_ashrrev_i32_e32 v33, 31, v32
	v_fma_f32 v5, -v5, v145, v106
	v_fmac_f32_e32 v118, v4, v145
	v_ashrrev_i32_e32 v124, 31, v123
	v_ashrrev_i32_e32 v35, 31, v34
	v_lshlrev_b64 v[32:33], 3, v[32:33]
	v_fmac_f32_e32 v5, v6, v146
	v_fmac_f32_e32 v118, v7, v146
	v_fma_f32 v1, -v1, v145, v150
	v_lshlrev_b64 v[34:35], 3, v[34:35]
	v_lshlrev_b64 v[123:124], 3, v[123:124]
	v_add_co_u32 v125, vcc_lo, s4, v32
	v_add_co_ci_u32_e32 v126, vcc_lo, s5, v33, vcc_lo
	v_fma_f32 v106, -v7, v147, v5
	v_dual_fmac_f32 v118, v6, v147 :: v_dual_fmac_f32 v119, v0, v145
	v_fmac_f32_e32 v1, v2, v146
	v_add_co_u32 v140, vcc_lo, s4, v34
	v_add_co_ci_u32_e32 v141, vcc_lo, s5, v35, vcc_lo
	s_clause 0x1
	global_load_b128 v[32:35], v[125:126], off
	global_load_b128 v[4:7], v[125:126], off offset:16
	v_add_co_u32 v142, vcc_lo, s4, v123
	v_dual_fmac_f32 v119, v3, v146 :: v_dual_fmac_f32 v122, v21, v144
	v_add_co_ci_u32_e32 v143, vcc_lo, s5, v124, vcc_lo
	v_fma_f32 v112, -v3, v147, v1
	s_delay_alu instid0(VALU_DEP_3)
	v_dual_fmac_f32 v119, v2, v147 :: v_dual_fmac_f32 v122, v20, v145
	s_clause 0x1
	global_load_b128 v[0:3], v[140:141], off
	global_load_b128 v[123:126], v[140:141], off offset:16
	v_fmac_f32_e32 v151, v20, v144
	v_add_co_u32 v109, vcc_lo, 0x800, v109
	v_fmac_f32_e32 v122, v23, v146
	v_add_co_ci_u32_e32 v110, vcc_lo, 0, v110, vcc_lo
	s_delay_alu instid0(VALU_DEP_4) | instskip(SKIP_1) | instid1(VALU_DEP_4)
	v_fma_f32 v21, -v21, v145, v151
	v_fmac_f32_e32 v148, v12, v144
	v_dual_fmac_f32 v122, v22, v147 :: v_dual_fmac_f32 v121, v13, v144
	v_add_nc_u32_e32 v111, 16, v111
	s_delay_alu instid0(VALU_DEP_4) | instskip(NEXT) | instid1(VALU_DEP_4)
	v_fmac_f32_e32 v21, v22, v146
	v_fma_f32 v13, -v13, v145, v148
	s_delay_alu instid0(VALU_DEP_4) | instskip(NEXT) | instid1(VALU_DEP_3)
	v_fmac_f32_e32 v121, v12, v145
	v_fma_f32 v140, -v23, v147, v21
	global_load_b128 v[20:23], v[142:143], off
	s_waitcnt vmcnt(4)
	v_dual_fmac_f32 v13, v14, v146 :: v_dual_fmac_f32 v106, v28, v32
	v_dual_fmac_f32 v118, v29, v32 :: v_dual_fmac_f32 v121, v15, v146
	v_fmac_f32_e32 v112, v24, v32
	s_delay_alu instid0(VALU_DEP_3) | instskip(NEXT) | instid1(VALU_DEP_3)
	v_fma_f32 v141, -v15, v147, v13
	v_dual_fmac_f32 v119, v25, v32 :: v_dual_fmac_f32 v118, v28, v33
	s_delay_alu instid0(VALU_DEP_4)
	v_dual_fmac_f32 v121, v14, v147 :: v_dual_fmac_f32 v140, v60, v32
	global_load_b128 v[12:15], v[142:143], off offset:16
	v_fmac_f32_e32 v122, v61, v32
	v_dual_fmac_f32 v141, v52, v32 :: v_dual_fmac_f32 v118, v31, v34
	v_fmac_f32_e32 v121, v53, v32
	v_fma_f32 v29, -v29, v33, v106
	s_delay_alu instid0(VALU_DEP_4)
	v_fmac_f32_e32 v122, v60, v33
	v_fmac_f32_e32 v119, v24, v33
	v_fma_f32 v24, -v61, v33, v140
	v_fma_f32 v25, -v25, v33, v112
	;; [unrolled: 1-line block ×3, first 2 shown]
	v_dual_fmac_f32 v121, v52, v33 :: v_dual_fmac_f32 v122, v63, v34
	s_delay_alu instid0(VALU_DEP_4) | instskip(SKIP_2) | instid1(VALU_DEP_4)
	v_fmac_f32_e32 v24, v62, v34
	v_dual_fmac_f32 v119, v27, v34 :: v_dual_fmac_f32 v118, v30, v35
	v_fmac_f32_e32 v29, v30, v34
	v_dual_fmac_f32 v121, v55, v34 :: v_dual_fmac_f32 v122, v62, v35
	s_delay_alu instid0(VALU_DEP_3)
	v_fmac_f32_e32 v119, v26, v35
	v_fma_f32 v24, -v63, v35, v24
	s_waitcnt vmcnt(4)
	v_dual_fmac_f32 v25, v26, v34 :: v_dual_fmac_f32 v118, v17, v4
	v_fma_f32 v29, -v31, v35, v29
	v_fmac_f32_e32 v28, v54, v34
	v_fmac_f32_e32 v24, v44, v4
	s_delay_alu instid0(VALU_DEP_4)
	v_fma_f32 v25, -v27, v35, v25
	v_fmac_f32_e32 v122, v45, v4
	v_fmac_f32_e32 v29, v16, v4
	v_fma_f32 v26, -v55, v35, v28
	v_fmac_f32_e32 v121, v54, v35
	v_dual_fmac_f32 v119, v9, v4 :: v_dual_fmac_f32 v118, v16, v5
	v_fmac_f32_e32 v25, v8, v4
	s_delay_alu instid0(VALU_DEP_4) | instskip(NEXT) | instid1(VALU_DEP_4)
	v_fmac_f32_e32 v26, v36, v4
	v_dual_fmac_f32 v121, v37, v4 :: v_dual_fmac_f32 v122, v44, v5
	v_fma_f32 v4, -v17, v5, v29
	v_dual_fmac_f32 v119, v8, v5 :: v_dual_fmac_f32 v118, v19, v6
	v_fma_f32 v8, -v45, v5, v24
	s_delay_alu instid0(VALU_DEP_3) | instskip(SKIP_1) | instid1(VALU_DEP_4)
	v_dual_fmac_f32 v121, v36, v5 :: v_dual_fmac_f32 v4, v18, v6
	v_fma_f32 v9, -v9, v5, v25
	v_dual_fmac_f32 v119, v11, v6 :: v_dual_fmac_f32 v118, v18, v7
	v_fma_f32 v16, -v37, v5, v26
	v_fmac_f32_e32 v8, v46, v6
	s_delay_alu instid0(VALU_DEP_3) | instskip(SKIP_3) | instid1(VALU_DEP_4)
	v_dual_fmac_f32 v122, v47, v6 :: v_dual_fmac_f32 v119, v10, v7
	v_fmac_f32_e32 v121, v39, v6
	v_fma_f32 v4, -v19, v7, v4
	v_fmac_f32_e32 v9, v10, v6
	v_fmac_f32_e32 v122, v46, v7
	s_waitcnt vmcnt(3)
	v_dual_fmac_f32 v118, v65, v0 :: v_dual_fmac_f32 v121, v38, v7
	v_fmac_f32_e32 v4, v64, v0
	v_fma_f32 v5, -v11, v7, v9
	v_fmac_f32_e32 v16, v38, v6
	v_fma_f32 v6, -v47, v7, v8
	v_dual_fmac_f32 v119, v57, v0 :: v_dual_fmac_f32 v118, v64, v1
	s_delay_alu instid0(VALU_DEP_4) | instskip(NEXT) | instid1(VALU_DEP_4)
	v_fmac_f32_e32 v5, v56, v0
	v_fma_f32 v8, -v39, v7, v16
	s_delay_alu instid0(VALU_DEP_3) | instskip(SKIP_2) | instid1(VALU_DEP_4)
	v_dual_fmac_f32 v122, v129, v0 :: v_dual_fmac_f32 v119, v56, v1
	v_fmac_f32_e32 v6, v128, v0
	v_fmac_f32_e32 v121, v77, v0
	;; [unrolled: 1-line block ×3, first 2 shown]
	v_fma_f32 v0, -v65, v1, v4
	v_fma_f32 v4, -v57, v1, v5
	v_fmac_f32_e32 v122, v128, v1
	v_fmac_f32_e32 v121, v76, v1
	;; [unrolled: 1-line block ×4, first 2 shown]
	v_fma_f32 v5, -v129, v1, v6
	v_fmac_f32_e32 v118, v67, v2
	v_fmac_f32_e32 v4, v58, v2
	;; [unrolled: 1-line block ×6, first 2 shown]
	v_fma_f32 v6, -v77, v1, v8
	s_delay_alu instid0(VALU_DEP_4) | instskip(SKIP_2) | instid1(VALU_DEP_3)
	v_dual_fmac_f32 v122, v131, v2 :: v_dual_fmac_f32 v121, v78, v3
	v_fma_f32 v1, -v59, v3, v4
	s_waitcnt vmcnt(2)
	v_dual_fmac_f32 v119, v41, v123 :: v_dual_fmac_f32 v6, v78, v2
	v_fma_f32 v0, -v67, v3, v0
	v_fmac_f32_e32 v121, v69, v123
	v_fma_f32 v2, -v131, v3, v5
	s_delay_alu instid0(VALU_DEP_4) | instskip(SKIP_1) | instid1(VALU_DEP_4)
	v_dual_fmac_f32 v122, v130, v3 :: v_dual_fmac_f32 v119, v40, v124
	v_fma_f32 v4, -v79, v3, v6
	v_dual_fmac_f32 v118, v49, v123 :: v_dual_fmac_f32 v121, v68, v124
	v_fmac_f32_e32 v1, v40, v123
	s_delay_alu instid0(VALU_DEP_4) | instskip(NEXT) | instid1(VALU_DEP_3)
	v_dual_fmac_f32 v2, v96, v123 :: v_dual_fmac_f32 v119, v43, v125
	v_dual_fmac_f32 v4, v68, v123 :: v_dual_fmac_f32 v121, v71, v125
	s_delay_alu instid0(VALU_DEP_3) | instskip(SKIP_2) | instid1(VALU_DEP_4)
	v_fma_f32 v1, -v41, v124, v1
	v_fmac_f32_e32 v0, v48, v123
	v_fmac_f32_e32 v118, v48, v124
	v_fma_f32 v3, -v69, v124, v4
	v_fmac_f32_e32 v122, v97, v123
	v_fma_f32 v2, -v97, v124, v2
	;; [unrolled: 2-line block ×3, first 2 shown]
	s_delay_alu instid0(VALU_DEP_4)
	v_dual_fmac_f32 v3, v70, v125 :: v_dual_fmac_f32 v122, v96, v124
	v_dual_fmac_f32 v119, v42, v126 :: v_dual_fmac_f32 v118, v51, v125
	v_fmac_f32_e32 v121, v70, v126
	v_fmac_f32_e32 v2, v98, v125
	v_fma_f32 v1, -v43, v126, v1
	s_waitcnt vmcnt(1)
	v_dual_fmac_f32 v119, v101, v20 :: v_dual_fmac_f32 v0, v50, v125
	v_fma_f32 v3, -v71, v126, v3
	v_fmac_f32_e32 v122, v99, v125
	v_dual_fmac_f32 v118, v50, v126 :: v_dual_fmac_f32 v121, v81, v20
	v_fma_f32 v2, -v99, v126, v2
	v_fmac_f32_e32 v1, v100, v20
	v_fma_f32 v0, -v51, v126, v0
	v_dual_fmac_f32 v3, v80, v20 :: v_dual_fmac_f32 v122, v98, v126
	v_dual_fmac_f32 v119, v100, v21 :: v_dual_fmac_f32 v118, v133, v20
	v_fmac_f32_e32 v121, v80, v21
	v_fmac_f32_e32 v2, v72, v20
	v_fma_f32 v1, -v101, v21, v1
	s_delay_alu instid0(VALU_DEP_4)
	v_dual_fmac_f32 v119, v103, v22 :: v_dual_fmac_f32 v0, v132, v20
	v_fma_f32 v3, -v81, v21, v3
	v_fmac_f32_e32 v122, v73, v20
	v_dual_fmac_f32 v118, v132, v21 :: v_dual_fmac_f32 v121, v83, v22
	v_fma_f32 v2, -v73, v21, v2
	v_fmac_f32_e32 v1, v102, v22
	v_fma_f32 v0, -v133, v21, v0
	v_dual_fmac_f32 v3, v82, v22 :: v_dual_fmac_f32 v122, v72, v21
	v_dual_fmac_f32 v119, v102, v23 :: v_dual_fmac_f32 v118, v135, v22
	v_fmac_f32_e32 v121, v82, v23
	v_fmac_f32_e32 v2, v74, v22
	v_fma_f32 v1, -v103, v23, v1
	v_fmac_f32_e32 v0, v134, v22
	v_fma_f32 v3, -v83, v23, v3
	v_fmac_f32_e32 v122, v75, v22
	v_fmac_f32_e32 v118, v134, v23
	v_cmp_ge_i32_e32 vcc_lo, v111, v120
	s_or_b32 s10, vcc_lo, s10
	s_waitcnt vmcnt(0)
	v_fmac_f32_e32 v121, v137, v12
	v_fmac_f32_e32 v1, v84, v12
	v_fma_f32 v0, -v135, v23, v0
	v_fmac_f32_e32 v119, v85, v12
	v_fma_f32 v2, -v75, v23, v2
	v_dual_fmac_f32 v3, v136, v12 :: v_dual_fmac_f32 v122, v74, v23
	v_dual_fmac_f32 v118, v93, v12 :: v_dual_fmac_f32 v121, v136, v13
	v_fma_f32 v1, -v85, v13, v1
	v_fmac_f32_e32 v0, v92, v12
	v_fmac_f32_e32 v119, v84, v13
	v_fmac_f32_e32 v2, v88, v12
	v_fma_f32 v3, -v137, v13, v3
	v_fmac_f32_e32 v122, v89, v12
	v_dual_fmac_f32 v118, v92, v13 :: v_dual_fmac_f32 v121, v139, v14
	v_fmac_f32_e32 v1, v86, v14
	v_fma_f32 v0, -v93, v13, v0
	v_fmac_f32_e32 v119, v87, v14
	v_fma_f32 v2, -v89, v13, v2
	v_dual_fmac_f32 v3, v138, v14 :: v_dual_fmac_f32 v122, v88, v13
	s_delay_alu instid0(VALU_DEP_4) | instskip(NEXT) | instid1(VALU_DEP_4)
	v_fmac_f32_e32 v0, v94, v14
	v_dual_fmac_f32 v119, v86, v15 :: v_dual_fmac_f32 v118, v95, v14
	v_fmac_f32_e32 v121, v138, v15
	v_fmac_f32_e32 v2, v90, v14
	;; [unrolled: 1-line block ×3, first 2 shown]
	v_fma_f32 v125, -v95, v15, v0
	v_fmac_f32_e32 v118, v94, v15
	v_fma_f32 v126, -v87, v15, v1
	v_fma_f32 v124, -v91, v15, v2
	v_fmac_f32_e32 v122, v90, v15
	v_fma_f32 v123, -v139, v15, v3
	s_and_not1_b32 exec_lo, exec_lo, s10
	s_cbranch_execnz .LBB10_27
; %bb.28:
	s_or_b32 exec_lo, exec_lo, s10
.LBB10_29:
	s_delay_alu instid0(SALU_CYCLE_1)
	s_or_b32 exec_lo, exec_lo, s7
.LBB10_30:
	s_delay_alu instid0(SALU_CYCLE_1) | instskip(NEXT) | instid1(SALU_CYCLE_1)
	s_or_b32 exec_lo, exec_lo, s6
	s_and_not1_b32 vcc_lo, exec_lo, s3
	s_cbranch_vccz .LBB10_32
	s_branch .LBB10_43
.LBB10_31:
                                        ; implicit-def: $vgpr118
                                        ; implicit-def: $vgpr125
                                        ; implicit-def: $vgpr123
                                        ; implicit-def: $vgpr121
                                        ; implicit-def: $vgpr124
                                        ; implicit-def: $vgpr122
                                        ; implicit-def: $vgpr126
                                        ; implicit-def: $vgpr119
.LBB10_32:
	v_dual_mov_b32 v118, 0 :: v_dual_mov_b32 v125, 0
	v_dual_mov_b32 v123, 0 :: v_dual_mov_b32 v124, 0
	;; [unrolled: 1-line block ×4, first 2 shown]
	s_and_saveexec_b32 s3, s2
	s_cbranch_execz .LBB10_42
; %bb.33:
	v_dual_mov_b32 v119, 0 :: v_dual_add_nc_u32 v0, v127, v117
	v_not_b32_e32 v1, v127
	v_dual_mov_b32 v124, 0 :: v_dual_mov_b32 v123, 0
	s_delay_alu instid0(VALU_DEP_3) | instskip(SKIP_3) | instid1(VALU_DEP_2)
	v_subrev_nc_u32_e32 v0, s12, v0
	v_dual_mov_b32 v125, 0 :: v_dual_mov_b32 v118, 0
	s_mov_b32 s6, 0
	s_mov_b32 s2, exec_lo
	v_dual_mov_b32 v121, 0 :: v_dual_add_nc_u32 v0, 4, v0
	v_mov_b32_e32 v126, 0
	s_delay_alu instid0(VALU_DEP_2) | instskip(NEXT) | instid1(VALU_DEP_1)
	v_max_i32_e32 v0, v0, v120
	v_add3_u32 v0, v0, s12, v1
	s_delay_alu instid0(VALU_DEP_1) | instskip(NEXT) | instid1(VALU_DEP_1)
	v_sub_nc_u32_e32 v0, v0, v117
	v_lshrrev_b32_e32 v1, 2, v0
	s_delay_alu instid0(VALU_DEP_1) | instskip(NEXT) | instid1(VALU_DEP_1)
	v_dual_mov_b32 v122, 0 :: v_dual_add_nc_u32 v1, 1, v1
	v_and_b32_e32 v1, 3, v1
	s_delay_alu instid0(VALU_DEP_1)
	v_cmpx_ne_u32_e32 0, v1
	s_cbranch_execz .LBB10_37
; %bb.34:
	v_dual_mov_b32 v118, 0 :: v_dual_lshlrev_b32 v1, 7, v1
	v_dual_mov_b32 v125, 0 :: v_dual_mov_b32 v124, 0
	v_dual_mov_b32 v123, 0 :: v_dual_mov_b32 v122, 0
	;; [unrolled: 1-line block ×3, first 2 shown]
	v_mov_b32_e32 v119, 0
.LBB10_35:                              ; =>This Inner Loop Header: Depth=1
	v_ashrrev_i32_e32 v106, 31, v105
	s_delay_alu instid0(VALU_DEP_1) | instskip(NEXT) | instid1(VALU_DEP_1)
	v_lshlrev_b64 v[2:3], 2, v[105:106]
	v_add_co_u32 v2, vcc_lo, s8, v2
	s_delay_alu instid0(VALU_DEP_2)
	v_add_co_ci_u32_e32 v3, vcc_lo, s9, v3, vcc_lo
	global_load_b32 v14, v[2:3], off
	s_clause 0x2
	global_load_b128 v[2:5], v[107:108], off offset:32
	global_load_b128 v[6:9], v[107:108], off offset:16
	global_load_b128 v[10:13], v[107:108], off
	s_waitcnt vmcnt(3)
	v_subrev_nc_u32_e32 v14, s12, v14
	s_delay_alu instid0(VALU_DEP_1) | instskip(NEXT) | instid1(VALU_DEP_1)
	v_lshlrev_b32_e32 v14, 2, v14
	v_ashrrev_i32_e32 v15, 31, v14
	s_delay_alu instid0(VALU_DEP_1) | instskip(SKIP_1) | instid1(VALU_DEP_1)
	v_lshlrev_b64 v[14:15], 3, v[14:15]
	s_waitcnt lgkmcnt(0)
	v_add_co_u32 v18, vcc_lo, s4, v14
	s_delay_alu instid0(VALU_DEP_2)
	v_add_co_ci_u32_e32 v19, vcc_lo, s5, v15, vcc_lo
	s_clause 0x1
	global_load_b128 v[14:17], v[18:19], off
	global_load_b128 v[18:21], v[18:19], off offset:16
	s_clause 0x4
	global_load_b128 v[22:25], v[107:108], off offset:48
	global_load_b128 v[26:29], v[107:108], off offset:64
	;; [unrolled: 1-line block ×5, first 2 shown]
	v_add_nc_u32_e32 v1, 0xffffff80, v1
	v_add_nc_u32_e32 v105, 4, v105
	v_add_co_u32 v107, vcc_lo, 0x200, v107
	v_add_co_ci_u32_e32 v108, vcc_lo, 0, v108, vcc_lo
	s_waitcnt vmcnt(6)
	v_fmac_f32_e32 v126, v12, v14
	v_fmac_f32_e32 v118, v11, v14
	;; [unrolled: 1-line block ×3, first 2 shown]
	v_cmp_eq_u32_e32 vcc_lo, 0, v1
	s_delay_alu instid0(VALU_DEP_3) | instskip(SKIP_3) | instid1(VALU_DEP_4)
	v_fmac_f32_e32 v118, v10, v15
	v_fmac_f32_e32 v125, v10, v14
	v_fma_f32 v10, -v13, v15, v126
	v_fmac_f32_e32 v121, v9, v14
	v_dual_fmac_f32 v119, v12, v15 :: v_dual_fmac_f32 v118, v3, v16
	s_delay_alu instid0(VALU_DEP_4) | instskip(NEXT) | instid1(VALU_DEP_4)
	v_fma_f32 v11, -v11, v15, v125
	v_fmac_f32_e32 v10, v4, v16
	s_delay_alu instid0(VALU_DEP_4) | instskip(NEXT) | instid1(VALU_DEP_3)
	v_dual_fmac_f32 v124, v6, v14 :: v_dual_fmac_f32 v121, v8, v15
	v_dual_fmac_f32 v122, v7, v14 :: v_dual_fmac_f32 v11, v2, v16
	v_fmac_f32_e32 v123, v8, v14
	s_delay_alu instid0(VALU_DEP_3) | instskip(SKIP_1) | instid1(VALU_DEP_4)
	v_fma_f32 v7, -v7, v15, v124
	v_dual_fmac_f32 v119, v5, v16 :: v_dual_fmac_f32 v118, v2, v17
	v_fmac_f32_e32 v122, v6, v15
	s_delay_alu instid0(VALU_DEP_4)
	v_fma_f32 v6, -v9, v15, v123
	s_waitcnt vmcnt(4)
	v_fmac_f32_e32 v7, v22, v16
	v_fma_f32 v3, -v3, v17, v11
	s_waitcnt vmcnt(3)
	v_fmac_f32_e32 v118, v27, v18
	v_dual_fmac_f32 v122, v23, v16 :: v_dual_fmac_f32 v119, v4, v17
	s_delay_alu instid0(VALU_DEP_3) | instskip(NEXT) | instid1(VALU_DEP_2)
	v_dual_fmac_f32 v6, v24, v16 :: v_dual_fmac_f32 v3, v26, v18
	v_dual_fmac_f32 v121, v25, v16 :: v_dual_fmac_f32 v122, v22, v17
	v_fma_f32 v2, -v5, v17, v10
	v_fma_f32 v4, -v23, v17, v7
	s_delay_alu instid0(VALU_DEP_4) | instskip(NEXT) | instid1(VALU_DEP_4)
	v_fma_f32 v5, -v25, v17, v6
	v_fmac_f32_e32 v121, v24, v17
	v_dual_fmac_f32 v119, v29, v18 :: v_dual_fmac_f32 v118, v26, v19
	s_waitcnt vmcnt(2)
	v_fmac_f32_e32 v4, v30, v18
	v_fmac_f32_e32 v122, v31, v18
	;; [unrolled: 1-line block ×3, first 2 shown]
	v_fma_f32 v3, -v27, v19, v3
	s_waitcnt vmcnt(1)
	v_fmac_f32_e32 v118, v35, v20
	v_fmac_f32_e32 v2, v28, v18
	;; [unrolled: 1-line block ×3, first 2 shown]
	v_dual_fmac_f32 v5, v32, v18 :: v_dual_fmac_f32 v122, v30, v19
	v_fma_f32 v4, -v31, v19, v4
	v_fmac_f32_e32 v121, v32, v19
	v_fmac_f32_e32 v3, v34, v20
	v_fma_f32 v2, -v29, v19, v2
	v_fma_f32 v5, -v33, v19, v5
	s_waitcnt vmcnt(0)
	v_fmac_f32_e32 v4, v38, v20
	v_dual_fmac_f32 v119, v37, v20 :: v_dual_fmac_f32 v118, v34, v21
	v_fmac_f32_e32 v2, v36, v20
	v_fmac_f32_e32 v122, v39, v20
	;; [unrolled: 1-line block ×3, first 2 shown]
	s_delay_alu instid0(VALU_DEP_4)
	v_fmac_f32_e32 v119, v36, v21
	v_fmac_f32_e32 v5, v40, v20
	v_fma_f32 v125, -v35, v21, v3
	v_fmac_f32_e32 v122, v38, v21
	v_fma_f32 v126, -v37, v21, v2
	v_fma_f32 v124, -v39, v21, v4
	;; [unrolled: 1-line block ×3, first 2 shown]
	v_fmac_f32_e32 v121, v40, v21
	s_or_b32 s6, vcc_lo, s6
	s_delay_alu instid0(SALU_CYCLE_1)
	s_and_not1_b32 exec_lo, exec_lo, s6
	s_cbranch_execnz .LBB10_35
; %bb.36:
	s_or_b32 exec_lo, exec_lo, s6
.LBB10_37:
	s_delay_alu instid0(SALU_CYCLE_1) | instskip(NEXT) | instid1(SALU_CYCLE_1)
	s_or_b32 exec_lo, exec_lo, s2
	s_mov_b32 s2, exec_lo
	v_cmpx_lt_u32_e32 11, v0
	s_cbranch_execz .LBB10_41
; %bb.38:
	s_mov_b32 s6, 0
.LBB10_39:                              ; =>This Inner Loop Header: Depth=1
	v_ashrrev_i32_e32 v106, 31, v105
	s_clause 0x16
	global_load_b128 v[44:47], v[107:108], off offset:48
	global_load_b128 v[56:59], v[107:108], off offset:32
	;; [unrolled: 1-line block ×3, first 2 shown]
	global_load_b128 v[64:67], v[107:108], off
	global_load_b128 v[8:11], v[107:108], off offset:112
	global_load_b128 v[32:35], v[107:108], off offset:96
	;; [unrolled: 1-line block ×19, first 2 shown]
	v_lshlrev_b64 v[92:93], 2, v[105:106]
	v_add_nc_u32_e32 v105, 16, v105
	s_delay_alu instid0(VALU_DEP_2) | instskip(NEXT) | instid1(VALU_DEP_3)
	v_add_co_u32 v92, vcc_lo, s8, v92
	v_add_co_ci_u32_e32 v93, vcc_lo, s9, v93, vcc_lo
	s_clause 0x3
	global_load_b32 v94, v[92:93], off
	global_load_b32 v100, v[92:93], off offset:16
	global_load_b32 v101, v[92:93], off offset:32
	global_load_b32 v102, v[92:93], off offset:48
	s_waitcnt vmcnt(3)
	v_subrev_nc_u32_e32 v92, s12, v94
	s_delay_alu instid0(VALU_DEP_1) | instskip(NEXT) | instid1(VALU_DEP_1)
	v_lshlrev_b32_e32 v92, 2, v92
	v_ashrrev_i32_e32 v93, 31, v92
	s_delay_alu instid0(VALU_DEP_1) | instskip(SKIP_1) | instid1(VALU_DEP_1)
	v_lshlrev_b64 v[92:93], 3, v[92:93]
	s_waitcnt lgkmcnt(0)
	v_add_co_u32 v96, vcc_lo, s4, v92
	s_delay_alu instid0(VALU_DEP_2)
	v_add_co_ci_u32_e32 v97, vcc_lo, s5, v93, vcc_lo
	s_clause 0x1
	global_load_b128 v[92:95], v[96:97], off
	global_load_b128 v[96:99], v[96:97], off offset:16
	s_waitcnt vmcnt(1)
	v_fmac_f32_e32 v121, v63, v92
	s_delay_alu instid0(VALU_DEP_1) | instskip(NEXT) | instid1(VALU_DEP_1)
	v_dual_fmac_f32 v118, v65, v92 :: v_dual_fmac_f32 v121, v62, v93
	v_dual_fmac_f32 v119, v67, v92 :: v_dual_fmac_f32 v118, v64, v93
	v_fmac_f32_e32 v125, v64, v92
	s_delay_alu instid0(VALU_DEP_2) | instskip(SKIP_1) | instid1(VALU_DEP_3)
	v_dual_fmac_f32 v119, v66, v93 :: v_dual_fmac_f32 v118, v57, v94
	v_fmac_f32_e32 v124, v60, v92
	v_fma_f32 v103, -v65, v93, v125
	s_delay_alu instid0(VALU_DEP_3) | instskip(NEXT) | instid1(VALU_DEP_2)
	v_dual_fmac_f32 v126, v66, v92 :: v_dual_fmac_f32 v119, v59, v94
	v_dual_fmac_f32 v122, v61, v92 :: v_dual_fmac_f32 v103, v56, v94
	s_delay_alu instid0(VALU_DEP_2) | instskip(NEXT) | instid1(VALU_DEP_3)
	v_fma_f32 v106, -v67, v93, v126
	v_fmac_f32_e32 v119, v58, v95
	s_delay_alu instid0(VALU_DEP_3) | instskip(SKIP_2) | instid1(VALU_DEP_3)
	v_dual_fmac_f32 v123, v62, v92 :: v_dual_fmac_f32 v122, v60, v93
	v_fma_f32 v92, -v61, v93, v124
	s_waitcnt vmcnt(0)
	v_dual_fmac_f32 v106, v58, v94 :: v_dual_fmac_f32 v119, v55, v96
	s_delay_alu instid0(VALU_DEP_3)
	v_fma_f32 v109, -v63, v93, v123
	v_fmac_f32_e32 v122, v45, v94
	v_subrev_nc_u32_e32 v93, s12, v100
	v_fmac_f32_e32 v121, v47, v94
	v_subrev_nc_u32_e32 v100, s12, v101
	v_dual_fmac_f32 v118, v56, v95 :: v_dual_fmac_f32 v109, v46, v94
	v_fmac_f32_e32 v122, v44, v95
	s_delay_alu instid0(VALU_DEP_4) | instskip(SKIP_2) | instid1(VALU_DEP_3)
	v_dual_fmac_f32 v92, v44, v94 :: v_dual_fmac_f32 v121, v46, v95
	v_subrev_nc_u32_e32 v101, s12, v102
	v_dual_fmac_f32 v119, v54, v97 :: v_dual_lshlrev_b32 v46, 2, v100
	v_fma_f32 v111, -v45, v95, v92
	v_lshlrev_b32_e32 v44, 2, v93
	v_fma_f32 v109, -v47, v95, v109
	v_lshlrev_b32_e32 v92, 2, v101
	v_ashrrev_i32_e32 v47, 31, v46
	v_fmac_f32_e32 v111, v48, v96
	v_ashrrev_i32_e32 v45, 31, v44
	v_fmac_f32_e32 v109, v50, v96
	v_ashrrev_i32_e32 v93, 31, v92
	v_lshlrev_b64 v[46:47], 3, v[46:47]
	v_fma_f32 v106, -v59, v95, v106
	v_lshlrev_b64 v[44:45], 3, v[44:45]
	v_fma_f32 v110, -v57, v95, v103
	v_lshlrev_b64 v[92:93], 3, v[92:93]
	s_delay_alu instid0(VALU_DEP_4)
	v_dual_fmac_f32 v119, v35, v98 :: v_dual_fmac_f32 v106, v54, v96
	v_fmac_f32_e32 v121, v51, v96
	v_add_co_u32 v94, vcc_lo, s4, v44
	v_add_co_ci_u32_e32 v95, vcc_lo, s5, v45, vcc_lo
	v_add_co_u32 v100, vcc_lo, s4, v46
	v_add_co_ci_u32_e32 v101, vcc_lo, s5, v47, vcc_lo
	v_add_co_u32 v102, vcc_lo, s4, v92
	v_add_co_ci_u32_e32 v103, vcc_lo, s5, v93, vcc_lo
	v_fma_f32 v93, -v55, v97, v106
	v_fmac_f32_e32 v118, v53, v96
	v_dual_fmac_f32 v110, v52, v96 :: v_dual_fmac_f32 v121, v50, v97
	v_dual_fmac_f32 v122, v49, v96 :: v_dual_fmac_f32 v119, v34, v99
	s_delay_alu instid0(VALU_DEP_3) | instskip(NEXT) | instid1(VALU_DEP_3)
	v_dual_fmac_f32 v93, v34, v98 :: v_dual_fmac_f32 v118, v52, v97
	v_fma_f32 v92, -v53, v97, v110
	v_fma_f32 v96, -v49, v97, v111
	s_delay_alu instid0(VALU_DEP_4) | instskip(SKIP_1) | instid1(VALU_DEP_4)
	v_dual_fmac_f32 v122, v48, v97 :: v_dual_fmac_f32 v121, v11, v98
	v_fma_f32 v106, -v51, v97, v109
	v_fmac_f32_e32 v92, v32, v98
	s_delay_alu instid0(VALU_DEP_4) | instskip(NEXT) | instid1(VALU_DEP_4)
	v_fmac_f32_e32 v96, v8, v98
	v_dual_fmac_f32 v122, v9, v98 :: v_dual_fmac_f32 v121, v10, v99
	s_delay_alu instid0(VALU_DEP_4) | instskip(NEXT) | instid1(VALU_DEP_4)
	v_fmac_f32_e32 v106, v10, v98
	v_fma_f32 v97, -v33, v99, v92
	v_fmac_f32_e32 v118, v33, v98
	s_clause 0x5
	global_load_b128 v[64:67], v[107:108], off offset:1088
	global_load_b128 v[52:55], v[107:108], off offset:1536
	;; [unrolled: 1-line block ×6, first 2 shown]
	v_fma_f32 v109, -v35, v99, v93
	v_fmac_f32_e32 v118, v32, v99
	global_load_b128 v[32:35], v[107:108], off offset:1616
	v_fma_f32 v110, -v9, v99, v96
	v_fmac_f32_e32 v122, v8, v99
	v_fma_f32 v106, -v11, v99, v106
	s_clause 0x1
	global_load_b128 v[8:11], v[94:95], off
	global_load_b128 v[92:95], v[94:95], off offset:16
	s_waitcnt vmcnt(1)
	v_fmac_f32_e32 v97, v40, v8
	v_fmac_f32_e32 v109, v42, v8
	v_fmac_f32_e32 v119, v43, v8
	v_fmac_f32_e32 v121, v39, v8
	s_delay_alu instid0(VALU_DEP_4) | instskip(SKIP_3) | instid1(VALU_DEP_4)
	v_fma_f32 v111, -v41, v9, v97
	v_fmac_f32_e32 v118, v41, v8
	v_fma_f32 v109, -v43, v9, v109
	v_dual_fmac_f32 v119, v42, v9 :: v_dual_fmac_f32 v110, v36, v8
	v_fmac_f32_e32 v111, v28, v10
	s_delay_alu instid0(VALU_DEP_3)
	v_dual_fmac_f32 v118, v40, v9 :: v_dual_fmac_f32 v109, v30, v10
	s_clause 0x1
	global_load_b128 v[40:43], v[100:101], off
	global_load_b128 v[96:99], v[100:101], off offset:16
	v_fmac_f32_e32 v121, v38, v9
	v_dual_fmac_f32 v106, v38, v8 :: v_dual_fmac_f32 v119, v31, v10
	v_fmac_f32_e32 v122, v37, v8
	v_fma_f32 v8, -v37, v9, v110
	s_delay_alu instid0(VALU_DEP_4) | instskip(NEXT) | instid1(VALU_DEP_4)
	v_fmac_f32_e32 v121, v27, v10
	v_fma_f32 v100, -v39, v9, v106
	s_delay_alu instid0(VALU_DEP_4)
	v_dual_fmac_f32 v119, v30, v11 :: v_dual_fmac_f32 v122, v36, v9
	global_load_b128 v[36:39], v[102:103], off
	v_fmac_f32_e32 v118, v29, v10
	v_fma_f32 v101, -v29, v11, v111
	v_fma_f32 v106, -v31, v11, v109
	v_dual_fmac_f32 v121, v26, v11 :: v_dual_fmac_f32 v8, v24, v10
	s_waitcnt vmcnt(3)
	v_dual_fmac_f32 v118, v28, v11 :: v_dual_fmac_f32 v119, v19, v92
	global_load_b128 v[28:31], v[102:103], off offset:16
	v_dual_fmac_f32 v122, v25, v10 :: v_dual_fmac_f32 v101, v16, v92
	v_fmac_f32_e32 v121, v15, v92
	v_fma_f32 v102, -v25, v11, v8
	v_fmac_f32_e32 v118, v17, v92
	s_delay_alu instid0(VALU_DEP_4) | instskip(SKIP_3) | instid1(VALU_DEP_4)
	v_dual_fmac_f32 v122, v24, v11 :: v_dual_fmac_f32 v119, v18, v93
	v_fma_f32 v17, -v17, v93, v101
	v_fmac_f32_e32 v106, v18, v92
	v_dual_fmac_f32 v102, v12, v92 :: v_dual_fmac_f32 v121, v14, v93
	v_dual_fmac_f32 v119, v7, v94 :: v_dual_fmac_f32 v118, v16, v93
	s_delay_alu instid0(VALU_DEP_4) | instskip(NEXT) | instid1(VALU_DEP_3)
	v_dual_fmac_f32 v17, v4, v94 :: v_dual_fmac_f32 v122, v13, v92
	v_fma_f32 v13, -v13, v93, v102
	s_delay_alu instid0(VALU_DEP_3) | instskip(NEXT) | instid1(VALU_DEP_3)
	v_dual_fmac_f32 v119, v6, v95 :: v_dual_fmac_f32 v118, v5, v94
	v_fma_f32 v5, -v5, v95, v17
	v_fmac_f32_e32 v100, v26, v10
	v_fma_f32 v16, -v19, v93, v106
	v_fmac_f32_e32 v13, v0, v94
	v_dual_fmac_f32 v121, v3, v94 :: v_dual_fmac_f32 v122, v12, v93
	s_delay_alu instid0(VALU_DEP_1) | instskip(NEXT) | instid1(VALU_DEP_3)
	v_dual_fmac_f32 v121, v2, v95 :: v_dual_fmac_f32 v122, v1, v94
	v_fma_f32 v1, -v1, v95, v13
	s_waitcnt vmcnt(3)
	s_delay_alu instid0(VALU_DEP_1)
	v_dual_fmac_f32 v16, v6, v94 :: v_dual_fmac_f32 v1, v72, v40
	v_fmac_f32_e32 v5, v76, v40
	v_fma_f32 v100, -v27, v11, v100
	s_clause 0x1
	global_load_b128 v[8:11], v[107:108], off offset:1632
	global_load_b128 v[24:27], v[107:108], off offset:1648
	v_dual_fmac_f32 v119, v79, v40 :: v_dual_fmac_f32 v118, v4, v95
	v_fma_f32 v4, -v7, v95, v16
	v_fmac_f32_e32 v100, v14, v92
	v_dual_fmac_f32 v121, v75, v40 :: v_dual_fmac_f32 v122, v0, v95
	s_delay_alu instid0(VALU_DEP_4) | instskip(NEXT) | instid1(VALU_DEP_4)
	v_fmac_f32_e32 v119, v78, v41
	v_fmac_f32_e32 v4, v78, v40
	s_delay_alu instid0(VALU_DEP_4) | instskip(SKIP_4) | instid1(VALU_DEP_4)
	v_fma_f32 v12, -v15, v93, v100
	v_fma_f32 v1, -v73, v41, v1
	v_fmac_f32_e32 v121, v74, v41
	v_dual_fmac_f32 v119, v71, v42 :: v_dual_fmac_f32 v122, v73, v40
	v_add_co_u32 v107, vcc_lo, 0x800, v107
	v_fmac_f32_e32 v1, v20, v42
	s_delay_alu instid0(VALU_DEP_3) | instskip(SKIP_2) | instid1(VALU_DEP_4)
	v_fmac_f32_e32 v119, v70, v43
	v_fmac_f32_e32 v12, v2, v94
	v_dual_fmac_f32 v122, v72, v41 :: v_dual_fmac_f32 v121, v23, v42
	v_fma_f32 v1, -v21, v43, v1
	s_waitcnt vmcnt(4)
	v_fmac_f32_e32 v119, v67, v96
	v_fma_f32 v0, -v3, v95, v12
	v_fma_f32 v3, -v79, v41, v4
	v_dual_fmac_f32 v118, v77, v40 :: v_dual_fmac_f32 v121, v22, v43
	v_fmac_f32_e32 v122, v21, v42
	s_delay_alu instid0(VALU_DEP_4) | instskip(NEXT) | instid1(VALU_DEP_3)
	v_fmac_f32_e32 v0, v74, v40
	v_dual_fmac_f32 v3, v70, v42 :: v_dual_fmac_f32 v118, v76, v41
	v_fmac_f32_e32 v1, v88, v96
	v_fmac_f32_e32 v119, v66, v97
	v_fma_f32 v2, -v77, v41, v5
	v_fma_f32 v0, -v75, v41, v0
	v_dual_fmac_f32 v118, v69, v42 :: v_dual_fmac_f32 v121, v91, v96
	v_fmac_f32_e32 v122, v20, v43
	v_fma_f32 v1, -v89, v97, v1
	s_delay_alu instid0(VALU_DEP_3) | instskip(SKIP_2) | instid1(VALU_DEP_4)
	v_dual_fmac_f32 v119, v87, v98 :: v_dual_fmac_f32 v118, v68, v43
	v_fma_f32 v3, -v71, v43, v3
	v_dual_fmac_f32 v2, v68, v42 :: v_dual_fmac_f32 v121, v90, v97
	v_dual_fmac_f32 v122, v89, v96 :: v_dual_fmac_f32 v1, v80, v98
	s_delay_alu instid0(VALU_DEP_4) | instskip(SKIP_3) | instid1(VALU_DEP_4)
	v_dual_fmac_f32 v118, v65, v96 :: v_dual_fmac_f32 v119, v86, v99
	v_fmac_f32_e32 v0, v22, v42
	v_fmac_f32_e32 v3, v66, v96
	v_fma_f32 v2, -v69, v43, v2
	v_fmac_f32_e32 v118, v64, v97
	v_fma_f32 v1, -v81, v99, v1
	s_waitcnt vmcnt(3)
	v_fmac_f32_e32 v119, v55, v36
	v_fma_f32 v0, -v23, v43, v0
	v_fma_f32 v3, -v67, v97, v3
	v_dual_fmac_f32 v118, v85, v98 :: v_dual_fmac_f32 v1, v44, v36
	v_fmac_f32_e32 v2, v64, v96
	s_delay_alu instid0(VALU_DEP_4) | instskip(NEXT) | instid1(VALU_DEP_3)
	v_dual_fmac_f32 v0, v90, v96 :: v_dual_fmac_f32 v121, v83, v98
	v_dual_fmac_f32 v118, v84, v99 :: v_dual_fmac_f32 v119, v54, v37
	v_fmac_f32_e32 v122, v88, v97
	s_delay_alu instid0(VALU_DEP_3) | instskip(NEXT) | instid1(VALU_DEP_4)
	v_fma_f32 v0, -v91, v97, v0
	v_fmac_f32_e32 v121, v82, v99
	v_fmac_f32_e32 v3, v86, v98
	v_fma_f32 v2, -v65, v97, v2
	v_dual_fmac_f32 v118, v53, v36 :: v_dual_fmac_f32 v119, v59, v38
	s_delay_alu instid0(VALU_DEP_4) | instskip(NEXT) | instid1(VALU_DEP_4)
	v_dual_fmac_f32 v122, v81, v98 :: v_dual_fmac_f32 v121, v47, v36
	v_fma_f32 v3, -v87, v99, v3
	s_delay_alu instid0(VALU_DEP_4) | instskip(NEXT) | instid1(VALU_DEP_4)
	v_fmac_f32_e32 v2, v84, v98
	v_dual_fmac_f32 v118, v52, v37 :: v_dual_fmac_f32 v119, v58, v39
	v_fmac_f32_e32 v0, v82, v98
	v_dual_fmac_f32 v122, v80, v99 :: v_dual_fmac_f32 v121, v46, v37
	v_fmac_f32_e32 v3, v54, v36
	v_fma_f32 v2, -v85, v99, v2
	s_waitcnt vmcnt(2)
	v_fmac_f32_e32 v119, v51, v28
	v_fma_f32 v0, -v83, v99, v0
	v_fma_f32 v1, -v45, v37, v1
	v_fmac_f32_e32 v122, v45, v36
	v_fma_f32 v3, -v55, v37, v3
	v_fmac_f32_e32 v2, v52, v36
	v_dual_fmac_f32 v0, v46, v36 :: v_dual_fmac_f32 v121, v63, v38
	v_fmac_f32_e32 v1, v60, v38
	s_delay_alu instid0(VALU_DEP_4) | instskip(NEXT) | instid1(VALU_DEP_4)
	v_dual_fmac_f32 v122, v44, v37 :: v_dual_fmac_f32 v3, v58, v38
	v_fma_f32 v2, -v53, v37, v2
	s_delay_alu instid0(VALU_DEP_4) | instskip(SKIP_1) | instid1(VALU_DEP_4)
	v_fmac_f32_e32 v121, v62, v39
	v_fma_f32 v0, -v47, v37, v0
	v_fmac_f32_e32 v122, v61, v38
	v_fma_f32 v3, -v59, v39, v3
	;; [unrolled: 2-line block ×3, first 2 shown]
	v_fmac_f32_e32 v118, v57, v38
	v_fmac_f32_e32 v0, v62, v38
	;; [unrolled: 1-line block ×3, first 2 shown]
	v_fma_f32 v2, -v57, v39, v2
	v_fmac_f32_e32 v1, v32, v28
	v_dual_fmac_f32 v118, v56, v39 :: v_dual_fmac_f32 v119, v50, v29
	v_fma_f32 v0, -v63, v39, v0
	v_dual_fmac_f32 v121, v35, v28 :: v_dual_fmac_f32 v122, v60, v39
	s_delay_alu instid0(VALU_DEP_3)
	v_fmac_f32_e32 v118, v49, v28
	v_fma_f32 v3, -v51, v29, v3
	v_fmac_f32_e32 v2, v48, v28
	v_fma_f32 v1, -v33, v29, v1
	v_dual_fmac_f32 v121, v34, v29 :: v_dual_fmac_f32 v122, v33, v28
	v_fmac_f32_e32 v0, v34, v28
	v_add_co_ci_u32_e32 v108, vcc_lo, 0, v108, vcc_lo
	v_cmp_ge_i32_e32 vcc_lo, v105, v120
	s_or_b32 s6, vcc_lo, s6
	s_waitcnt vmcnt(1)
	v_fmac_f32_e32 v3, v10, v30
	s_waitcnt vmcnt(0)
	v_fmac_f32_e32 v121, v27, v30
	v_fma_f32 v2, -v49, v29, v2
	v_fma_f32 v0, -v35, v29, v0
	v_dual_fmac_f32 v119, v11, v30 :: v_dual_fmac_f32 v118, v48, v29
	v_fmac_f32_e32 v1, v24, v30
	v_dual_fmac_f32 v122, v32, v29 :: v_dual_fmac_f32 v121, v26, v31
	v_fmac_f32_e32 v2, v8, v30
	v_fmac_f32_e32 v0, v26, v30
	v_dual_fmac_f32 v119, v10, v31 :: v_dual_fmac_f32 v118, v9, v30
	s_delay_alu instid0(VALU_DEP_4) | instskip(NEXT) | instid1(VALU_DEP_4)
	v_fmac_f32_e32 v122, v25, v30
	v_fma_f32 v125, -v9, v31, v2
	v_fma_f32 v126, -v11, v31, v3
	;; [unrolled: 1-line block ×3, first 2 shown]
	v_fmac_f32_e32 v118, v8, v31
	v_fmac_f32_e32 v122, v24, v31
	v_fma_f32 v123, -v27, v31, v0
	s_and_not1_b32 exec_lo, exec_lo, s6
	s_cbranch_execnz .LBB10_39
; %bb.40:
	s_or_b32 exec_lo, exec_lo, s6
.LBB10_41:
	s_delay_alu instid0(SALU_CYCLE_1)
	s_or_b32 exec_lo, exec_lo, s2
.LBB10_42:
	s_delay_alu instid0(SALU_CYCLE_1)
	s_or_b32 exec_lo, exec_lo, s3
.LBB10_43:
	v_mbcnt_lo_u32_b32 v0, -1, 0
	s_delay_alu instid0(VALU_DEP_1) | instskip(NEXT) | instid1(VALU_DEP_1)
	v_xor_b32_e32 v1, 2, v0
	v_cmp_gt_i32_e32 vcc_lo, 32, v1
	v_cndmask_b32_e32 v1, v0, v1, vcc_lo
	s_delay_alu instid0(VALU_DEP_1)
	v_lshlrev_b32_e32 v1, 2, v1
	ds_bpermute_b32 v2, v1, v125
	ds_bpermute_b32 v3, v1, v118
	;; [unrolled: 1-line block ×8, first 2 shown]
	v_xor_b32_e32 v1, 1, v0
	s_delay_alu instid0(VALU_DEP_1) | instskip(SKIP_4) | instid1(VALU_DEP_3)
	v_cmp_gt_i32_e32 vcc_lo, 32, v1
	v_cndmask_b32_e32 v0, v0, v1, vcc_lo
	v_cmp_eq_u32_e32 vcc_lo, 3, v117
	s_waitcnt lgkmcnt(0)
	v_add_f32_e32 v1, v118, v3
	v_dual_add_f32 v0, v125, v2 :: v_dual_lshlrev_b32 v15, 2, v0
	v_add_f32_e32 v2, v126, v4
	v_dual_add_f32 v4, v124, v6 :: v_dual_add_f32 v3, v119, v5
	v_dual_add_f32 v5, v122, v7 :: v_dual_add_f32 v6, v123, v8
	v_add_f32_e32 v7, v121, v9
	ds_bpermute_b32 v8, v15, v0
	ds_bpermute_b32 v9, v15, v1
	;; [unrolled: 1-line block ×8, first 2 shown]
	s_and_b32 exec_lo, exec_lo, vcc_lo
	s_cbranch_execz .LBB10_13
; %bb.44:
	s_load_b64 s[2:3], s[0:1], 0x50
	s_waitcnt lgkmcnt(0)
	v_add_f32_e32 v8, v0, v8
	v_dual_add_f32 v0, v1, v9 :: v_dual_add_f32 v1, v3, v11
	v_dual_add_f32 v9, v2, v10 :: v_dual_add_f32 v2, v5, v13
	;; [unrolled: 1-line block ×3, first 2 shown]
	v_add_f32_e32 v11, v6, v14
	s_delay_alu instid0(VALU_DEP_4)
	v_mul_f32_e64 v4, v0, -v116
	v_mul_f32_e32 v5, v0, v115
	v_mul_f32_e64 v6, v1, -v116
	v_mul_f32_e32 v7, v1, v115
	v_mul_f32_e64 v0, v2, -v116
	v_mul_f32_e32 v1, v2, v115
	v_mul_f32_e64 v2, v3, -v116
	v_fmac_f32_e32 v6, v115, v9
	v_mul_f32_e32 v3, v3, v115
	v_cmp_eq_f32_e32 vcc_lo, 0, v113
	v_cmp_eq_f32_e64 s0, 0, v114
	v_fmac_f32_e32 v4, v115, v8
	v_dual_fmac_f32 v5, v116, v8 :: v_dual_fmac_f32 v0, v115, v10
	v_dual_fmac_f32 v7, v116, v9 :: v_dual_lshlrev_b32 v8, 2, v104
	v_dual_fmac_f32 v2, v115, v11 :: v_dual_fmac_f32 v1, v116, v10
	v_fmac_f32_e32 v3, v116, v11
	s_and_b32 s0, vcc_lo, s0
	s_delay_alu instid0(SALU_CYCLE_1) | instskip(NEXT) | instid1(SALU_CYCLE_1)
	s_and_saveexec_b32 s1, s0
	s_xor_b32 s0, exec_lo, s1
; %bb.45:
	v_ashrrev_i32_e32 v9, 31, v8
                                        ; implicit-def: $vgpr113
                                        ; implicit-def: $vgpr114
	s_delay_alu instid0(VALU_DEP_1) | instskip(NEXT) | instid1(VALU_DEP_1)
	v_lshlrev_b64 v[8:9], 3, v[8:9]
	v_add_co_u32 v8, vcc_lo, s2, v8
	s_delay_alu instid0(VALU_DEP_2)
	v_add_co_ci_u32_e32 v9, vcc_lo, s3, v9, vcc_lo
	s_clause 0x1
	global_store_b128 v[8:9], v[4:7], off
	global_store_b128 v[8:9], v[0:3], off offset:16
                                        ; implicit-def: $vgpr4
                                        ; implicit-def: $vgpr8
                                        ; implicit-def: $vgpr0
; %bb.46:
	s_and_not1_saveexec_b32 s0, s0
	s_cbranch_execz .LBB10_13
; %bb.47:
	v_ashrrev_i32_e32 v9, 31, v8
	s_delay_alu instid0(VALU_DEP_1) | instskip(NEXT) | instid1(VALU_DEP_1)
	v_lshlrev_b64 v[8:9], 3, v[8:9]
	v_add_co_u32 v16, vcc_lo, s2, v8
	s_delay_alu instid0(VALU_DEP_2)
	v_add_co_ci_u32_e32 v17, vcc_lo, s3, v9, vcc_lo
	s_clause 0x1
	global_load_b128 v[8:11], v[16:17], off
	global_load_b128 v[12:15], v[16:17], off offset:16
	s_waitcnt vmcnt(1)
	v_dual_fmac_f32 v4, v113, v8 :: v_dual_fmac_f32 v7, v114, v10
	v_dual_fmac_f32 v5, v114, v8 :: v_dual_fmac_f32 v6, v113, v10
	s_waitcnt vmcnt(0)
	v_dual_fmac_f32 v0, v113, v12 :: v_dual_fmac_f32 v3, v114, v14
	v_dual_fmac_f32 v1, v114, v12 :: v_dual_fmac_f32 v2, v113, v14
	v_fma_f32 v4, -v114, v9, v4
	v_fmac_f32_e32 v5, v113, v9
	v_fma_f32 v6, -v114, v11, v6
	v_fmac_f32_e32 v7, v113, v11
	;; [unrolled: 2-line block ×4, first 2 shown]
	s_clause 0x1
	global_store_b128 v[16:17], v[4:7], off
	global_store_b128 v[16:17], v[0:3], off offset:16
	s_nop 0
	s_sendmsg sendmsg(MSG_DEALLOC_VGPRS)
	s_endpgm
	.section	.rodata,"a",@progbits
	.p2align	6, 0x0
	.amdhsa_kernel _ZN9rocsparseL18bsrxmvn_4x4_kernelILj128ELj4E21rocsparse_complex_numIfEiiS2_S2_S2_EEvT3_20rocsparse_direction_NS_24const_host_device_scalarIT1_EES3_PKS3_PKT2_SC_S9_PKT4_PKT5_S7_PT6_21rocsparse_index_base_b
		.amdhsa_group_segment_fixed_size 0
		.amdhsa_private_segment_fixed_size 0
		.amdhsa_kernarg_size 96
		.amdhsa_user_sgpr_count 15
		.amdhsa_user_sgpr_dispatch_ptr 0
		.amdhsa_user_sgpr_queue_ptr 0
		.amdhsa_user_sgpr_kernarg_segment_ptr 1
		.amdhsa_user_sgpr_dispatch_id 0
		.amdhsa_user_sgpr_private_segment_size 0
		.amdhsa_wavefront_size32 1
		.amdhsa_uses_dynamic_stack 0
		.amdhsa_enable_private_segment 0
		.amdhsa_system_sgpr_workgroup_id_x 1
		.amdhsa_system_sgpr_workgroup_id_y 0
		.amdhsa_system_sgpr_workgroup_id_z 0
		.amdhsa_system_sgpr_workgroup_info 0
		.amdhsa_system_vgpr_workitem_id 0
		.amdhsa_next_free_vgpr 152
		.amdhsa_next_free_sgpr 16
		.amdhsa_reserve_vcc 1
		.amdhsa_float_round_mode_32 0
		.amdhsa_float_round_mode_16_64 0
		.amdhsa_float_denorm_mode_32 3
		.amdhsa_float_denorm_mode_16_64 3
		.amdhsa_dx10_clamp 1
		.amdhsa_ieee_mode 1
		.amdhsa_fp16_overflow 0
		.amdhsa_workgroup_processor_mode 1
		.amdhsa_memory_ordered 1
		.amdhsa_forward_progress 0
		.amdhsa_shared_vgpr_count 0
		.amdhsa_exception_fp_ieee_invalid_op 0
		.amdhsa_exception_fp_denorm_src 0
		.amdhsa_exception_fp_ieee_div_zero 0
		.amdhsa_exception_fp_ieee_overflow 0
		.amdhsa_exception_fp_ieee_underflow 0
		.amdhsa_exception_fp_ieee_inexact 0
		.amdhsa_exception_int_div_zero 0
	.end_amdhsa_kernel
	.section	.text._ZN9rocsparseL18bsrxmvn_4x4_kernelILj128ELj4E21rocsparse_complex_numIfEiiS2_S2_S2_EEvT3_20rocsparse_direction_NS_24const_host_device_scalarIT1_EES3_PKS3_PKT2_SC_S9_PKT4_PKT5_S7_PT6_21rocsparse_index_base_b,"axG",@progbits,_ZN9rocsparseL18bsrxmvn_4x4_kernelILj128ELj4E21rocsparse_complex_numIfEiiS2_S2_S2_EEvT3_20rocsparse_direction_NS_24const_host_device_scalarIT1_EES3_PKS3_PKT2_SC_S9_PKT4_PKT5_S7_PT6_21rocsparse_index_base_b,comdat
.Lfunc_end10:
	.size	_ZN9rocsparseL18bsrxmvn_4x4_kernelILj128ELj4E21rocsparse_complex_numIfEiiS2_S2_S2_EEvT3_20rocsparse_direction_NS_24const_host_device_scalarIT1_EES3_PKS3_PKT2_SC_S9_PKT4_PKT5_S7_PT6_21rocsparse_index_base_b, .Lfunc_end10-_ZN9rocsparseL18bsrxmvn_4x4_kernelILj128ELj4E21rocsparse_complex_numIfEiiS2_S2_S2_EEvT3_20rocsparse_direction_NS_24const_host_device_scalarIT1_EES3_PKS3_PKT2_SC_S9_PKT4_PKT5_S7_PT6_21rocsparse_index_base_b
                                        ; -- End function
	.section	.AMDGPU.csdata,"",@progbits
; Kernel info:
; codeLenInByte = 7060
; NumSgprs: 18
; NumVgprs: 152
; ScratchSize: 0
; MemoryBound: 0
; FloatMode: 240
; IeeeMode: 1
; LDSByteSize: 0 bytes/workgroup (compile time only)
; SGPRBlocks: 2
; VGPRBlocks: 18
; NumSGPRsForWavesPerEU: 18
; NumVGPRsForWavesPerEU: 152
; Occupancy: 9
; WaveLimiterHint : 1
; COMPUTE_PGM_RSRC2:SCRATCH_EN: 0
; COMPUTE_PGM_RSRC2:USER_SGPR: 15
; COMPUTE_PGM_RSRC2:TRAP_HANDLER: 0
; COMPUTE_PGM_RSRC2:TGID_X_EN: 1
; COMPUTE_PGM_RSRC2:TGID_Y_EN: 0
; COMPUTE_PGM_RSRC2:TGID_Z_EN: 0
; COMPUTE_PGM_RSRC2:TIDIG_COMP_CNT: 0
	.section	.text._ZN9rocsparseL18bsrxmvn_4x4_kernelILj128ELj8E21rocsparse_complex_numIfEiiS2_S2_S2_EEvT3_20rocsparse_direction_NS_24const_host_device_scalarIT1_EES3_PKS3_PKT2_SC_S9_PKT4_PKT5_S7_PT6_21rocsparse_index_base_b,"axG",@progbits,_ZN9rocsparseL18bsrxmvn_4x4_kernelILj128ELj8E21rocsparse_complex_numIfEiiS2_S2_S2_EEvT3_20rocsparse_direction_NS_24const_host_device_scalarIT1_EES3_PKS3_PKT2_SC_S9_PKT4_PKT5_S7_PT6_21rocsparse_index_base_b,comdat
	.globl	_ZN9rocsparseL18bsrxmvn_4x4_kernelILj128ELj8E21rocsparse_complex_numIfEiiS2_S2_S2_EEvT3_20rocsparse_direction_NS_24const_host_device_scalarIT1_EES3_PKS3_PKT2_SC_S9_PKT4_PKT5_S7_PT6_21rocsparse_index_base_b ; -- Begin function _ZN9rocsparseL18bsrxmvn_4x4_kernelILj128ELj8E21rocsparse_complex_numIfEiiS2_S2_S2_EEvT3_20rocsparse_direction_NS_24const_host_device_scalarIT1_EES3_PKS3_PKT2_SC_S9_PKT4_PKT5_S7_PT6_21rocsparse_index_base_b
	.p2align	8
	.type	_ZN9rocsparseL18bsrxmvn_4x4_kernelILj128ELj8E21rocsparse_complex_numIfEiiS2_S2_S2_EEvT3_20rocsparse_direction_NS_24const_host_device_scalarIT1_EES3_PKS3_PKT2_SC_S9_PKT4_PKT5_S7_PT6_21rocsparse_index_base_b,@function
_ZN9rocsparseL18bsrxmvn_4x4_kernelILj128ELj8E21rocsparse_complex_numIfEiiS2_S2_S2_EEvT3_20rocsparse_direction_NS_24const_host_device_scalarIT1_EES3_PKS3_PKT2_SC_S9_PKT4_PKT5_S7_PT6_21rocsparse_index_base_b: ; @_ZN9rocsparseL18bsrxmvn_4x4_kernelILj128ELj8E21rocsparse_complex_numIfEiiS2_S2_S2_EEvT3_20rocsparse_direction_NS_24const_host_device_scalarIT1_EES3_PKS3_PKT2_SC_S9_PKT4_PKT5_S7_PT6_21rocsparse_index_base_b
; %bb.0:
	s_clause 0x2
	s_load_b64 s[12:13], s[0:1], 0x58
	s_load_b64 s[4:5], s[0:1], 0x8
	;; [unrolled: 1-line block ×3, first 2 shown]
	s_waitcnt lgkmcnt(0)
	s_bitcmp1_b32 s13, 0
	v_mov_b32_e32 v115, s4
	s_cselect_b32 s6, -1, 0
	s_delay_alu instid0(SALU_CYCLE_1)
	s_and_b32 vcc_lo, exec_lo, s6
	s_xor_b32 s6, s6, -1
	s_cbranch_vccz .LBB11_14
; %bb.1:
	v_cndmask_b32_e64 v1, 0, 1, s6
	v_mov_b32_e32 v116, s5
	s_and_not1_b32 vcc_lo, exec_lo, s6
	s_cbranch_vccz .LBB11_15
.LBB11_2:
	s_delay_alu instid0(VALU_DEP_2)
	v_cmp_ne_u32_e32 vcc_lo, 1, v1
	v_mov_b32_e32 v113, s2
	s_cbranch_vccz .LBB11_16
.LBB11_3:
	v_cmp_ne_u32_e32 vcc_lo, 1, v1
	v_mov_b32_e32 v114, s3
	s_cbranch_vccnz .LBB11_5
.LBB11_4:
	v_dual_mov_b32 v1, s2 :: v_dual_mov_b32 v2, s3
	flat_load_b32 v114, v[1:2] offset:4
.LBB11_5:
	s_waitcnt vmcnt(0) lgkmcnt(0)
	v_cmp_eq_f32_e32 vcc_lo, 0, v115
	v_cmp_eq_f32_e64 s2, 0, v116
	s_delay_alu instid0(VALU_DEP_1)
	s_and_b32 s4, vcc_lo, s2
	s_mov_b32 s2, -1
	s_and_saveexec_b32 s3, s4
; %bb.6:
	v_cmp_neq_f32_e32 vcc_lo, 1.0, v113
	v_cmp_neq_f32_e64 s2, 0, v114
	s_delay_alu instid0(VALU_DEP_1) | instskip(NEXT) | instid1(SALU_CYCLE_1)
	s_or_b32 s2, vcc_lo, s2
	s_or_not1_b32 s2, s2, exec_lo
; %bb.7:
	s_or_b32 exec_lo, exec_lo, s3
	s_and_saveexec_b32 s3, s2
	s_cbranch_execz .LBB11_13
; %bb.8:
	s_clause 0x1
	s_load_b64 s[4:5], s[0:1], 0x18
	s_load_b64 s[2:3], s[0:1], 0x0
	v_lshrrev_b32_e32 v1, 3, v0
	s_delay_alu instid0(VALU_DEP_1)
	v_lshl_or_b32 v104, s15, 4, v1
	s_waitcnt lgkmcnt(0)
	s_cmp_lg_u64 s[4:5], 0
	s_cbranch_scc0 .LBB11_17
; %bb.9:
	s_load_b32 s6, s[0:1], 0x10
	s_mov_b32 s7, 0
                                        ; implicit-def: $vgpr1
	s_waitcnt lgkmcnt(0)
	v_cmp_gt_i32_e32 vcc_lo, s6, v104
	s_mov_b32 s6, 0
	s_and_saveexec_b32 s8, vcc_lo
	s_delay_alu instid0(SALU_CYCLE_1)
	s_xor_b32 s8, exec_lo, s8
	s_cbranch_execz .LBB11_11
; %bb.10:
	v_ashrrev_i32_e32 v105, 31, v104
	s_mov_b32 s6, exec_lo
	s_delay_alu instid0(VALU_DEP_1) | instskip(NEXT) | instid1(VALU_DEP_1)
	v_lshlrev_b64 v[1:2], 2, v[104:105]
	v_add_co_u32 v1, vcc_lo, s4, v1
	s_delay_alu instid0(VALU_DEP_2)
	v_add_co_ci_u32_e32 v2, vcc_lo, s5, v2, vcc_lo
	global_load_b32 v1, v[1:2], off
	s_waitcnt vmcnt(0)
	v_subrev_nc_u32_e32 v1, s12, v1
.LBB11_11:
	s_or_b32 exec_lo, exec_lo, s8
	s_delay_alu instid0(SALU_CYCLE_1)
	s_and_b32 vcc_lo, exec_lo, s7
	s_cbranch_vccz .LBB11_18
.LBB11_12:
	v_cmp_gt_i32_e32 vcc_lo, s2, v104
	s_and_not1_b32 s2, s6, exec_lo
	s_and_b32 s4, vcc_lo, exec_lo
	s_delay_alu instid0(SALU_CYCLE_1) | instskip(NEXT) | instid1(SALU_CYCLE_1)
	s_or_b32 s6, s2, s4
	s_and_b32 exec_lo, exec_lo, s6
	s_cbranch_execnz .LBB11_19
.LBB11_13:
	s_nop 0
	s_sendmsg sendmsg(MSG_DEALLOC_VGPRS)
	s_endpgm
.LBB11_14:
	v_dual_mov_b32 v1, s4 :: v_dual_mov_b32 v2, s5
	flat_load_b32 v115, v[1:2]
	v_cndmask_b32_e64 v1, 0, 1, s6
	v_mov_b32_e32 v116, s5
	s_and_not1_b32 vcc_lo, exec_lo, s6
	s_cbranch_vccnz .LBB11_2
.LBB11_15:
	v_dual_mov_b32 v2, s4 :: v_dual_mov_b32 v3, s5
	flat_load_b32 v116, v[2:3] offset:4
	v_cmp_ne_u32_e32 vcc_lo, 1, v1
	v_mov_b32_e32 v113, s2
	s_cbranch_vccnz .LBB11_3
.LBB11_16:
	v_dual_mov_b32 v2, s2 :: v_dual_mov_b32 v3, s3
	flat_load_b32 v113, v[2:3]
	v_cmp_ne_u32_e32 vcc_lo, 1, v1
	v_mov_b32_e32 v114, s3
	s_cbranch_vccz .LBB11_4
	s_branch .LBB11_5
.LBB11_17:
	s_mov_b32 s6, 0
                                        ; implicit-def: $vgpr1
	s_cbranch_execnz .LBB11_12
.LBB11_18:
	s_delay_alu instid0(VALU_DEP_1)
	v_mov_b32_e32 v104, v1
	s_and_b32 exec_lo, exec_lo, s6
	s_cbranch_execz .LBB11_13
.LBB11_19:
	s_load_b256 s[4:11], s[0:1], 0x20
	s_delay_alu instid0(VALU_DEP_1) | instskip(SKIP_1) | instid1(VALU_DEP_2)
	v_ashrrev_i32_e32 v105, 31, v104
	v_and_b32_e32 v117, 7, v0
	v_lshlrev_b64 v[1:2], 2, v[104:105]
	s_waitcnt lgkmcnt(0)
	s_delay_alu instid0(VALU_DEP_1) | instskip(NEXT) | instid1(VALU_DEP_2)
	v_add_co_u32 v3, vcc_lo, s4, v1
	v_add_co_ci_u32_e32 v4, vcc_lo, s5, v2, vcc_lo
	v_add_co_u32 v1, vcc_lo, s6, v1
	v_add_co_ci_u32_e32 v2, vcc_lo, s7, v2, vcc_lo
	global_load_b32 v127, v[3:4], off
	v_add_co_u32 v3, vcc_lo, v3, 4
	v_add_co_ci_u32_e32 v4, vcc_lo, 0, v4, vcc_lo
	s_cmp_eq_u64 s[6:7], 0
	s_load_b64 s[4:5], s[0:1], 0x40
	s_cselect_b32 vcc_lo, -1, 0
	s_cmp_eq_u32 s3, 1
	v_dual_cndmask_b32 v2, v2, v4 :: v_dual_cndmask_b32 v1, v1, v3
	global_load_b32 v2, v[1:2], off
	s_waitcnt vmcnt(1)
	v_subrev_nc_u32_e32 v0, s12, v127
	s_delay_alu instid0(VALU_DEP_1) | instskip(NEXT) | instid1(VALU_DEP_1)
	v_add_nc_u32_e32 v105, v0, v117
	v_ashrrev_i32_e32 v106, 31, v105
	s_waitcnt vmcnt(0)
	v_subrev_nc_u32_e32 v122, s12, v2
	s_delay_alu instid0(VALU_DEP_2) | instskip(NEXT) | instid1(VALU_DEP_2)
	v_lshlrev_b64 v[0:1], 7, v[105:106]
	v_cmp_lt_i32_e64 s2, v105, v122
	s_delay_alu instid0(VALU_DEP_2) | instskip(NEXT) | instid1(VALU_DEP_3)
	v_add_co_u32 v107, vcc_lo, s10, v0
	v_add_co_ci_u32_e32 v108, vcc_lo, s11, v1, vcc_lo
	s_cbranch_scc1 .LBB11_31
; %bb.20:
	v_dual_mov_b32 v118, 0 :: v_dual_mov_b32 v125, 0
	v_dual_mov_b32 v123, 0 :: v_dual_mov_b32 v120, 0
	v_dual_mov_b32 v124, 0 :: v_dual_mov_b32 v121, 0
	v_dual_mov_b32 v126, 0 :: v_dual_mov_b32 v119, 0
	s_mov_b32 s3, 0
	s_and_saveexec_b32 s6, s2
	s_cbranch_execz .LBB11_30
; %bb.21:
	v_dual_mov_b32 v119, 0 :: v_dual_add_nc_u32 v0, v127, v117
	v_not_b32_e32 v1, v127
	v_dual_mov_b32 v120, 0 :: v_dual_mov_b32 v123, 0
	s_delay_alu instid0(VALU_DEP_3) | instskip(SKIP_2) | instid1(VALU_DEP_3)
	v_subrev_nc_u32_e32 v0, s12, v0
	v_dual_mov_b32 v125, 0 :: v_dual_mov_b32 v118, 0
	v_dual_mov_b32 v110, v108 :: v_dual_mov_b32 v109, v107
	v_dual_mov_b32 v121, 0 :: v_dual_add_nc_u32 v0, 8, v0
	v_mov_b32_e32 v111, v105
	s_mov_b32 s10, 0
	s_mov_b32 s7, exec_lo
	s_delay_alu instid0(VALU_DEP_2) | instskip(SKIP_1) | instid1(VALU_DEP_2)
	v_max_i32_e32 v0, v0, v122
	v_mov_b32_e32 v126, 0
	v_add3_u32 v0, v0, s12, v1
	s_delay_alu instid0(VALU_DEP_1) | instskip(NEXT) | instid1(VALU_DEP_1)
	v_sub_nc_u32_e32 v0, v0, v117
	v_lshrrev_b32_e32 v1, 3, v0
	s_delay_alu instid0(VALU_DEP_1) | instskip(NEXT) | instid1(VALU_DEP_1)
	v_dual_mov_b32 v124, 0 :: v_dual_add_nc_u32 v1, 1, v1
	v_and_b32_e32 v1, 3, v1
	s_delay_alu instid0(VALU_DEP_1)
	v_cmpx_ne_u32_e32 0, v1
	s_cbranch_execz .LBB11_25
; %bb.22:
	v_dual_mov_b32 v111, v105 :: v_dual_mov_b32 v110, v108
	v_dual_mov_b32 v118, 0 :: v_dual_lshlrev_b32 v1, 7, v1
	v_dual_mov_b32 v109, v107 :: v_dual_mov_b32 v120, 0
	v_dual_mov_b32 v125, 0 :: v_dual_mov_b32 v124, 0
	;; [unrolled: 1-line block ×3, first 2 shown]
	v_mov_b32_e32 v121, 0
	v_mov_b32_e32 v119, 0
.LBB11_23:                              ; =>This Inner Loop Header: Depth=1
	v_ashrrev_i32_e32 v112, 31, v111
	s_delay_alu instid0(VALU_DEP_1) | instskip(NEXT) | instid1(VALU_DEP_1)
	v_lshlrev_b64 v[2:3], 2, v[111:112]
	v_add_co_u32 v2, vcc_lo, s8, v2
	s_delay_alu instid0(VALU_DEP_2)
	v_add_co_ci_u32_e32 v3, vcc_lo, s9, v3, vcc_lo
	global_load_b32 v34, v[2:3], off
	s_clause 0x7
	global_load_b128 v[2:5], v[109:110], off offset:48
	global_load_b128 v[6:9], v[109:110], off offset:32
	;; [unrolled: 1-line block ×3, first 2 shown]
	global_load_b128 v[14:17], v[109:110], off
	global_load_b128 v[18:21], v[109:110], off offset:112
	global_load_b128 v[22:25], v[109:110], off offset:96
	;; [unrolled: 1-line block ×4, first 2 shown]
	s_waitcnt vmcnt(8)
	v_subrev_nc_u32_e32 v34, s12, v34
	s_delay_alu instid0(VALU_DEP_1) | instskip(NEXT) | instid1(VALU_DEP_1)
	v_lshlrev_b32_e32 v34, 2, v34
	v_ashrrev_i32_e32 v35, 31, v34
	s_delay_alu instid0(VALU_DEP_1) | instskip(SKIP_1) | instid1(VALU_DEP_1)
	v_lshlrev_b64 v[34:35], 3, v[34:35]
	s_waitcnt lgkmcnt(0)
	v_add_co_u32 v38, vcc_lo, s4, v34
	s_delay_alu instid0(VALU_DEP_2)
	v_add_co_ci_u32_e32 v39, vcc_lo, s5, v35, vcc_lo
	v_add_co_u32 v109, vcc_lo, 0x400, v109
	v_add_co_ci_u32_e32 v110, vcc_lo, 0, v110, vcc_lo
	s_clause 0x1
	global_load_b128 v[34:37], v[38:39], off
	global_load_b128 v[38:41], v[38:39], off offset:16
	v_add_nc_u32_e32 v1, 0xffffff80, v1
	s_waitcnt vmcnt(1)
	v_dual_fmac_f32 v126, v6, v34 :: v_dual_add_nc_u32 v111, 8, v111
	v_fmac_f32_e32 v118, v15, v34
	v_fmac_f32_e32 v119, v7, v34
	;; [unrolled: 1-line block ×4, first 2 shown]
	v_fma_f32 v7, -v7, v35, v126
	v_fmac_f32_e32 v118, v14, v35
	v_fmac_f32_e32 v125, v14, v34
	;; [unrolled: 1-line block ×4, first 2 shown]
	s_delay_alu instid0(VALU_DEP_4) | instskip(NEXT) | instid1(VALU_DEP_4)
	v_dual_fmac_f32 v121, v30, v35 :: v_dual_fmac_f32 v118, v17, v36
	v_fma_f32 v15, -v15, v35, v125
	s_delay_alu instid0(VALU_DEP_4) | instskip(SKIP_1) | instid1(VALU_DEP_4)
	v_dual_fmac_f32 v124, v30, v34 :: v_dual_fmac_f32 v119, v9, v36
	v_cmp_eq_u32_e32 vcc_lo, 0, v1
	v_fmac_f32_e32 v118, v16, v37
	s_delay_alu instid0(VALU_DEP_4) | instskip(NEXT) | instid1(VALU_DEP_4)
	v_fmac_f32_e32 v15, v16, v36
	v_fma_f32 v6, -v31, v35, v124
	v_fmac_f32_e32 v123, v22, v34
	s_waitcnt vmcnt(0)
	v_dual_fmac_f32 v7, v8, v36 :: v_dual_fmac_f32 v118, v11, v38
	v_dual_fmac_f32 v120, v25, v36 :: v_dual_fmac_f32 v119, v8, v37
	v_fmac_f32_e32 v6, v32, v36
	v_fma_f32 v14, -v23, v35, v123
	s_delay_alu instid0(VALU_DEP_3) | instskip(SKIP_2) | instid1(VALU_DEP_4)
	v_dual_fmac_f32 v121, v33, v36 :: v_dual_fmac_f32 v120, v24, v37
	v_fma_f32 v15, -v17, v37, v15
	v_fma_f32 v7, -v9, v37, v7
	v_fmac_f32_e32 v14, v24, v36
	v_fma_f32 v6, -v33, v37, v6
	v_fmac_f32_e32 v121, v32, v37
	v_fmac_f32_e32 v15, v10, v38
	v_dual_fmac_f32 v119, v3, v38 :: v_dual_fmac_f32 v118, v10, v39
	v_fma_f32 v8, -v25, v37, v14
	v_fmac_f32_e32 v7, v2, v38
	v_fmac_f32_e32 v6, v26, v38
	s_delay_alu instid0(VALU_DEP_4)
	v_dual_fmac_f32 v120, v19, v38 :: v_dual_fmac_f32 v119, v2, v39
	v_fmac_f32_e32 v121, v27, v38
	v_fma_f32 v9, -v11, v39, v15
	v_fmac_f32_e32 v8, v18, v38
	v_fma_f32 v2, -v27, v39, v6
	v_fmac_f32_e32 v120, v18, v39
	v_fmac_f32_e32 v121, v26, v39
	v_fmac_f32_e32 v9, v12, v40
	v_fma_f32 v6, -v19, v39, v8
	v_fmac_f32_e32 v2, v28, v40
	v_fmac_f32_e32 v118, v13, v40
	v_fma_f32 v3, -v3, v39, v7
	v_fmac_f32_e32 v119, v5, v40
	v_fmac_f32_e32 v6, v20, v40
	;; [unrolled: 3-line block ×3, first 2 shown]
	v_dual_fmac_f32 v120, v21, v40 :: v_dual_fmac_f32 v119, v4, v41
	v_fmac_f32_e32 v121, v29, v40
	v_fma_f32 v124, -v29, v41, v2
	s_delay_alu instid0(VALU_DEP_4) | instskip(NEXT) | instid1(VALU_DEP_4)
	v_fma_f32 v126, -v5, v41, v3
	v_fmac_f32_e32 v120, v20, v41
	v_fma_f32 v123, -v21, v41, v6
	v_fmac_f32_e32 v121, v28, v41
	s_or_b32 s10, vcc_lo, s10
	s_delay_alu instid0(SALU_CYCLE_1)
	s_and_not1_b32 exec_lo, exec_lo, s10
	s_cbranch_execnz .LBB11_23
; %bb.24:
	s_or_b32 exec_lo, exec_lo, s10
.LBB11_25:
	s_delay_alu instid0(SALU_CYCLE_1) | instskip(NEXT) | instid1(SALU_CYCLE_1)
	s_or_b32 exec_lo, exec_lo, s7
	s_mov_b32 s7, exec_lo
	v_cmpx_lt_u32_e32 23, v0
	s_cbranch_execz .LBB11_29
; %bb.26:
	s_mov_b32 s10, 0
.LBB11_27:                              ; =>This Inner Loop Header: Depth=1
	v_ashrrev_i32_e32 v112, 31, v111
	s_clause 0x1c
	global_load_b128 v[0:3], v[109:110], off offset:48
	global_load_b128 v[72:75], v[109:110], off offset:32
	;; [unrolled: 1-line block ×3, first 2 shown]
	global_load_b128 v[80:83], v[109:110], off
	global_load_b128 v[12:15], v[109:110], off offset:112
	global_load_b128 v[32:35], v[109:110], off offset:96
	;; [unrolled: 1-line block ×25, first 2 shown]
	v_lshlrev_b64 v[140:141], 2, v[111:112]
	s_delay_alu instid0(VALU_DEP_1) | instskip(NEXT) | instid1(VALU_DEP_2)
	v_add_co_u32 v140, vcc_lo, s8, v140
	v_add_co_ci_u32_e32 v141, vcc_lo, s9, v141, vcc_lo
	s_clause 0x3
	global_load_b32 v106, v[140:141], off
	global_load_b32 v112, v[140:141], off offset:32
	global_load_b32 v148, v[140:141], off offset:64
	;; [unrolled: 1-line block ×3, first 2 shown]
	s_waitcnt vmcnt(3)
	v_subrev_nc_u32_e32 v106, s12, v106
	s_waitcnt vmcnt(2)
	v_subrev_nc_u32_e32 v112, s12, v112
	s_delay_alu instid0(VALU_DEP_2) | instskip(NEXT) | instid1(VALU_DEP_1)
	v_lshlrev_b32_e32 v140, 2, v106
	v_ashrrev_i32_e32 v141, 31, v140
	s_delay_alu instid0(VALU_DEP_1) | instskip(SKIP_1) | instid1(VALU_DEP_1)
	v_lshlrev_b64 v[140:141], 3, v[140:141]
	s_waitcnt lgkmcnt(0)
	v_add_co_u32 v144, vcc_lo, s4, v140
	s_delay_alu instid0(VALU_DEP_2)
	v_add_co_ci_u32_e32 v145, vcc_lo, s5, v141, vcc_lo
	s_clause 0x1
	global_load_b128 v[140:143], v[144:145], off
	global_load_b128 v[144:147], v[144:145], off offset:16
	s_waitcnt vmcnt(1)
	v_fmac_f32_e32 v118, v81, v140
	v_fmac_f32_e32 v120, v33, v140
	;; [unrolled: 1-line block ×7, first 2 shown]
	v_fma_f32 v73, -v73, v141, v126
	s_delay_alu instid0(VALU_DEP_3) | instskip(NEXT) | instid1(VALU_DEP_3)
	v_dual_fmac_f32 v119, v72, v141 :: v_dual_fmac_f32 v118, v83, v142
	v_fma_f32 v81, -v81, v141, v125
	v_subrev_nc_u32_e32 v125, s12, v149
	s_delay_alu instid0(VALU_DEP_3) | instskip(SKIP_3) | instid1(VALU_DEP_4)
	v_fmac_f32_e32 v119, v75, v142
	v_fmac_f32_e32 v73, v74, v142
	v_fmac_f32_e32 v118, v82, v143
	v_fmac_f32_e32 v81, v82, v142
	v_fmac_f32_e32 v119, v74, v143
	s_delay_alu instid0(VALU_DEP_4)
	v_fma_f32 v150, -v75, v143, v73
	s_waitcnt vmcnt(0)
	v_fmac_f32_e32 v118, v5, v144
	v_fma_f32 v106, -v83, v143, v81
	s_clause 0x1
	global_load_b128 v[80:83], v[109:110], off offset:3168
	global_load_b128 v[72:75], v[109:110], off offset:3136
	v_fmac_f32_e32 v150, v0, v144
	v_dual_fmac_f32 v118, v4, v145 :: v_dual_fmac_f32 v119, v1, v144
	v_fmac_f32_e32 v123, v32, v140
	v_fmac_f32_e32 v106, v4, v144
	s_delay_alu instid0(VALU_DEP_4) | instskip(NEXT) | instid1(VALU_DEP_4)
	v_fma_f32 v1, -v1, v145, v150
	v_dual_fmac_f32 v118, v7, v146 :: v_dual_fmac_f32 v119, v0, v145
	s_delay_alu instid0(VALU_DEP_4) | instskip(SKIP_2) | instid1(VALU_DEP_4)
	v_fma_f32 v33, -v33, v141, v123
	v_lshlrev_b32_e32 v123, 2, v125
	v_fma_f32 v5, -v5, v145, v106
	v_fmac_f32_e32 v118, v6, v147
	v_fmac_f32_e32 v1, v2, v146
	;; [unrolled: 1-line block ×3, first 2 shown]
	v_dual_fmac_f32 v121, v89, v140 :: v_dual_fmac_f32 v120, v32, v141
	v_fma_f32 v89, -v89, v141, v124
	v_subrev_nc_u32_e32 v124, s12, v148
	s_delay_alu instid0(VALU_DEP_3) | instskip(NEXT) | instid1(VALU_DEP_4)
	v_dual_fmac_f32 v121, v88, v141 :: v_dual_lshlrev_b32 v32, 2, v112
	v_fmac_f32_e32 v120, v35, v142
	s_delay_alu instid0(VALU_DEP_4) | instskip(SKIP_1) | instid1(VALU_DEP_4)
	v_fmac_f32_e32 v89, v90, v142
	v_fma_f32 v148, -v35, v143, v33
	v_ashrrev_i32_e32 v33, 31, v32
	s_delay_alu instid0(VALU_DEP_4) | instskip(SKIP_1) | instid1(VALU_DEP_3)
	v_dual_fmac_f32 v121, v91, v142 :: v_dual_fmac_f32 v120, v34, v143
	v_dual_fmac_f32 v5, v6, v146 :: v_dual_lshlrev_b32 v34, 2, v124
	v_lshlrev_b64 v[32:33], 3, v[32:33]
	s_delay_alu instid0(VALU_DEP_3) | instskip(SKIP_1) | instid1(VALU_DEP_4)
	v_fmac_f32_e32 v121, v90, v143
	v_ashrrev_i32_e32 v124, 31, v123
	v_ashrrev_i32_e32 v35, 31, v34
	v_fma_f32 v106, -v7, v147, v5
	v_dual_fmac_f32 v119, v3, v146 :: v_dual_fmac_f32 v148, v12, v144
	v_add_co_u32 v125, vcc_lo, s4, v32
	s_delay_alu instid0(VALU_DEP_4)
	v_lshlrev_b64 v[34:35], 3, v[34:35]
	v_add_co_ci_u32_e32 v126, vcc_lo, s5, v33, vcc_lo
	v_lshlrev_b64 v[123:124], 3, v[123:124]
	v_fma_f32 v151, -v91, v143, v89
	global_load_b128 v[88:91], v[109:110], off offset:3152
	v_add_co_u32 v140, vcc_lo, s4, v34
	v_add_co_ci_u32_e32 v141, vcc_lo, s5, v35, vcc_lo
	s_clause 0x1
	global_load_b128 v[32:35], v[125:126], off
	global_load_b128 v[4:7], v[125:126], off offset:16
	v_add_co_u32 v142, vcc_lo, s4, v123
	v_add_co_ci_u32_e32 v143, vcc_lo, s5, v124, vcc_lo
	v_fma_f32 v112, -v3, v147, v1
	v_dual_fmac_f32 v119, v2, v147 :: v_dual_fmac_f32 v120, v13, v144
	s_clause 0x1
	global_load_b128 v[0:3], v[140:141], off
	global_load_b128 v[123:126], v[140:141], off offset:16
	v_fmac_f32_e32 v121, v21, v144
	v_fma_f32 v13, -v13, v145, v148
	v_add_co_u32 v109, vcc_lo, 0x1000, v109
	v_fmac_f32_e32 v120, v12, v145
	v_fmac_f32_e32 v151, v20, v144
	v_add_co_ci_u32_e32 v110, vcc_lo, 0, v110, vcc_lo
	s_delay_alu instid0(VALU_DEP_3) | instskip(NEXT) | instid1(VALU_DEP_3)
	v_fmac_f32_e32 v120, v15, v146
	v_fma_f32 v21, -v21, v145, v151
	s_delay_alu instid0(VALU_DEP_2) | instskip(NEXT) | instid1(VALU_DEP_2)
	v_dual_fmac_f32 v121, v20, v145 :: v_dual_fmac_f32 v120, v14, v147
	v_fmac_f32_e32 v21, v22, v146
	s_delay_alu instid0(VALU_DEP_2) | instskip(SKIP_1) | instid1(VALU_DEP_3)
	v_fmac_f32_e32 v121, v23, v146
	s_waitcnt vmcnt(3)
	v_dual_fmac_f32 v120, v53, v32 :: v_dual_add_nc_u32 v111, 32, v111
	v_fmac_f32_e32 v106, v28, v32
	v_fma_f32 v140, -v23, v147, v21
	v_dual_fmac_f32 v118, v29, v32 :: v_dual_fmac_f32 v121, v22, v147
	v_fmac_f32_e32 v112, v24, v32
	global_load_b128 v[20:23], v[142:143], off
	v_dual_fmac_f32 v13, v14, v146 :: v_dual_fmac_f32 v140, v60, v32
	v_dual_fmac_f32 v119, v25, v32 :: v_dual_fmac_f32 v118, v28, v33
	;; [unrolled: 1-line block ×3, first 2 shown]
	s_delay_alu instid0(VALU_DEP_3)
	v_fma_f32 v141, -v15, v147, v13
	global_load_b128 v[12:15], v[142:143], off offset:16
	v_fma_f32 v29, -v29, v33, v106
	v_fmac_f32_e32 v119, v24, v33
	v_fma_f32 v24, -v61, v33, v140
	v_dual_fmac_f32 v141, v52, v32 :: v_dual_fmac_f32 v118, v31, v34
	v_fma_f32 v25, -v25, v33, v112
	v_cmp_ge_i32_e32 vcc_lo, v111, v122
	s_delay_alu instid0(VALU_DEP_4) | instskip(NEXT) | instid1(VALU_DEP_4)
	v_fmac_f32_e32 v24, v62, v34
	v_fma_f32 v28, -v53, v33, v141
	v_fmac_f32_e32 v121, v60, v33
	v_dual_fmac_f32 v119, v27, v34 :: v_dual_fmac_f32 v118, v30, v35
	v_fmac_f32_e32 v29, v30, v34
	s_delay_alu instid0(VALU_DEP_4) | instskip(NEXT) | instid1(VALU_DEP_3)
	v_fmac_f32_e32 v28, v54, v34
	v_dual_fmac_f32 v120, v55, v34 :: v_dual_fmac_f32 v119, v26, v35
	v_fmac_f32_e32 v121, v63, v34
	v_fma_f32 v24, -v63, v35, v24
	s_waitcnt vmcnt(4)
	v_dual_fmac_f32 v25, v26, v34 :: v_dual_fmac_f32 v118, v17, v4
	v_fma_f32 v29, -v31, v35, v29
	v_fma_f32 v26, -v55, v35, v28
	v_fmac_f32_e32 v24, v44, v4
	s_delay_alu instid0(VALU_DEP_4) | instskip(SKIP_1) | instid1(VALU_DEP_4)
	v_fma_f32 v25, -v27, v35, v25
	v_fmac_f32_e32 v120, v54, v35
	v_dual_fmac_f32 v121, v62, v35 :: v_dual_fmac_f32 v26, v36, v4
	v_fmac_f32_e32 v29, v16, v4
	v_dual_fmac_f32 v119, v9, v4 :: v_dual_fmac_f32 v118, v16, v5
	v_fmac_f32_e32 v25, v8, v4
	v_fmac_f32_e32 v120, v37, v4
	v_fma_f32 v16, -v37, v5, v26
	s_delay_alu instid0(VALU_DEP_4)
	v_fmac_f32_e32 v119, v8, v5
	v_fmac_f32_e32 v121, v45, v4
	v_fma_f32 v4, -v17, v5, v29
	v_fmac_f32_e32 v120, v36, v5
	v_fma_f32 v8, -v45, v5, v24
	;; [unrolled: 2-line block ×3, first 2 shown]
	v_dual_fmac_f32 v121, v44, v5 :: v_dual_fmac_f32 v4, v18, v6
	s_delay_alu instid0(VALU_DEP_4) | instskip(NEXT) | instid1(VALU_DEP_4)
	v_fmac_f32_e32 v8, v46, v6
	v_dual_fmac_f32 v119, v11, v6 :: v_dual_fmac_f32 v118, v18, v7
	v_fmac_f32_e32 v120, v39, v6
	s_delay_alu instid0(VALU_DEP_4) | instskip(SKIP_1) | instid1(VALU_DEP_4)
	v_fma_f32 v4, -v19, v7, v4
	v_fmac_f32_e32 v9, v10, v6
	v_fmac_f32_e32 v119, v10, v7
	s_delay_alu instid0(VALU_DEP_4)
	v_dual_fmac_f32 v121, v47, v6 :: v_dual_fmac_f32 v120, v38, v7
	s_waitcnt vmcnt(3)
	v_fmac_f32_e32 v4, v64, v0
	v_fma_f32 v5, -v11, v7, v9
	v_fmac_f32_e32 v16, v38, v6
	v_fma_f32 v6, -v47, v7, v8
	v_dual_fmac_f32 v121, v46, v7 :: v_dual_fmac_f32 v118, v65, v0
	v_fmac_f32_e32 v119, v57, v0
	v_fmac_f32_e32 v5, v56, v0
	v_fma_f32 v8, -v39, v7, v16
	s_or_b32 s10, vcc_lo, s10
	v_fmac_f32_e32 v118, v64, v1
	v_dual_fmac_f32 v120, v77, v0 :: v_dual_fmac_f32 v119, v56, v1
	v_fmac_f32_e32 v6, v128, v0
	v_fmac_f32_e32 v121, v129, v0
	;; [unrolled: 1-line block ×3, first 2 shown]
	v_fma_f32 v0, -v65, v1, v4
	v_fma_f32 v4, -v57, v1, v5
	v_fmac_f32_e32 v120, v76, v1
	v_fmac_f32_e32 v121, v128, v1
	;; [unrolled: 1-line block ×4, first 2 shown]
	v_fma_f32 v5, -v129, v1, v6
	v_fmac_f32_e32 v118, v67, v2
	v_fmac_f32_e32 v4, v58, v2
	;; [unrolled: 1-line block ×6, first 2 shown]
	v_fma_f32 v6, -v77, v1, v8
	s_delay_alu instid0(VALU_DEP_4) | instskip(SKIP_2) | instid1(VALU_DEP_3)
	v_dual_fmac_f32 v120, v79, v2 :: v_dual_fmac_f32 v121, v130, v3
	v_fma_f32 v1, -v59, v3, v4
	s_waitcnt vmcnt(2)
	v_dual_fmac_f32 v119, v41, v123 :: v_dual_fmac_f32 v6, v78, v2
	v_fma_f32 v0, -v67, v3, v0
	v_fmac_f32_e32 v121, v97, v123
	v_fma_f32 v2, -v131, v3, v5
	s_delay_alu instid0(VALU_DEP_4) | instskip(SKIP_1) | instid1(VALU_DEP_4)
	v_dual_fmac_f32 v120, v78, v3 :: v_dual_fmac_f32 v119, v40, v124
	v_fma_f32 v4, -v79, v3, v6
	v_dual_fmac_f32 v118, v49, v123 :: v_dual_fmac_f32 v121, v96, v124
	v_fmac_f32_e32 v1, v40, v123
	s_delay_alu instid0(VALU_DEP_4) | instskip(NEXT) | instid1(VALU_DEP_3)
	v_dual_fmac_f32 v2, v96, v123 :: v_dual_fmac_f32 v119, v43, v125
	v_dual_fmac_f32 v4, v68, v123 :: v_dual_fmac_f32 v121, v99, v125
	s_delay_alu instid0(VALU_DEP_3) | instskip(SKIP_2) | instid1(VALU_DEP_4)
	v_fma_f32 v1, -v41, v124, v1
	v_fmac_f32_e32 v0, v48, v123
	v_fmac_f32_e32 v118, v48, v124
	v_fma_f32 v3, -v69, v124, v4
	v_fmac_f32_e32 v120, v69, v123
	v_fma_f32 v2, -v97, v124, v2
	;; [unrolled: 2-line block ×3, first 2 shown]
	s_delay_alu instid0(VALU_DEP_4) | instskip(SKIP_3) | instid1(VALU_DEP_4)
	v_dual_fmac_f32 v3, v70, v125 :: v_dual_fmac_f32 v120, v68, v124
	v_dual_fmac_f32 v119, v42, v126 :: v_dual_fmac_f32 v118, v51, v125
	v_fmac_f32_e32 v121, v98, v126
	v_fmac_f32_e32 v2, v98, v125
	;; [unrolled: 1-line block ×3, first 2 shown]
	v_fma_f32 v1, -v43, v126, v1
	v_fmac_f32_e32 v0, v50, v125
	v_fma_f32 v3, -v71, v126, v3
	s_waitcnt vmcnt(1)
	s_delay_alu instid0(VALU_DEP_1)
	v_dual_fmac_f32 v118, v50, v126 :: v_dual_fmac_f32 v3, v80, v20
	v_fmac_f32_e32 v1, v100, v20
	v_fma_f32 v0, -v51, v126, v0
	v_fmac_f32_e32 v119, v101, v20
	v_fma_f32 v2, -v99, v126, v2
	v_dual_fmac_f32 v121, v73, v20 :: v_dual_fmac_f32 v120, v70, v126
	v_fmac_f32_e32 v118, v133, v20
	v_fma_f32 v1, -v101, v21, v1
	v_fmac_f32_e32 v0, v132, v20
	v_fmac_f32_e32 v119, v100, v21
	;; [unrolled: 1-line block ×3, first 2 shown]
	v_dual_fmac_f32 v121, v72, v21 :: v_dual_fmac_f32 v120, v81, v20
	v_fma_f32 v3, -v81, v21, v3
	v_dual_fmac_f32 v118, v132, v21 :: v_dual_fmac_f32 v1, v102, v22
	v_fma_f32 v0, -v133, v21, v0
	v_fmac_f32_e32 v119, v103, v22
	s_delay_alu instid0(VALU_DEP_4) | instskip(SKIP_2) | instid1(VALU_DEP_4)
	v_fmac_f32_e32 v3, v82, v22
	v_fma_f32 v2, -v73, v21, v2
	v_dual_fmac_f32 v121, v75, v22 :: v_dual_fmac_f32 v120, v80, v21
	v_dual_fmac_f32 v119, v102, v23 :: v_dual_fmac_f32 v118, v135, v22
	s_delay_alu instid0(VALU_DEP_3)
	v_fmac_f32_e32 v2, v74, v22
	v_fma_f32 v1, -v103, v23, v1
	v_fmac_f32_e32 v0, v134, v22
	v_dual_fmac_f32 v121, v74, v23 :: v_dual_fmac_f32 v120, v83, v22
	v_fma_f32 v3, -v83, v23, v3
	s_waitcnt vmcnt(0)
	v_dual_fmac_f32 v118, v134, v23 :: v_dual_fmac_f32 v1, v84, v12
	v_fma_f32 v0, -v135, v23, v0
	v_fmac_f32_e32 v119, v85, v12
	v_fmac_f32_e32 v3, v136, v12
	v_fma_f32 v2, -v75, v23, v2
	v_dual_fmac_f32 v121, v89, v12 :: v_dual_fmac_f32 v120, v82, v23
	s_delay_alu instid0(VALU_DEP_4) | instskip(NEXT) | instid1(VALU_DEP_3)
	v_dual_fmac_f32 v119, v84, v13 :: v_dual_fmac_f32 v118, v93, v12
	v_fmac_f32_e32 v2, v88, v12
	v_fma_f32 v1, -v85, v13, v1
	v_fmac_f32_e32 v0, v92, v12
	v_dual_fmac_f32 v121, v88, v13 :: v_dual_fmac_f32 v120, v137, v12
	v_fma_f32 v3, -v137, v13, v3
	s_delay_alu instid0(VALU_DEP_4) | instskip(NEXT) | instid1(VALU_DEP_4)
	v_dual_fmac_f32 v118, v92, v13 :: v_dual_fmac_f32 v1, v86, v14
	v_fma_f32 v0, -v93, v13, v0
	v_fmac_f32_e32 v119, v87, v14
	s_delay_alu instid0(VALU_DEP_4) | instskip(SKIP_2) | instid1(VALU_DEP_4)
	v_fmac_f32_e32 v3, v138, v14
	v_fma_f32 v2, -v89, v13, v2
	v_dual_fmac_f32 v121, v91, v14 :: v_dual_fmac_f32 v120, v136, v13
	v_fmac_f32_e32 v119, v86, v15
	v_fmac_f32_e32 v0, v94, v14
	s_delay_alu instid0(VALU_DEP_3) | instskip(SKIP_2) | instid1(VALU_DEP_4)
	v_dual_fmac_f32 v118, v95, v14 :: v_dual_fmac_f32 v121, v90, v15
	v_fmac_f32_e32 v2, v90, v14
	v_fmac_f32_e32 v120, v139, v14
	v_fma_f32 v125, -v95, v15, v0
	s_delay_alu instid0(VALU_DEP_4)
	v_fmac_f32_e32 v118, v94, v15
	v_fma_f32 v126, -v87, v15, v1
	v_fma_f32 v124, -v91, v15, v2
	;; [unrolled: 1-line block ×3, first 2 shown]
	v_fmac_f32_e32 v120, v138, v15
	s_and_not1_b32 exec_lo, exec_lo, s10
	s_cbranch_execnz .LBB11_27
; %bb.28:
	s_or_b32 exec_lo, exec_lo, s10
.LBB11_29:
	s_delay_alu instid0(SALU_CYCLE_1)
	s_or_b32 exec_lo, exec_lo, s7
.LBB11_30:
	s_delay_alu instid0(SALU_CYCLE_1) | instskip(NEXT) | instid1(SALU_CYCLE_1)
	s_or_b32 exec_lo, exec_lo, s6
	s_and_not1_b32 vcc_lo, exec_lo, s3
	s_cbranch_vccz .LBB11_32
	s_branch .LBB11_43
.LBB11_31:
                                        ; implicit-def: $vgpr118
                                        ; implicit-def: $vgpr125
                                        ; implicit-def: $vgpr123
                                        ; implicit-def: $vgpr120
                                        ; implicit-def: $vgpr124
                                        ; implicit-def: $vgpr121
                                        ; implicit-def: $vgpr126
                                        ; implicit-def: $vgpr119
.LBB11_32:
	v_dual_mov_b32 v118, 0 :: v_dual_mov_b32 v125, 0
	v_dual_mov_b32 v123, 0 :: v_dual_mov_b32 v120, 0
	;; [unrolled: 1-line block ×4, first 2 shown]
	s_and_saveexec_b32 s3, s2
	s_cbranch_execz .LBB11_42
; %bb.33:
	v_dual_mov_b32 v119, 0 :: v_dual_add_nc_u32 v0, v127, v117
	v_not_b32_e32 v1, v127
	v_dual_mov_b32 v120, 0 :: v_dual_mov_b32 v123, 0
	s_delay_alu instid0(VALU_DEP_3) | instskip(SKIP_3) | instid1(VALU_DEP_2)
	v_subrev_nc_u32_e32 v0, s12, v0
	v_dual_mov_b32 v125, 0 :: v_dual_mov_b32 v118, 0
	s_mov_b32 s6, 0
	s_mov_b32 s2, exec_lo
	v_dual_mov_b32 v121, 0 :: v_dual_add_nc_u32 v0, 8, v0
	v_mov_b32_e32 v126, 0
	v_mov_b32_e32 v124, 0
	s_delay_alu instid0(VALU_DEP_3) | instskip(NEXT) | instid1(VALU_DEP_1)
	v_max_i32_e32 v0, v0, v122
	v_add3_u32 v0, v0, s12, v1
	s_delay_alu instid0(VALU_DEP_1) | instskip(NEXT) | instid1(VALU_DEP_1)
	v_sub_nc_u32_e32 v0, v0, v117
	v_lshrrev_b32_e32 v1, 3, v0
	s_delay_alu instid0(VALU_DEP_1) | instskip(NEXT) | instid1(VALU_DEP_1)
	v_add_nc_u32_e32 v1, 1, v1
	v_and_b32_e32 v1, 3, v1
	s_delay_alu instid0(VALU_DEP_1)
	v_cmpx_ne_u32_e32 0, v1
	s_cbranch_execz .LBB11_37
; %bb.34:
	v_dual_mov_b32 v118, 0 :: v_dual_lshlrev_b32 v1, 7, v1
	v_dual_mov_b32 v125, 0 :: v_dual_mov_b32 v120, 0
	v_dual_mov_b32 v123, 0 :: v_dual_mov_b32 v124, 0
	;; [unrolled: 1-line block ×3, first 2 shown]
	v_mov_b32_e32 v119, 0
.LBB11_35:                              ; =>This Inner Loop Header: Depth=1
	v_ashrrev_i32_e32 v106, 31, v105
	s_delay_alu instid0(VALU_DEP_1) | instskip(NEXT) | instid1(VALU_DEP_1)
	v_lshlrev_b64 v[2:3], 2, v[105:106]
	v_add_co_u32 v2, vcc_lo, s8, v2
	s_delay_alu instid0(VALU_DEP_2)
	v_add_co_ci_u32_e32 v3, vcc_lo, s9, v3, vcc_lo
	global_load_b32 v14, v[2:3], off
	s_clause 0x2
	global_load_b128 v[2:5], v[107:108], off offset:32
	global_load_b128 v[6:9], v[107:108], off offset:16
	global_load_b128 v[10:13], v[107:108], off
	s_waitcnt vmcnt(3)
	v_subrev_nc_u32_e32 v14, s12, v14
	s_delay_alu instid0(VALU_DEP_1) | instskip(NEXT) | instid1(VALU_DEP_1)
	v_lshlrev_b32_e32 v14, 2, v14
	v_ashrrev_i32_e32 v15, 31, v14
	s_delay_alu instid0(VALU_DEP_1) | instskip(SKIP_1) | instid1(VALU_DEP_1)
	v_lshlrev_b64 v[14:15], 3, v[14:15]
	s_waitcnt lgkmcnt(0)
	v_add_co_u32 v18, vcc_lo, s4, v14
	s_delay_alu instid0(VALU_DEP_2)
	v_add_co_ci_u32_e32 v19, vcc_lo, s5, v15, vcc_lo
	s_clause 0x1
	global_load_b128 v[14:17], v[18:19], off
	global_load_b128 v[18:21], v[18:19], off offset:16
	s_clause 0x4
	global_load_b128 v[22:25], v[107:108], off offset:48
	global_load_b128 v[26:29], v[107:108], off offset:64
	;; [unrolled: 1-line block ×5, first 2 shown]
	v_add_nc_u32_e32 v1, 0xffffff80, v1
	v_add_nc_u32_e32 v105, 8, v105
	v_add_co_u32 v107, vcc_lo, 0x400, v107
	v_add_co_ci_u32_e32 v108, vcc_lo, 0, v108, vcc_lo
	s_waitcnt vmcnt(6)
	v_fmac_f32_e32 v126, v12, v14
	v_fmac_f32_e32 v118, v11, v14
	;; [unrolled: 1-line block ×5, first 2 shown]
	v_cmp_eq_u32_e32 vcc_lo, 0, v1
	v_dual_fmac_f32 v118, v10, v15 :: v_dual_fmac_f32 v123, v8, v14
	v_fma_f32 v10, -v13, v15, v126
	v_fmac_f32_e32 v121, v7, v14
	v_dual_fmac_f32 v119, v12, v15 :: v_dual_fmac_f32 v124, v6, v14
	s_delay_alu instid0(VALU_DEP_4) | instskip(NEXT) | instid1(VALU_DEP_3)
	v_fmac_f32_e32 v118, v3, v16
	v_dual_fmac_f32 v10, v4, v16 :: v_dual_fmac_f32 v121, v6, v15
	s_delay_alu instid0(VALU_DEP_3) | instskip(NEXT) | instid1(VALU_DEP_4)
	v_fmac_f32_e32 v119, v5, v16
	v_fma_f32 v7, -v7, v15, v124
	v_fma_f32 v6, -v9, v15, v123
	v_fmac_f32_e32 v120, v8, v15
	v_fma_f32 v11, -v11, v15, v125
	s_waitcnt vmcnt(4)
	v_dual_fmac_f32 v121, v23, v16 :: v_dual_fmac_f32 v118, v2, v17
	v_fmac_f32_e32 v7, v22, v16
	v_fmac_f32_e32 v6, v24, v16
	v_dual_fmac_f32 v120, v25, v16 :: v_dual_fmac_f32 v119, v4, v17
	v_fmac_f32_e32 v11, v2, v16
	v_fma_f32 v2, -v5, v17, v10
	v_fmac_f32_e32 v121, v22, v17
	s_delay_alu instid0(VALU_DEP_4)
	v_fmac_f32_e32 v120, v24, v17
	v_fma_f32 v5, -v25, v17, v6
	v_fma_f32 v3, -v3, v17, v11
	s_waitcnt vmcnt(3)
	v_fmac_f32_e32 v118, v27, v18
	v_fma_f32 v4, -v23, v17, v7
	v_fmac_f32_e32 v119, v29, v18
	s_waitcnt vmcnt(2)
	v_fmac_f32_e32 v121, v31, v18
	v_fmac_f32_e32 v2, v28, v18
	;; [unrolled: 1-line block ×5, first 2 shown]
	v_dual_fmac_f32 v4, v30, v18 :: v_dual_fmac_f32 v119, v28, v19
	v_fmac_f32_e32 v5, v32, v18
	s_waitcnt vmcnt(1)
	s_delay_alu instid0(VALU_DEP_3)
	v_dual_fmac_f32 v121, v30, v19 :: v_dual_fmac_f32 v118, v35, v20
	v_fma_f32 v2, -v29, v19, v2
	v_fma_f32 v4, -v31, v19, v4
	;; [unrolled: 1-line block ×3, first 2 shown]
	v_fmac_f32_e32 v120, v32, v19
	v_fma_f32 v3, -v27, v19, v3
	v_fmac_f32_e32 v2, v36, v20
	v_dual_fmac_f32 v119, v37, v20 :: v_dual_fmac_f32 v118, v34, v21
	s_waitcnt vmcnt(0)
	v_fmac_f32_e32 v4, v38, v20
	v_fmac_f32_e32 v3, v34, v20
	v_fmac_f32_e32 v5, v40, v20
	v_dual_fmac_f32 v119, v36, v21 :: v_dual_fmac_f32 v120, v41, v20
	v_fmac_f32_e32 v121, v39, v20
	s_delay_alu instid0(VALU_DEP_4)
	v_fma_f32 v125, -v35, v21, v3
	v_fma_f32 v126, -v37, v21, v2
	;; [unrolled: 1-line block ×3, first 2 shown]
	v_fmac_f32_e32 v120, v40, v21
	v_fmac_f32_e32 v121, v38, v21
	v_fma_f32 v123, -v41, v21, v5
	s_or_b32 s6, vcc_lo, s6
	s_delay_alu instid0(SALU_CYCLE_1)
	s_and_not1_b32 exec_lo, exec_lo, s6
	s_cbranch_execnz .LBB11_35
; %bb.36:
	s_or_b32 exec_lo, exec_lo, s6
.LBB11_37:
	s_delay_alu instid0(SALU_CYCLE_1) | instskip(NEXT) | instid1(SALU_CYCLE_1)
	s_or_b32 exec_lo, exec_lo, s2
	s_mov_b32 s2, exec_lo
	v_cmpx_lt_u32_e32 23, v0
	s_cbranch_execz .LBB11_41
; %bb.38:
	s_mov_b32 s6, 0
.LBB11_39:                              ; =>This Inner Loop Header: Depth=1
	v_ashrrev_i32_e32 v106, 31, v105
	s_clause 0x16
	global_load_b128 v[44:47], v[107:108], off offset:48
	global_load_b128 v[56:59], v[107:108], off offset:32
	;; [unrolled: 1-line block ×3, first 2 shown]
	global_load_b128 v[64:67], v[107:108], off
	global_load_b128 v[8:11], v[107:108], off offset:112
	global_load_b128 v[32:35], v[107:108], off offset:96
	;; [unrolled: 1-line block ×19, first 2 shown]
	v_lshlrev_b64 v[92:93], 2, v[105:106]
	v_add_nc_u32_e32 v105, 32, v105
	s_delay_alu instid0(VALU_DEP_2) | instskip(NEXT) | instid1(VALU_DEP_3)
	v_add_co_u32 v92, vcc_lo, s8, v92
	v_add_co_ci_u32_e32 v93, vcc_lo, s9, v93, vcc_lo
	s_clause 0x3
	global_load_b32 v94, v[92:93], off
	global_load_b32 v100, v[92:93], off offset:32
	global_load_b32 v101, v[92:93], off offset:64
	;; [unrolled: 1-line block ×3, first 2 shown]
	s_waitcnt vmcnt(3)
	v_subrev_nc_u32_e32 v92, s12, v94
	s_delay_alu instid0(VALU_DEP_1) | instskip(NEXT) | instid1(VALU_DEP_1)
	v_lshlrev_b32_e32 v92, 2, v92
	v_ashrrev_i32_e32 v93, 31, v92
	s_delay_alu instid0(VALU_DEP_1) | instskip(SKIP_1) | instid1(VALU_DEP_1)
	v_lshlrev_b64 v[92:93], 3, v[92:93]
	s_waitcnt lgkmcnt(0)
	v_add_co_u32 v96, vcc_lo, s4, v92
	s_delay_alu instid0(VALU_DEP_2)
	v_add_co_ci_u32_e32 v97, vcc_lo, s5, v93, vcc_lo
	s_clause 0x1
	global_load_b128 v[92:95], v[96:97], off
	global_load_b128 v[96:99], v[96:97], off offset:16
	s_waitcnt vmcnt(1)
	v_fmac_f32_e32 v120, v63, v92
	s_delay_alu instid0(VALU_DEP_1) | instskip(NEXT) | instid1(VALU_DEP_1)
	v_dual_fmac_f32 v125, v64, v92 :: v_dual_fmac_f32 v120, v62, v93
	v_fma_f32 v103, -v65, v93, v125
	s_delay_alu instid0(VALU_DEP_1) | instskip(NEXT) | instid1(VALU_DEP_1)
	v_dual_fmac_f32 v126, v66, v92 :: v_dual_fmac_f32 v103, v56, v94
	v_fma_f32 v106, -v67, v93, v126
	v_fmac_f32_e32 v121, v61, v92
	s_delay_alu instid0(VALU_DEP_3) | instskip(NEXT) | instid1(VALU_DEP_3)
	v_fma_f32 v110, -v57, v95, v103
	v_fmac_f32_e32 v106, v58, v94
	s_delay_alu instid0(VALU_DEP_3) | instskip(SKIP_1) | instid1(VALU_DEP_3)
	v_dual_fmac_f32 v118, v65, v92 :: v_dual_fmac_f32 v121, v60, v93
	v_fmac_f32_e32 v119, v67, v92
	v_fma_f32 v106, -v59, v95, v106
	s_delay_alu instid0(VALU_DEP_3) | instskip(NEXT) | instid1(VALU_DEP_3)
	v_dual_fmac_f32 v118, v64, v93 :: v_dual_fmac_f32 v123, v62, v92
	v_dual_fmac_f32 v119, v66, v93 :: v_dual_fmac_f32 v124, v60, v92
	v_fmac_f32_e32 v121, v45, v94
	s_delay_alu instid0(VALU_DEP_3) | instskip(NEXT) | instid1(VALU_DEP_4)
	v_fmac_f32_e32 v118, v57, v94
	v_fma_f32 v109, -v63, v93, v123
	s_delay_alu instid0(VALU_DEP_4) | instskip(SKIP_4) | instid1(VALU_DEP_4)
	v_fmac_f32_e32 v119, v59, v94
	v_fma_f32 v92, -v61, v93, v124
	v_subrev_nc_u32_e32 v93, s12, v100
	v_fmac_f32_e32 v118, v56, v95
	v_subrev_nc_u32_e32 v100, s12, v101
	v_dual_fmac_f32 v119, v58, v95 :: v_dual_fmac_f32 v92, v44, v94
	v_dual_fmac_f32 v120, v47, v94 :: v_dual_fmac_f32 v121, v44, v95
	v_dual_fmac_f32 v109, v46, v94 :: v_dual_lshlrev_b32 v44, 2, v93
	v_subrev_nc_u32_e32 v101, s12, v102
	s_waitcnt vmcnt(0)
	v_fmac_f32_e32 v119, v55, v96
	v_fma_f32 v111, -v45, v95, v92
	v_fmac_f32_e32 v120, v46, v95
	v_lshlrev_b32_e32 v46, 2, v100
	v_ashrrev_i32_e32 v45, 31, v44
	v_fmac_f32_e32 v119, v54, v97
	v_dual_fmac_f32 v121, v49, v96 :: v_dual_lshlrev_b32 v92, 2, v101
	v_fma_f32 v109, -v47, v95, v109
	v_ashrrev_i32_e32 v47, 31, v46
	v_lshlrev_b64 v[44:45], 3, v[44:45]
	s_delay_alu instid0(VALU_DEP_4) | instskip(SKIP_1) | instid1(VALU_DEP_4)
	v_ashrrev_i32_e32 v93, 31, v92
	v_dual_fmac_f32 v106, v54, v96 :: v_dual_fmac_f32 v119, v35, v98
	v_lshlrev_b64 v[46:47], 3, v[46:47]
	v_dual_fmac_f32 v118, v53, v96 :: v_dual_fmac_f32 v121, v48, v97
	s_delay_alu instid0(VALU_DEP_4)
	v_lshlrev_b64 v[92:93], 3, v[92:93]
	v_add_co_u32 v94, vcc_lo, s4, v44
	v_add_co_ci_u32_e32 v95, vcc_lo, s5, v45, vcc_lo
	v_add_co_u32 v100, vcc_lo, s4, v46
	v_add_co_ci_u32_e32 v101, vcc_lo, s5, v47, vcc_lo
	v_add_co_u32 v102, vcc_lo, s4, v92
	v_add_co_ci_u32_e32 v103, vcc_lo, s5, v93, vcc_lo
	v_fma_f32 v93, -v55, v97, v106
	v_fmac_f32_e32 v110, v52, v96
	v_dual_fmac_f32 v118, v52, v97 :: v_dual_fmac_f32 v109, v50, v96
	v_fmac_f32_e32 v111, v48, v96
	v_dual_fmac_f32 v120, v51, v96 :: v_dual_fmac_f32 v119, v34, v99
	v_fmac_f32_e32 v93, v34, v98
	v_fma_f32 v92, -v53, v97, v110
	s_delay_alu instid0(VALU_DEP_4)
	v_fma_f32 v96, -v49, v97, v111
	v_fma_f32 v106, -v51, v97, v109
	v_dual_fmac_f32 v120, v50, v97 :: v_dual_fmac_f32 v121, v9, v98
	v_fma_f32 v109, -v35, v99, v93
	v_fmac_f32_e32 v92, v32, v98
	v_fmac_f32_e32 v118, v33, v98
	;; [unrolled: 1-line block ×3, first 2 shown]
	v_dual_fmac_f32 v121, v8, v99 :: v_dual_fmac_f32 v120, v11, v98
	s_delay_alu instid0(VALU_DEP_4)
	v_fma_f32 v97, -v33, v99, v92
	v_fmac_f32_e32 v106, v10, v98
	s_clause 0x5
	global_load_b128 v[64:67], v[107:108], off offset:2112
	global_load_b128 v[52:55], v[107:108], off offset:3072
	;; [unrolled: 1-line block ×6, first 2 shown]
	v_fmac_f32_e32 v118, v32, v99
	global_load_b128 v[32:35], v[107:108], off offset:3152
	v_fma_f32 v110, -v9, v99, v96
	v_fma_f32 v106, -v11, v99, v106
	v_fmac_f32_e32 v120, v10, v99
	s_clause 0x1
	global_load_b128 v[8:11], v[94:95], off
	global_load_b128 v[92:95], v[94:95], off offset:16
	s_waitcnt vmcnt(1)
	v_fmac_f32_e32 v97, v40, v8
	v_fmac_f32_e32 v109, v42, v8
	;; [unrolled: 1-line block ×4, first 2 shown]
	s_delay_alu instid0(VALU_DEP_4) | instskip(SKIP_3) | instid1(VALU_DEP_4)
	v_fma_f32 v111, -v41, v9, v97
	v_fmac_f32_e32 v118, v41, v8
	v_fma_f32 v109, -v43, v9, v109
	v_dual_fmac_f32 v119, v42, v9 :: v_dual_fmac_f32 v110, v36, v8
	v_fmac_f32_e32 v111, v28, v10
	s_delay_alu instid0(VALU_DEP_3)
	v_dual_fmac_f32 v118, v40, v9 :: v_dual_fmac_f32 v109, v30, v10
	s_clause 0x1
	global_load_b128 v[40:43], v[100:101], off
	global_load_b128 v[96:99], v[100:101], off offset:16
	v_dual_fmac_f32 v121, v36, v9 :: v_dual_fmac_f32 v106, v38, v8
	v_fmac_f32_e32 v119, v31, v10
	v_fmac_f32_e32 v120, v39, v8
	v_fma_f32 v8, -v37, v9, v110
	s_delay_alu instid0(VALU_DEP_4)
	v_fmac_f32_e32 v121, v25, v10
	v_fma_f32 v100, -v39, v9, v106
	v_fmac_f32_e32 v119, v30, v11
	v_fmac_f32_e32 v120, v38, v9
	global_load_b128 v[36:39], v[102:103], off
	v_fmac_f32_e32 v118, v29, v10
	v_fma_f32 v101, -v29, v11, v111
	v_fma_f32 v106, -v31, v11, v109
	v_dual_fmac_f32 v100, v26, v10 :: v_dual_fmac_f32 v121, v24, v11
	s_waitcnt vmcnt(3)
	v_dual_fmac_f32 v118, v28, v11 :: v_dual_fmac_f32 v119, v19, v92
	global_load_b128 v[28:31], v[102:103], off offset:16
	v_dual_fmac_f32 v8, v24, v10 :: v_dual_fmac_f32 v121, v13, v92
	v_dual_fmac_f32 v120, v27, v10 :: v_dual_fmac_f32 v119, v18, v93
	v_fmac_f32_e32 v101, v16, v92
	s_delay_alu instid0(VALU_DEP_3) | instskip(SKIP_1) | instid1(VALU_DEP_4)
	v_fma_f32 v102, -v25, v11, v8
	v_fma_f32 v100, -v27, v11, v100
	v_dual_fmac_f32 v120, v26, v11 :: v_dual_fmac_f32 v121, v12, v93
	s_clause 0x1
	global_load_b128 v[8:11], v[107:108], off offset:3168
	global_load_b128 v[24:27], v[107:108], off offset:3184
	v_fmac_f32_e32 v102, v12, v92
	v_fmac_f32_e32 v118, v17, v92
	v_dual_fmac_f32 v106, v18, v92 :: v_dual_fmac_f32 v119, v7, v94
	v_fma_f32 v17, -v17, v93, v101
	v_fmac_f32_e32 v121, v1, v94
	v_fma_f32 v13, -v13, v93, v102
	v_fmac_f32_e32 v100, v14, v92
	v_dual_fmac_f32 v120, v15, v92 :: v_dual_fmac_f32 v119, v6, v95
	v_fmac_f32_e32 v17, v4, v94
	v_fmac_f32_e32 v118, v16, v93
	v_fma_f32 v16, -v19, v93, v106
	v_fmac_f32_e32 v13, v0, v94
	v_fma_f32 v12, -v15, v93, v100
	v_dual_fmac_f32 v120, v14, v93 :: v_dual_fmac_f32 v121, v0, v95
	v_add_co_u32 v107, vcc_lo, 0x1000, v107
	s_delay_alu instid0(VALU_DEP_4)
	v_fma_f32 v1, -v1, v95, v13
	v_fmac_f32_e32 v16, v6, v94
	v_fmac_f32_e32 v12, v2, v94
	v_add_co_ci_u32_e32 v108, vcc_lo, 0, v108, vcc_lo
	v_cmp_ge_i32_e32 vcc_lo, v105, v122
	s_or_b32 s6, vcc_lo, s6
	s_waitcnt vmcnt(5)
	v_fmac_f32_e32 v121, v73, v40
	v_dual_fmac_f32 v119, v79, v40 :: v_dual_fmac_f32 v118, v5, v94
	v_fma_f32 v5, -v5, v95, v17
	v_dual_fmac_f32 v1, v72, v40 :: v_dual_fmac_f32 v120, v3, v94
	s_delay_alu instid0(VALU_DEP_3) | instskip(SKIP_1) | instid1(VALU_DEP_4)
	v_fmac_f32_e32 v119, v78, v41
	v_fma_f32 v0, -v3, v95, v12
	v_fmac_f32_e32 v5, v76, v40
	v_fmac_f32_e32 v118, v4, v95
	v_fma_f32 v4, -v7, v95, v16
	v_fma_f32 v1, -v73, v41, v1
	v_dual_fmac_f32 v120, v2, v95 :: v_dual_fmac_f32 v121, v72, v41
	v_fmac_f32_e32 v0, v74, v40
	s_delay_alu instid0(VALU_DEP_3) | instskip(SKIP_1) | instid1(VALU_DEP_4)
	v_dual_fmac_f32 v4, v78, v40 :: v_dual_fmac_f32 v1, v20, v42
	v_fmac_f32_e32 v119, v71, v42
	v_fmac_f32_e32 v120, v75, v40
	v_fma_f32 v2, -v77, v41, v5
	s_delay_alu instid0(VALU_DEP_4)
	v_fma_f32 v3, -v79, v41, v4
	v_fmac_f32_e32 v121, v21, v42
	v_fmac_f32_e32 v119, v70, v43
	v_fma_f32 v0, -v75, v41, v0
	v_fmac_f32_e32 v120, v74, v41
	v_fmac_f32_e32 v3, v70, v42
	v_dual_fmac_f32 v121, v20, v43 :: v_dual_fmac_f32 v118, v77, v40
	s_waitcnt vmcnt(4)
	v_dual_fmac_f32 v2, v68, v42 :: v_dual_fmac_f32 v119, v67, v96
	s_delay_alu instid0(VALU_DEP_3) | instskip(NEXT) | instid1(VALU_DEP_3)
	v_fma_f32 v3, -v71, v43, v3
	v_dual_fmac_f32 v0, v22, v42 :: v_dual_fmac_f32 v121, v89, v96
	v_fmac_f32_e32 v118, v76, v41
	s_delay_alu instid0(VALU_DEP_4) | instskip(SKIP_1) | instid1(VALU_DEP_3)
	v_dual_fmac_f32 v120, v23, v42 :: v_dual_fmac_f32 v119, v66, v97
	v_fma_f32 v1, -v21, v43, v1
	v_dual_fmac_f32 v3, v66, v96 :: v_dual_fmac_f32 v118, v69, v42
	v_fma_f32 v2, -v69, v43, v2
	v_fma_f32 v0, -v23, v43, v0
	s_delay_alu instid0(VALU_DEP_4) | instskip(SKIP_4) | instid1(VALU_DEP_4)
	v_dual_fmac_f32 v1, v88, v96 :: v_dual_fmac_f32 v120, v22, v43
	v_fmac_f32_e32 v121, v88, v97
	v_fma_f32 v3, -v67, v97, v3
	v_fmac_f32_e32 v118, v68, v43
	v_dual_fmac_f32 v2, v64, v96 :: v_dual_fmac_f32 v119, v87, v98
	v_dual_fmac_f32 v0, v90, v96 :: v_dual_fmac_f32 v121, v81, v98
	v_fmac_f32_e32 v120, v91, v96
	v_fma_f32 v1, -v89, v97, v1
	s_delay_alu instid0(VALU_DEP_4) | instskip(SKIP_2) | instid1(VALU_DEP_4)
	v_fmac_f32_e32 v119, v86, v99
	v_dual_fmac_f32 v3, v86, v98 :: v_dual_fmac_f32 v118, v65, v96
	v_fma_f32 v2, -v65, v97, v2
	v_fmac_f32_e32 v1, v80, v98
	v_fma_f32 v0, -v91, v97, v0
	v_dual_fmac_f32 v120, v90, v97 :: v_dual_fmac_f32 v121, v80, v99
	v_fma_f32 v3, -v87, v99, v3
	v_fmac_f32_e32 v118, v64, v97
	s_waitcnt vmcnt(3)
	v_dual_fmac_f32 v2, v84, v98 :: v_dual_fmac_f32 v119, v55, v36
	v_dual_fmac_f32 v0, v82, v98 :: v_dual_fmac_f32 v121, v45, v36
	v_fmac_f32_e32 v120, v83, v98
	v_fma_f32 v1, -v81, v99, v1
	s_delay_alu instid0(VALU_DEP_4) | instskip(SKIP_2) | instid1(VALU_DEP_4)
	v_fmac_f32_e32 v119, v54, v37
	v_dual_fmac_f32 v3, v54, v36 :: v_dual_fmac_f32 v118, v85, v98
	v_fma_f32 v2, -v85, v99, v2
	v_fmac_f32_e32 v1, v44, v36
	v_fma_f32 v0, -v83, v99, v0
	v_dual_fmac_f32 v120, v82, v99 :: v_dual_fmac_f32 v121, v44, v37
	v_fma_f32 v3, -v55, v37, v3
	v_fmac_f32_e32 v118, v84, v99
	v_dual_fmac_f32 v2, v52, v36 :: v_dual_fmac_f32 v119, v59, v38
	s_delay_alu instid0(VALU_DEP_4) | instskip(SKIP_2) | instid1(VALU_DEP_4)
	v_dual_fmac_f32 v0, v46, v36 :: v_dual_fmac_f32 v121, v61, v38
	v_fmac_f32_e32 v120, v47, v36
	v_fma_f32 v1, -v45, v37, v1
	v_fmac_f32_e32 v119, v58, v39
	v_dual_fmac_f32 v3, v58, v38 :: v_dual_fmac_f32 v118, v53, v36
	v_fma_f32 v2, -v53, v37, v2
	s_delay_alu instid0(VALU_DEP_4)
	v_fmac_f32_e32 v1, v60, v38
	v_fma_f32 v0, -v47, v37, v0
	v_dual_fmac_f32 v120, v46, v37 :: v_dual_fmac_f32 v121, v60, v39
	v_fma_f32 v3, -v59, v39, v3
	v_fmac_f32_e32 v118, v52, v37
	s_waitcnt vmcnt(2)
	v_dual_fmac_f32 v2, v56, v38 :: v_dual_fmac_f32 v119, v51, v28
	v_dual_fmac_f32 v0, v62, v38 :: v_dual_fmac_f32 v121, v33, v28
	v_fmac_f32_e32 v120, v63, v38
	v_fma_f32 v1, -v61, v39, v1
	s_delay_alu instid0(VALU_DEP_4) | instskip(SKIP_2) | instid1(VALU_DEP_4)
	v_fmac_f32_e32 v119, v50, v29
	v_dual_fmac_f32 v3, v50, v28 :: v_dual_fmac_f32 v118, v57, v38
	v_fma_f32 v2, -v57, v39, v2
	v_fmac_f32_e32 v1, v32, v28
	v_fma_f32 v0, -v63, v39, v0
	v_dual_fmac_f32 v120, v62, v39 :: v_dual_fmac_f32 v121, v32, v29
	v_fma_f32 v3, -v51, v29, v3
	v_fmac_f32_e32 v118, v56, v39
	s_waitcnt vmcnt(1)
	v_dual_fmac_f32 v2, v48, v28 :: v_dual_fmac_f32 v119, v11, v30
	s_waitcnt vmcnt(0)
	v_dual_fmac_f32 v0, v34, v28 :: v_dual_fmac_f32 v121, v25, v30
	v_fmac_f32_e32 v120, v35, v28
	v_fma_f32 v1, -v33, v29, v1
	v_fmac_f32_e32 v119, v10, v31
	v_dual_fmac_f32 v3, v10, v30 :: v_dual_fmac_f32 v118, v49, v28
	v_fma_f32 v2, -v49, v29, v2
	s_delay_alu instid0(VALU_DEP_4) | instskip(SKIP_4) | instid1(VALU_DEP_4)
	v_fmac_f32_e32 v1, v24, v30
	v_fma_f32 v0, -v35, v29, v0
	v_dual_fmac_f32 v120, v34, v29 :: v_dual_fmac_f32 v121, v24, v31
	v_fmac_f32_e32 v118, v48, v29
	v_fmac_f32_e32 v2, v8, v30
	;; [unrolled: 1-line block ×3, first 2 shown]
	s_delay_alu instid0(VALU_DEP_4)
	v_fmac_f32_e32 v120, v27, v30
	v_fma_f32 v126, -v11, v31, v3
	v_fmac_f32_e32 v118, v9, v30
	v_fma_f32 v125, -v9, v31, v2
	v_fma_f32 v124, -v25, v31, v1
	;; [unrolled: 1-line block ×3, first 2 shown]
	v_fmac_f32_e32 v120, v26, v31
	v_fmac_f32_e32 v118, v8, v31
	s_and_not1_b32 exec_lo, exec_lo, s6
	s_cbranch_execnz .LBB11_39
; %bb.40:
	s_or_b32 exec_lo, exec_lo, s6
.LBB11_41:
	s_delay_alu instid0(SALU_CYCLE_1)
	s_or_b32 exec_lo, exec_lo, s2
.LBB11_42:
	s_delay_alu instid0(SALU_CYCLE_1)
	s_or_b32 exec_lo, exec_lo, s3
.LBB11_43:
	v_mbcnt_lo_u32_b32 v0, -1, 0
	s_delay_alu instid0(VALU_DEP_1) | instskip(SKIP_2) | instid1(VALU_DEP_3)
	v_xor_b32_e32 v1, 4, v0
	v_xor_b32_e32 v9, 2, v0
	;; [unrolled: 1-line block ×3, first 2 shown]
	v_cmp_gt_i32_e32 vcc_lo, 32, v1
	v_cndmask_b32_e32 v1, v0, v1, vcc_lo
	s_delay_alu instid0(VALU_DEP_4) | instskip(NEXT) | instid1(VALU_DEP_2)
	v_cmp_gt_i32_e32 vcc_lo, 32, v9
	v_lshlrev_b32_e32 v1, 2, v1
	ds_bpermute_b32 v4, v1, v126
	s_waitcnt lgkmcnt(0)
	v_add_f32_e32 v4, v126, v4
	ds_bpermute_b32 v2, v1, v125
	ds_bpermute_b32 v8, v1, v123
	;; [unrolled: 1-line block ×7, first 2 shown]
	v_cndmask_b32_e32 v9, v0, v9, vcc_lo
	v_cmp_gt_i32_e32 vcc_lo, 32, v17
	v_cndmask_b32_e32 v0, v0, v17, vcc_lo
	v_cmp_eq_u32_e32 vcc_lo, 7, v117
	s_waitcnt lgkmcnt(6)
	v_add_f32_e32 v2, v125, v2
	s_waitcnt lgkmcnt(5)
	v_dual_add_f32 v8, v123, v8 :: v_dual_lshlrev_b32 v9, 2, v9
	s_waitcnt lgkmcnt(2)
	v_dual_add_f32 v3, v118, v3 :: v_dual_add_f32 v6, v124, v6
	s_waitcnt lgkmcnt(0)
	v_dual_add_f32 v7, v121, v7 :: v_dual_add_f32 v10, v120, v1
	ds_bpermute_b32 v1, v9, v2
	ds_bpermute_b32 v12, v9, v4
	v_add_f32_e32 v5, v119, v5
	ds_bpermute_b32 v11, v9, v3
	ds_bpermute_b32 v14, v9, v6
	;; [unrolled: 1-line block ×4, first 2 shown]
	s_waitcnt lgkmcnt(5)
	v_dual_add_f32 v0, v2, v1 :: v_dual_lshlrev_b32 v17, 2, v0
	s_waitcnt lgkmcnt(4)
	v_add_f32_e32 v2, v4, v12
	ds_bpermute_b32 v13, v9, v5
	ds_bpermute_b32 v9, v9, v10
	s_waitcnt lgkmcnt(4)
	v_dual_add_f32 v1, v3, v11 :: v_dual_add_f32 v4, v6, v14
	s_waitcnt lgkmcnt(2)
	v_add_f32_e32 v6, v8, v16
	ds_bpermute_b32 v8, v17, v0
	ds_bpermute_b32 v12, v17, v4
	;; [unrolled: 1-line block ×3, first 2 shown]
	s_waitcnt lgkmcnt(4)
	v_add_f32_e32 v3, v5, v13
	v_add_f32_e32 v5, v7, v15
	s_waitcnt lgkmcnt(3)
	v_add_f32_e32 v7, v10, v9
	ds_bpermute_b32 v9, v17, v1
	ds_bpermute_b32 v10, v17, v2
	;; [unrolled: 1-line block ×5, first 2 shown]
	s_and_b32 exec_lo, exec_lo, vcc_lo
	s_cbranch_execz .LBB11_13
; %bb.44:
	s_load_b64 s[2:3], s[0:1], 0x50
	s_waitcnt lgkmcnt(0)
	v_add_f32_e32 v8, v0, v8
	v_dual_add_f32 v0, v1, v9 :: v_dual_add_f32 v1, v3, v11
	v_dual_add_f32 v9, v2, v10 :: v_dual_add_f32 v2, v5, v13
	;; [unrolled: 1-line block ×3, first 2 shown]
	v_add_f32_e32 v11, v6, v14
	s_delay_alu instid0(VALU_DEP_4)
	v_mul_f32_e64 v4, v0, -v116
	v_mul_f32_e32 v5, v0, v115
	v_mul_f32_e64 v6, v1, -v116
	v_mul_f32_e32 v7, v1, v115
	;; [unrolled: 2-line block ×3, first 2 shown]
	v_mul_f32_e64 v2, v3, -v116
	v_fmac_f32_e32 v6, v115, v9
	v_mul_f32_e32 v3, v3, v115
	v_cmp_eq_f32_e32 vcc_lo, 0, v113
	v_cmp_eq_f32_e64 s0, 0, v114
	v_fmac_f32_e32 v4, v115, v8
	v_dual_fmac_f32 v5, v116, v8 :: v_dual_fmac_f32 v0, v115, v10
	v_dual_fmac_f32 v7, v116, v9 :: v_dual_lshlrev_b32 v8, 2, v104
	v_dual_fmac_f32 v2, v115, v11 :: v_dual_fmac_f32 v1, v116, v10
	v_fmac_f32_e32 v3, v116, v11
	s_and_b32 s0, vcc_lo, s0
	s_delay_alu instid0(SALU_CYCLE_1) | instskip(NEXT) | instid1(SALU_CYCLE_1)
	s_and_saveexec_b32 s1, s0
	s_xor_b32 s0, exec_lo, s1
; %bb.45:
	v_ashrrev_i32_e32 v9, 31, v8
                                        ; implicit-def: $vgpr113
                                        ; implicit-def: $vgpr114
	s_delay_alu instid0(VALU_DEP_1) | instskip(NEXT) | instid1(VALU_DEP_1)
	v_lshlrev_b64 v[8:9], 3, v[8:9]
	v_add_co_u32 v8, vcc_lo, s2, v8
	s_delay_alu instid0(VALU_DEP_2)
	v_add_co_ci_u32_e32 v9, vcc_lo, s3, v9, vcc_lo
	s_clause 0x1
	global_store_b128 v[8:9], v[4:7], off
	global_store_b128 v[8:9], v[0:3], off offset:16
                                        ; implicit-def: $vgpr4
                                        ; implicit-def: $vgpr8
                                        ; implicit-def: $vgpr0
; %bb.46:
	s_and_not1_saveexec_b32 s0, s0
	s_cbranch_execz .LBB11_13
; %bb.47:
	v_ashrrev_i32_e32 v9, 31, v8
	s_delay_alu instid0(VALU_DEP_1) | instskip(NEXT) | instid1(VALU_DEP_1)
	v_lshlrev_b64 v[8:9], 3, v[8:9]
	v_add_co_u32 v16, vcc_lo, s2, v8
	s_delay_alu instid0(VALU_DEP_2)
	v_add_co_ci_u32_e32 v17, vcc_lo, s3, v9, vcc_lo
	s_clause 0x1
	global_load_b128 v[8:11], v[16:17], off
	global_load_b128 v[12:15], v[16:17], off offset:16
	s_waitcnt vmcnt(1)
	v_dual_fmac_f32 v4, v113, v8 :: v_dual_fmac_f32 v7, v114, v10
	v_dual_fmac_f32 v5, v114, v8 :: v_dual_fmac_f32 v6, v113, v10
	s_waitcnt vmcnt(0)
	v_dual_fmac_f32 v0, v113, v12 :: v_dual_fmac_f32 v3, v114, v14
	v_dual_fmac_f32 v1, v114, v12 :: v_dual_fmac_f32 v2, v113, v14
	v_fma_f32 v4, -v114, v9, v4
	v_fmac_f32_e32 v5, v113, v9
	v_fma_f32 v6, -v114, v11, v6
	v_fmac_f32_e32 v7, v113, v11
	;; [unrolled: 2-line block ×4, first 2 shown]
	s_clause 0x1
	global_store_b128 v[16:17], v[4:7], off
	global_store_b128 v[16:17], v[0:3], off offset:16
	s_nop 0
	s_sendmsg sendmsg(MSG_DEALLOC_VGPRS)
	s_endpgm
	.section	.rodata,"a",@progbits
	.p2align	6, 0x0
	.amdhsa_kernel _ZN9rocsparseL18bsrxmvn_4x4_kernelILj128ELj8E21rocsparse_complex_numIfEiiS2_S2_S2_EEvT3_20rocsparse_direction_NS_24const_host_device_scalarIT1_EES3_PKS3_PKT2_SC_S9_PKT4_PKT5_S7_PT6_21rocsparse_index_base_b
		.amdhsa_group_segment_fixed_size 0
		.amdhsa_private_segment_fixed_size 0
		.amdhsa_kernarg_size 96
		.amdhsa_user_sgpr_count 15
		.amdhsa_user_sgpr_dispatch_ptr 0
		.amdhsa_user_sgpr_queue_ptr 0
		.amdhsa_user_sgpr_kernarg_segment_ptr 1
		.amdhsa_user_sgpr_dispatch_id 0
		.amdhsa_user_sgpr_private_segment_size 0
		.amdhsa_wavefront_size32 1
		.amdhsa_uses_dynamic_stack 0
		.amdhsa_enable_private_segment 0
		.amdhsa_system_sgpr_workgroup_id_x 1
		.amdhsa_system_sgpr_workgroup_id_y 0
		.amdhsa_system_sgpr_workgroup_id_z 0
		.amdhsa_system_sgpr_workgroup_info 0
		.amdhsa_system_vgpr_workitem_id 0
		.amdhsa_next_free_vgpr 152
		.amdhsa_next_free_sgpr 16
		.amdhsa_reserve_vcc 1
		.amdhsa_float_round_mode_32 0
		.amdhsa_float_round_mode_16_64 0
		.amdhsa_float_denorm_mode_32 3
		.amdhsa_float_denorm_mode_16_64 3
		.amdhsa_dx10_clamp 1
		.amdhsa_ieee_mode 1
		.amdhsa_fp16_overflow 0
		.amdhsa_workgroup_processor_mode 1
		.amdhsa_memory_ordered 1
		.amdhsa_forward_progress 0
		.amdhsa_shared_vgpr_count 0
		.amdhsa_exception_fp_ieee_invalid_op 0
		.amdhsa_exception_fp_denorm_src 0
		.amdhsa_exception_fp_ieee_div_zero 0
		.amdhsa_exception_fp_ieee_overflow 0
		.amdhsa_exception_fp_ieee_underflow 0
		.amdhsa_exception_fp_ieee_inexact 0
		.amdhsa_exception_int_div_zero 0
	.end_amdhsa_kernel
	.section	.text._ZN9rocsparseL18bsrxmvn_4x4_kernelILj128ELj8E21rocsparse_complex_numIfEiiS2_S2_S2_EEvT3_20rocsparse_direction_NS_24const_host_device_scalarIT1_EES3_PKS3_PKT2_SC_S9_PKT4_PKT5_S7_PT6_21rocsparse_index_base_b,"axG",@progbits,_ZN9rocsparseL18bsrxmvn_4x4_kernelILj128ELj8E21rocsparse_complex_numIfEiiS2_S2_S2_EEvT3_20rocsparse_direction_NS_24const_host_device_scalarIT1_EES3_PKS3_PKT2_SC_S9_PKT4_PKT5_S7_PT6_21rocsparse_index_base_b,comdat
.Lfunc_end11:
	.size	_ZN9rocsparseL18bsrxmvn_4x4_kernelILj128ELj8E21rocsparse_complex_numIfEiiS2_S2_S2_EEvT3_20rocsparse_direction_NS_24const_host_device_scalarIT1_EES3_PKS3_PKT2_SC_S9_PKT4_PKT5_S7_PT6_21rocsparse_index_base_b, .Lfunc_end11-_ZN9rocsparseL18bsrxmvn_4x4_kernelILj128ELj8E21rocsparse_complex_numIfEiiS2_S2_S2_EEvT3_20rocsparse_direction_NS_24const_host_device_scalarIT1_EES3_PKS3_PKT2_SC_S9_PKT4_PKT5_S7_PT6_21rocsparse_index_base_b
                                        ; -- End function
	.section	.AMDGPU.csdata,"",@progbits
; Kernel info:
; codeLenInByte = 7216
; NumSgprs: 18
; NumVgprs: 152
; ScratchSize: 0
; MemoryBound: 0
; FloatMode: 240
; IeeeMode: 1
; LDSByteSize: 0 bytes/workgroup (compile time only)
; SGPRBlocks: 2
; VGPRBlocks: 18
; NumSGPRsForWavesPerEU: 18
; NumVGPRsForWavesPerEU: 152
; Occupancy: 9
; WaveLimiterHint : 1
; COMPUTE_PGM_RSRC2:SCRATCH_EN: 0
; COMPUTE_PGM_RSRC2:USER_SGPR: 15
; COMPUTE_PGM_RSRC2:TRAP_HANDLER: 0
; COMPUTE_PGM_RSRC2:TGID_X_EN: 1
; COMPUTE_PGM_RSRC2:TGID_Y_EN: 0
; COMPUTE_PGM_RSRC2:TGID_Z_EN: 0
; COMPUTE_PGM_RSRC2:TIDIG_COMP_CNT: 0
	.section	.text._ZN9rocsparseL18bsrxmvn_4x4_kernelILj128ELj16E21rocsparse_complex_numIfEiiS2_S2_S2_EEvT3_20rocsparse_direction_NS_24const_host_device_scalarIT1_EES3_PKS3_PKT2_SC_S9_PKT4_PKT5_S7_PT6_21rocsparse_index_base_b,"axG",@progbits,_ZN9rocsparseL18bsrxmvn_4x4_kernelILj128ELj16E21rocsparse_complex_numIfEiiS2_S2_S2_EEvT3_20rocsparse_direction_NS_24const_host_device_scalarIT1_EES3_PKS3_PKT2_SC_S9_PKT4_PKT5_S7_PT6_21rocsparse_index_base_b,comdat
	.globl	_ZN9rocsparseL18bsrxmvn_4x4_kernelILj128ELj16E21rocsparse_complex_numIfEiiS2_S2_S2_EEvT3_20rocsparse_direction_NS_24const_host_device_scalarIT1_EES3_PKS3_PKT2_SC_S9_PKT4_PKT5_S7_PT6_21rocsparse_index_base_b ; -- Begin function _ZN9rocsparseL18bsrxmvn_4x4_kernelILj128ELj16E21rocsparse_complex_numIfEiiS2_S2_S2_EEvT3_20rocsparse_direction_NS_24const_host_device_scalarIT1_EES3_PKS3_PKT2_SC_S9_PKT4_PKT5_S7_PT6_21rocsparse_index_base_b
	.p2align	8
	.type	_ZN9rocsparseL18bsrxmvn_4x4_kernelILj128ELj16E21rocsparse_complex_numIfEiiS2_S2_S2_EEvT3_20rocsparse_direction_NS_24const_host_device_scalarIT1_EES3_PKS3_PKT2_SC_S9_PKT4_PKT5_S7_PT6_21rocsparse_index_base_b,@function
_ZN9rocsparseL18bsrxmvn_4x4_kernelILj128ELj16E21rocsparse_complex_numIfEiiS2_S2_S2_EEvT3_20rocsparse_direction_NS_24const_host_device_scalarIT1_EES3_PKS3_PKT2_SC_S9_PKT4_PKT5_S7_PT6_21rocsparse_index_base_b: ; @_ZN9rocsparseL18bsrxmvn_4x4_kernelILj128ELj16E21rocsparse_complex_numIfEiiS2_S2_S2_EEvT3_20rocsparse_direction_NS_24const_host_device_scalarIT1_EES3_PKS3_PKT2_SC_S9_PKT4_PKT5_S7_PT6_21rocsparse_index_base_b
; %bb.0:
	s_clause 0x2
	s_load_b64 s[12:13], s[0:1], 0x58
	s_load_b64 s[4:5], s[0:1], 0x8
	;; [unrolled: 1-line block ×3, first 2 shown]
	s_waitcnt lgkmcnt(0)
	s_bitcmp1_b32 s13, 0
	v_mov_b32_e32 v121, s4
	s_cselect_b32 s6, -1, 0
	s_delay_alu instid0(SALU_CYCLE_1)
	s_and_b32 vcc_lo, exec_lo, s6
	s_xor_b32 s6, s6, -1
	s_cbranch_vccz .LBB12_14
; %bb.1:
	v_cndmask_b32_e64 v1, 0, 1, s6
	v_mov_b32_e32 v122, s5
	s_and_not1_b32 vcc_lo, exec_lo, s6
	s_cbranch_vccz .LBB12_15
.LBB12_2:
	s_delay_alu instid0(VALU_DEP_2)
	v_cmp_ne_u32_e32 vcc_lo, 1, v1
	v_mov_b32_e32 v119, s2
	s_cbranch_vccz .LBB12_16
.LBB12_3:
	v_cmp_ne_u32_e32 vcc_lo, 1, v1
	v_mov_b32_e32 v120, s3
	s_cbranch_vccnz .LBB12_5
.LBB12_4:
	v_dual_mov_b32 v1, s2 :: v_dual_mov_b32 v2, s3
	flat_load_b32 v120, v[1:2] offset:4
.LBB12_5:
	s_waitcnt vmcnt(0) lgkmcnt(0)
	v_cmp_eq_f32_e32 vcc_lo, 0, v121
	v_cmp_eq_f32_e64 s2, 0, v122
	s_delay_alu instid0(VALU_DEP_1)
	s_and_b32 s4, vcc_lo, s2
	s_mov_b32 s2, -1
	s_and_saveexec_b32 s3, s4
; %bb.6:
	v_cmp_neq_f32_e32 vcc_lo, 1.0, v119
	v_cmp_neq_f32_e64 s2, 0, v120
	s_delay_alu instid0(VALU_DEP_1) | instskip(NEXT) | instid1(SALU_CYCLE_1)
	s_or_b32 s2, vcc_lo, s2
	s_or_not1_b32 s2, s2, exec_lo
; %bb.7:
	s_or_b32 exec_lo, exec_lo, s3
	s_and_saveexec_b32 s3, s2
	s_cbranch_execz .LBB12_13
; %bb.8:
	s_clause 0x1
	s_load_b64 s[4:5], s[0:1], 0x18
	s_load_b64 s[2:3], s[0:1], 0x0
	v_lshrrev_b32_e32 v1, 4, v0
	s_delay_alu instid0(VALU_DEP_1)
	v_lshl_or_b32 v108, s15, 3, v1
	s_waitcnt lgkmcnt(0)
	s_cmp_lg_u64 s[4:5], 0
	s_cbranch_scc0 .LBB12_17
; %bb.9:
	s_load_b32 s6, s[0:1], 0x10
	s_mov_b32 s7, 0
                                        ; implicit-def: $vgpr1
	s_waitcnt lgkmcnt(0)
	v_cmp_gt_i32_e32 vcc_lo, s6, v108
	s_mov_b32 s6, 0
	s_and_saveexec_b32 s8, vcc_lo
	s_delay_alu instid0(SALU_CYCLE_1)
	s_xor_b32 s8, exec_lo, s8
	s_cbranch_execz .LBB12_11
; %bb.10:
	v_ashrrev_i32_e32 v109, 31, v108
	s_mov_b32 s6, exec_lo
	s_delay_alu instid0(VALU_DEP_1) | instskip(NEXT) | instid1(VALU_DEP_1)
	v_lshlrev_b64 v[1:2], 2, v[108:109]
	v_add_co_u32 v1, vcc_lo, s4, v1
	s_delay_alu instid0(VALU_DEP_2)
	v_add_co_ci_u32_e32 v2, vcc_lo, s5, v2, vcc_lo
	global_load_b32 v1, v[1:2], off
	s_waitcnt vmcnt(0)
	v_subrev_nc_u32_e32 v1, s12, v1
.LBB12_11:
	s_or_b32 exec_lo, exec_lo, s8
	s_delay_alu instid0(SALU_CYCLE_1)
	s_and_b32 vcc_lo, exec_lo, s7
	s_cbranch_vccz .LBB12_18
.LBB12_12:
	v_cmp_gt_i32_e32 vcc_lo, s2, v108
	s_and_not1_b32 s2, s6, exec_lo
	s_and_b32 s4, vcc_lo, exec_lo
	s_delay_alu instid0(SALU_CYCLE_1) | instskip(NEXT) | instid1(SALU_CYCLE_1)
	s_or_b32 s6, s2, s4
	s_and_b32 exec_lo, exec_lo, s6
	s_cbranch_execnz .LBB12_19
.LBB12_13:
	s_nop 0
	s_sendmsg sendmsg(MSG_DEALLOC_VGPRS)
	s_endpgm
.LBB12_14:
	v_dual_mov_b32 v1, s4 :: v_dual_mov_b32 v2, s5
	flat_load_b32 v121, v[1:2]
	v_cndmask_b32_e64 v1, 0, 1, s6
	v_mov_b32_e32 v122, s5
	s_and_not1_b32 vcc_lo, exec_lo, s6
	s_cbranch_vccnz .LBB12_2
.LBB12_15:
	v_dual_mov_b32 v2, s4 :: v_dual_mov_b32 v3, s5
	flat_load_b32 v122, v[2:3] offset:4
	v_cmp_ne_u32_e32 vcc_lo, 1, v1
	v_mov_b32_e32 v119, s2
	s_cbranch_vccnz .LBB12_3
.LBB12_16:
	v_dual_mov_b32 v2, s2 :: v_dual_mov_b32 v3, s3
	flat_load_b32 v119, v[2:3]
	v_cmp_ne_u32_e32 vcc_lo, 1, v1
	v_mov_b32_e32 v120, s3
	s_cbranch_vccz .LBB12_4
	s_branch .LBB12_5
.LBB12_17:
	s_mov_b32 s6, 0
                                        ; implicit-def: $vgpr1
	s_cbranch_execnz .LBB12_12
.LBB12_18:
	s_delay_alu instid0(VALU_DEP_1)
	v_mov_b32_e32 v108, v1
	s_and_b32 exec_lo, exec_lo, s6
	s_cbranch_execz .LBB12_13
.LBB12_19:
	s_load_b256 s[4:11], s[0:1], 0x20
	s_delay_alu instid0(VALU_DEP_1) | instskip(SKIP_1) | instid1(VALU_DEP_2)
	v_ashrrev_i32_e32 v109, 31, v108
	v_and_b32_e32 v123, 15, v0
	v_lshlrev_b64 v[1:2], 2, v[108:109]
	s_waitcnt lgkmcnt(0)
	s_delay_alu instid0(VALU_DEP_1) | instskip(NEXT) | instid1(VALU_DEP_2)
	v_add_co_u32 v3, vcc_lo, s4, v1
	v_add_co_ci_u32_e32 v4, vcc_lo, s5, v2, vcc_lo
	v_add_co_u32 v1, vcc_lo, s6, v1
	v_add_co_ci_u32_e32 v2, vcc_lo, s7, v2, vcc_lo
	global_load_b32 v133, v[3:4], off
	v_add_co_u32 v3, vcc_lo, v3, 4
	v_add_co_ci_u32_e32 v4, vcc_lo, 0, v4, vcc_lo
	s_cmp_eq_u64 s[6:7], 0
	s_load_b64 s[4:5], s[0:1], 0x40
	s_cselect_b32 vcc_lo, -1, 0
	s_cmp_eq_u32 s3, 1
	v_dual_cndmask_b32 v2, v2, v4 :: v_dual_cndmask_b32 v1, v1, v3
	global_load_b32 v2, v[1:2], off
	s_waitcnt vmcnt(1)
	v_subrev_nc_u32_e32 v0, s12, v133
	s_delay_alu instid0(VALU_DEP_1) | instskip(NEXT) | instid1(VALU_DEP_1)
	v_add_nc_u32_e32 v109, v0, v123
	v_ashrrev_i32_e32 v110, 31, v109
	s_waitcnt vmcnt(0)
	v_subrev_nc_u32_e32 v128, s12, v2
	s_delay_alu instid0(VALU_DEP_2) | instskip(NEXT) | instid1(VALU_DEP_2)
	v_lshlrev_b64 v[0:1], 7, v[109:110]
	v_cmp_lt_i32_e64 s2, v109, v128
	s_delay_alu instid0(VALU_DEP_2) | instskip(NEXT) | instid1(VALU_DEP_3)
	v_add_co_u32 v111, vcc_lo, s10, v0
	v_add_co_ci_u32_e32 v112, vcc_lo, s11, v1, vcc_lo
	s_cbranch_scc1 .LBB12_31
; %bb.20:
	v_dual_mov_b32 v124, 0 :: v_dual_mov_b32 v131, 0
	v_dual_mov_b32 v129, 0 :: v_dual_mov_b32 v126, 0
	;; [unrolled: 1-line block ×4, first 2 shown]
	s_mov_b32 s3, 0
	s_and_saveexec_b32 s6, s2
	s_cbranch_execz .LBB12_30
; %bb.21:
	v_dual_mov_b32 v125, 0 :: v_dual_add_nc_u32 v0, v133, v123
	v_not_b32_e32 v1, v133
	v_dual_mov_b32 v126, 0 :: v_dual_mov_b32 v129, 0
	s_delay_alu instid0(VALU_DEP_3) | instskip(SKIP_2) | instid1(VALU_DEP_3)
	v_subrev_nc_u32_e32 v0, s12, v0
	v_dual_mov_b32 v131, 0 :: v_dual_mov_b32 v124, 0
	v_dual_mov_b32 v114, v112 :: v_dual_mov_b32 v113, v111
	v_dual_mov_b32 v127, 0 :: v_dual_add_nc_u32 v0, 16, v0
	v_mov_b32_e32 v115, v109
	s_mov_b32 s10, 0
	s_mov_b32 s7, exec_lo
	s_delay_alu instid0(VALU_DEP_2) | instskip(SKIP_1) | instid1(VALU_DEP_2)
	v_max_i32_e32 v0, v0, v128
	v_mov_b32_e32 v132, 0
	v_add3_u32 v0, v0, s12, v1
	s_delay_alu instid0(VALU_DEP_1) | instskip(NEXT) | instid1(VALU_DEP_1)
	v_sub_nc_u32_e32 v0, v0, v123
	v_lshrrev_b32_e32 v1, 4, v0
	s_delay_alu instid0(VALU_DEP_1) | instskip(NEXT) | instid1(VALU_DEP_1)
	v_dual_mov_b32 v130, 0 :: v_dual_add_nc_u32 v1, 1, v1
	v_and_b32_e32 v1, 3, v1
	s_delay_alu instid0(VALU_DEP_1)
	v_cmpx_ne_u32_e32 0, v1
	s_cbranch_execz .LBB12_25
; %bb.22:
	v_dual_mov_b32 v115, v109 :: v_dual_mov_b32 v114, v112
	v_dual_mov_b32 v124, 0 :: v_dual_lshlrev_b32 v1, 7, v1
	v_dual_mov_b32 v113, v111 :: v_dual_mov_b32 v126, 0
	v_dual_mov_b32 v131, 0 :: v_dual_mov_b32 v130, 0
	;; [unrolled: 1-line block ×3, first 2 shown]
	v_mov_b32_e32 v127, 0
	v_mov_b32_e32 v125, 0
.LBB12_23:                              ; =>This Inner Loop Header: Depth=1
	v_ashrrev_i32_e32 v116, 31, v115
	s_delay_alu instid0(VALU_DEP_1) | instskip(NEXT) | instid1(VALU_DEP_1)
	v_lshlrev_b64 v[2:3], 2, v[115:116]
	v_add_co_u32 v2, vcc_lo, s8, v2
	s_delay_alu instid0(VALU_DEP_2)
	v_add_co_ci_u32_e32 v3, vcc_lo, s9, v3, vcc_lo
	global_load_b32 v34, v[2:3], off
	s_clause 0x7
	global_load_b128 v[2:5], v[113:114], off offset:48
	global_load_b128 v[6:9], v[113:114], off offset:32
	;; [unrolled: 1-line block ×3, first 2 shown]
	global_load_b128 v[14:17], v[113:114], off
	global_load_b128 v[18:21], v[113:114], off offset:112
	global_load_b128 v[22:25], v[113:114], off offset:96
	;; [unrolled: 1-line block ×4, first 2 shown]
	s_waitcnt vmcnt(8)
	v_subrev_nc_u32_e32 v34, s12, v34
	s_delay_alu instid0(VALU_DEP_1) | instskip(NEXT) | instid1(VALU_DEP_1)
	v_lshlrev_b32_e32 v34, 2, v34
	v_ashrrev_i32_e32 v35, 31, v34
	s_delay_alu instid0(VALU_DEP_1) | instskip(SKIP_1) | instid1(VALU_DEP_1)
	v_lshlrev_b64 v[34:35], 3, v[34:35]
	s_waitcnt lgkmcnt(0)
	v_add_co_u32 v38, vcc_lo, s4, v34
	s_delay_alu instid0(VALU_DEP_2)
	v_add_co_ci_u32_e32 v39, vcc_lo, s5, v35, vcc_lo
	v_add_co_u32 v113, vcc_lo, 0x800, v113
	v_add_co_ci_u32_e32 v114, vcc_lo, 0, v114, vcc_lo
	s_clause 0x1
	global_load_b128 v[34:37], v[38:39], off
	global_load_b128 v[38:41], v[38:39], off offset:16
	v_add_nc_u32_e32 v1, 0xffffff80, v1
	s_waitcnt vmcnt(1)
	v_dual_fmac_f32 v132, v6, v34 :: v_dual_add_nc_u32 v115, 16, v115
	v_fmac_f32_e32 v124, v15, v34
	v_fmac_f32_e32 v125, v7, v34
	;; [unrolled: 1-line block ×4, first 2 shown]
	v_fma_f32 v7, -v7, v35, v132
	v_fmac_f32_e32 v124, v14, v35
	v_fmac_f32_e32 v131, v14, v34
	;; [unrolled: 1-line block ×4, first 2 shown]
	s_delay_alu instid0(VALU_DEP_4) | instskip(NEXT) | instid1(VALU_DEP_4)
	v_dual_fmac_f32 v127, v30, v35 :: v_dual_fmac_f32 v124, v17, v36
	v_fma_f32 v15, -v15, v35, v131
	s_delay_alu instid0(VALU_DEP_4) | instskip(SKIP_1) | instid1(VALU_DEP_4)
	v_dual_fmac_f32 v130, v30, v34 :: v_dual_fmac_f32 v125, v9, v36
	v_cmp_eq_u32_e32 vcc_lo, 0, v1
	v_fmac_f32_e32 v124, v16, v37
	s_delay_alu instid0(VALU_DEP_4) | instskip(NEXT) | instid1(VALU_DEP_4)
	v_fmac_f32_e32 v15, v16, v36
	v_fma_f32 v6, -v31, v35, v130
	v_fmac_f32_e32 v129, v22, v34
	s_waitcnt vmcnt(0)
	v_dual_fmac_f32 v7, v8, v36 :: v_dual_fmac_f32 v124, v11, v38
	v_dual_fmac_f32 v126, v25, v36 :: v_dual_fmac_f32 v125, v8, v37
	v_fmac_f32_e32 v6, v32, v36
	v_fma_f32 v14, -v23, v35, v129
	s_delay_alu instid0(VALU_DEP_3) | instskip(SKIP_2) | instid1(VALU_DEP_4)
	v_dual_fmac_f32 v127, v33, v36 :: v_dual_fmac_f32 v126, v24, v37
	v_fma_f32 v15, -v17, v37, v15
	v_fma_f32 v7, -v9, v37, v7
	v_fmac_f32_e32 v14, v24, v36
	v_fma_f32 v6, -v33, v37, v6
	v_fmac_f32_e32 v127, v32, v37
	v_fmac_f32_e32 v15, v10, v38
	v_dual_fmac_f32 v125, v3, v38 :: v_dual_fmac_f32 v124, v10, v39
	v_fma_f32 v8, -v25, v37, v14
	v_fmac_f32_e32 v7, v2, v38
	v_fmac_f32_e32 v6, v26, v38
	s_delay_alu instid0(VALU_DEP_4)
	v_dual_fmac_f32 v126, v19, v38 :: v_dual_fmac_f32 v125, v2, v39
	v_fmac_f32_e32 v127, v27, v38
	v_fma_f32 v9, -v11, v39, v15
	v_fmac_f32_e32 v8, v18, v38
	v_fma_f32 v2, -v27, v39, v6
	v_fmac_f32_e32 v126, v18, v39
	v_fmac_f32_e32 v127, v26, v39
	;; [unrolled: 1-line block ×3, first 2 shown]
	v_fma_f32 v6, -v19, v39, v8
	v_fmac_f32_e32 v2, v28, v40
	v_fmac_f32_e32 v124, v13, v40
	v_fma_f32 v3, -v3, v39, v7
	v_fmac_f32_e32 v125, v5, v40
	v_fmac_f32_e32 v6, v20, v40
	;; [unrolled: 3-line block ×3, first 2 shown]
	v_dual_fmac_f32 v126, v21, v40 :: v_dual_fmac_f32 v125, v4, v41
	v_fmac_f32_e32 v127, v29, v40
	v_fma_f32 v130, -v29, v41, v2
	s_delay_alu instid0(VALU_DEP_4) | instskip(NEXT) | instid1(VALU_DEP_4)
	v_fma_f32 v132, -v5, v41, v3
	v_fmac_f32_e32 v126, v20, v41
	v_fma_f32 v129, -v21, v41, v6
	v_fmac_f32_e32 v127, v28, v41
	s_or_b32 s10, vcc_lo, s10
	s_delay_alu instid0(SALU_CYCLE_1)
	s_and_not1_b32 exec_lo, exec_lo, s10
	s_cbranch_execnz .LBB12_23
; %bb.24:
	s_or_b32 exec_lo, exec_lo, s10
.LBB12_25:
	s_delay_alu instid0(SALU_CYCLE_1) | instskip(NEXT) | instid1(SALU_CYCLE_1)
	s_or_b32 exec_lo, exec_lo, s7
	s_mov_b32 s7, exec_lo
	v_cmpx_lt_u32_e32 47, v0
	s_cbranch_execz .LBB12_29
; %bb.26:
	s_mov_b32 s10, 0
.LBB12_27:                              ; =>This Inner Loop Header: Depth=1
	v_ashrrev_i32_e32 v116, 31, v115
	v_add_co_u32 v117, vcc_lo, 0x1000, v113
	v_add_co_ci_u32_e32 v118, vcc_lo, 0, v114, vcc_lo
	s_delay_alu instid0(VALU_DEP_3)
	v_lshlrev_b64 v[138:139], 2, v[115:116]
	s_clause 0x1b
	global_load_b128 v[0:3], v[113:114], off offset:48
	global_load_b128 v[68:71], v[113:114], off offset:32
	;; [unrolled: 1-line block ×3, first 2 shown]
	global_load_b128 v[76:79], v[113:114], off
	global_load_b128 v[12:15], v[113:114], off offset:112
	global_load_b128 v[32:35], v[113:114], off offset:96
	;; [unrolled: 1-line block ×14, first 2 shown]
	global_load_b128 v[48:51], v[117:118], off
	global_load_b128 v[40:43], v[117:118], off offset:16
	global_load_b128 v[60:63], v[117:118], off offset:112
	;; [unrolled: 1-line block ×9, first 2 shown]
	v_add_co_u32 v138, vcc_lo, s8, v138
	v_add_co_ci_u32_e32 v139, vcc_lo, s9, v139, vcc_lo
	s_clause 0x3
	global_load_b32 v110, v[138:139], off
	global_load_b32 v116, v[138:139], off offset:64
	global_load_b32 v150, v[138:139], off offset:128
	;; [unrolled: 1-line block ×3, first 2 shown]
	s_waitcnt vmcnt(3)
	v_subrev_nc_u32_e32 v110, s12, v110
	s_waitcnt vmcnt(2)
	v_subrev_nc_u32_e32 v116, s12, v116
	s_delay_alu instid0(VALU_DEP_2) | instskip(NEXT) | instid1(VALU_DEP_1)
	v_lshlrev_b32_e32 v138, 2, v110
	v_ashrrev_i32_e32 v139, 31, v138
	s_delay_alu instid0(VALU_DEP_1) | instskip(SKIP_1) | instid1(VALU_DEP_1)
	v_lshlrev_b64 v[138:139], 3, v[138:139]
	s_waitcnt lgkmcnt(0)
	v_add_co_u32 v142, vcc_lo, s4, v138
	s_delay_alu instid0(VALU_DEP_2)
	v_add_co_ci_u32_e32 v143, vcc_lo, s5, v139, vcc_lo
	s_clause 0x1
	global_load_b128 v[138:141], v[142:143], off
	global_load_b128 v[142:145], v[142:143], off offset:16
	s_waitcnt vmcnt(1)
	v_fmac_f32_e32 v126, v33, v138
	v_fmac_f32_e32 v132, v68, v138
	;; [unrolled: 1-line block ×4, first 2 shown]
	s_delay_alu instid0(VALU_DEP_4) | instskip(NEXT) | instid1(VALU_DEP_3)
	v_fmac_f32_e32 v126, v32, v139
	v_dual_fmac_f32 v124, v77, v138 :: v_dual_fmac_f32 v125, v68, v139
	v_fma_f32 v69, -v69, v139, v132
	s_delay_alu instid0(VALU_DEP_3) | instskip(NEXT) | instid1(VALU_DEP_3)
	v_dual_fmac_f32 v127, v81, v138 :: v_dual_fmac_f32 v126, v35, v140
	v_fmac_f32_e32 v124, v76, v139
	v_fma_f32 v81, -v81, v139, v130
	s_delay_alu instid0(VALU_DEP_4) | instskip(SKIP_4) | instid1(VALU_DEP_4)
	v_fmac_f32_e32 v69, v70, v140
	v_fmac_f32_e32 v131, v76, v138
	v_dual_fmac_f32 v127, v80, v139 :: v_dual_fmac_f32 v126, v34, v141
	v_fmac_f32_e32 v124, v79, v140
	v_fmac_f32_e32 v81, v82, v140
	v_fma_f32 v77, -v77, v139, v131
	s_waitcnt vmcnt(0)
	v_dual_fmac_f32 v125, v71, v140 :: v_dual_fmac_f32 v126, v13, v142
	v_dual_fmac_f32 v124, v78, v141 :: v_dual_fmac_f32 v127, v83, v140
	s_delay_alu instid0(VALU_DEP_3) | instskip(NEXT) | instid1(VALU_DEP_3)
	v_fmac_f32_e32 v77, v78, v140
	v_fmac_f32_e32 v125, v70, v141
	v_fma_f32 v152, -v71, v141, v69
	global_load_b128 v[68:71], v[117:118], off offset:2144
	v_fma_f32 v153, -v83, v141, v81
	v_fma_f32 v110, -v79, v141, v77
	v_dual_fmac_f32 v125, v1, v142 :: v_dual_fmac_f32 v126, v12, v143
	v_fmac_f32_e32 v124, v5, v142
	global_load_b128 v[76:79], v[117:118], off offset:2160
	v_fmac_f32_e32 v127, v82, v141
	v_fmac_f32_e32 v125, v0, v143
	s_clause 0x1
	global_load_b128 v[80:83], v[117:118], off offset:2112
	global_load_b128 v[146:149], v[117:118], off offset:2128
	v_fmac_f32_e32 v124, v4, v143
	v_subrev_nc_u32_e32 v117, s12, v150
	v_subrev_nc_u32_e32 v118, s12, v151
	v_fmac_f32_e32 v125, v3, v144
	s_delay_alu instid0(VALU_DEP_4) | instskip(SKIP_1) | instid1(VALU_DEP_3)
	v_dual_fmac_f32 v129, v32, v138 :: v_dual_fmac_f32 v124, v7, v144
	v_lshlrev_b32_e32 v32, 2, v116
	v_dual_fmac_f32 v152, v0, v142 :: v_dual_fmac_f32 v125, v2, v145
	s_delay_alu instid0(VALU_DEP_3) | instskip(NEXT) | instid1(VALU_DEP_4)
	v_fma_f32 v33, -v33, v139, v129
	v_dual_fmac_f32 v124, v6, v145 :: v_dual_fmac_f32 v153, v20, v142
	s_delay_alu instid0(VALU_DEP_3) | instskip(NEXT) | instid1(VALU_DEP_3)
	v_fma_f32 v1, -v1, v143, v152
	v_dual_fmac_f32 v110, v4, v142 :: v_dual_fmac_f32 v33, v34, v140
	v_dual_fmac_f32 v127, v21, v142 :: v_dual_lshlrev_b32 v34, 2, v117
	v_fmac_f32_e32 v126, v15, v144
	s_delay_alu instid0(VALU_DEP_4) | instskip(NEXT) | instid1(VALU_DEP_4)
	v_fmac_f32_e32 v1, v2, v144
	v_fma_f32 v138, -v35, v141, v33
	v_ashrrev_i32_e32 v33, 31, v32
	v_ashrrev_i32_e32 v35, 31, v34
	v_fma_f32 v5, -v5, v143, v110
	v_lshlrev_b32_e32 v116, 2, v118
	v_fma_f32 v118, -v3, v145, v1
	v_lshlrev_b64 v[32:33], 3, v[32:33]
	v_lshlrev_b64 v[34:35], 3, v[34:35]
	v_fmac_f32_e32 v5, v6, v144
	v_ashrrev_i32_e32 v117, 31, v116
	v_fma_f32 v21, -v21, v143, v153
	v_dual_fmac_f32 v127, v20, v143 :: v_dual_fmac_f32 v126, v14, v145
	v_add_co_u32 v129, vcc_lo, s4, v32
	v_add_co_ci_u32_e32 v130, vcc_lo, s5, v33, vcc_lo
	v_add_co_u32 v131, vcc_lo, s4, v34
	v_add_co_ci_u32_e32 v132, vcc_lo, s5, v35, vcc_lo
	global_load_b128 v[32:35], v[129:130], off
	v_fma_f32 v110, -v7, v145, v5
	s_clause 0x2
	global_load_b128 v[4:7], v[129:130], off offset:16
	global_load_b128 v[0:3], v[131:132], off
	global_load_b128 v[129:132], v[131:132], off offset:16
	v_lshlrev_b64 v[116:117], 3, v[116:117]
	v_dual_fmac_f32 v21, v22, v144 :: v_dual_fmac_f32 v138, v12, v142
	v_add_nc_u32_e32 v115, 64, v115
	s_delay_alu instid0(VALU_DEP_3) | instskip(NEXT) | instid1(VALU_DEP_4)
	v_add_co_u32 v116, vcc_lo, s4, v116
	v_add_co_ci_u32_e32 v117, vcc_lo, s5, v117, vcc_lo
	s_delay_alu instid0(VALU_DEP_4) | instskip(SKIP_3) | instid1(VALU_DEP_3)
	v_fma_f32 v139, -v23, v145, v21
	v_fma_f32 v13, -v13, v143, v138
	v_add_co_u32 v113, vcc_lo, 0x2000, v113
	v_add_co_ci_u32_e32 v114, vcc_lo, 0, v114, vcc_lo
	v_fmac_f32_e32 v13, v14, v144
	s_delay_alu instid0(VALU_DEP_1)
	v_fma_f32 v138, -v15, v145, v13
	global_load_b128 v[12:15], v[116:117], off offset:16
	s_waitcnt vmcnt(4)
	v_fmac_f32_e32 v124, v29, v32
	v_fmac_f32_e32 v127, v23, v144
	;; [unrolled: 1-line block ×4, first 2 shown]
	s_delay_alu instid0(VALU_DEP_4) | instskip(NEXT) | instid1(VALU_DEP_4)
	v_dual_fmac_f32 v125, v25, v32 :: v_dual_fmac_f32 v124, v28, v33
	v_fmac_f32_e32 v127, v22, v145
	global_load_b128 v[20:23], v[116:117], off
	v_fmac_f32_e32 v139, v72, v32
	v_fma_f32 v29, -v29, v33, v110
	v_fmac_f32_e32 v124, v31, v34
	v_fmac_f32_e32 v118, v24, v32
	;; [unrolled: 1-line block ×5, first 2 shown]
	v_fma_f32 v24, -v73, v33, v139
	v_fmac_f32_e32 v127, v73, v32
	v_fma_f32 v25, -v25, v33, v118
	v_dual_fmac_f32 v138, v64, v32 :: v_dual_fmac_f32 v125, v27, v34
	v_fmac_f32_e32 v124, v30, v35
	v_fmac_f32_e32 v24, v74, v34
	s_delay_alu instid0(VALU_DEP_4) | instskip(NEXT) | instid1(VALU_DEP_4)
	v_fmac_f32_e32 v25, v26, v34
	v_fma_f32 v28, -v65, v33, v138
	v_dual_fmac_f32 v127, v72, v33 :: v_dual_fmac_f32 v126, v67, v34
	v_fmac_f32_e32 v125, v26, v35
	s_delay_alu instid0(VALU_DEP_4) | instskip(NEXT) | instid1(VALU_DEP_4)
	v_fma_f32 v25, -v27, v35, v25
	v_fmac_f32_e32 v28, v66, v34
	s_delay_alu instid0(VALU_DEP_4)
	v_dual_fmac_f32 v127, v75, v34 :: v_dual_fmac_f32 v126, v66, v35
	s_waitcnt vmcnt(4)
	v_fmac_f32_e32 v124, v17, v4
	v_fma_f32 v29, -v31, v35, v29
	v_fma_f32 v24, -v75, v35, v24
	v_fmac_f32_e32 v127, v74, v35
	s_delay_alu instid0(VALU_DEP_4) | instskip(SKIP_3) | instid1(VALU_DEP_4)
	v_dual_fmac_f32 v125, v9, v4 :: v_dual_fmac_f32 v124, v16, v5
	v_fmac_f32_e32 v25, v8, v4
	v_fma_f32 v26, -v67, v35, v28
	v_fmac_f32_e32 v29, v16, v4
	v_dual_fmac_f32 v126, v53, v4 :: v_dual_fmac_f32 v125, v8, v5
	v_dual_fmac_f32 v127, v57, v4 :: v_dual_fmac_f32 v124, v19, v6
	v_fma_f32 v9, -v9, v5, v25
	s_delay_alu instid0(VALU_DEP_3) | instskip(SKIP_4) | instid1(VALU_DEP_4)
	v_fmac_f32_e32 v126, v52, v5
	v_fmac_f32_e32 v24, v56, v4
	v_dual_fmac_f32 v26, v52, v4 :: v_dual_fmac_f32 v125, v11, v6
	v_fma_f32 v4, -v17, v5, v29
	v_fmac_f32_e32 v9, v10, v6
	v_fma_f32 v8, -v57, v5, v24
	v_fmac_f32_e32 v127, v56, v5
	;; [unrolled: 2-line block ×3, first 2 shown]
	v_dual_fmac_f32 v126, v55, v6 :: v_dual_fmac_f32 v125, v10, v7
	v_fmac_f32_e32 v8, v58, v6
	v_dual_fmac_f32 v127, v59, v6 :: v_dual_fmac_f32 v124, v18, v7
	s_delay_alu instid0(VALU_DEP_4)
	v_fma_f32 v4, -v19, v7, v4
	v_fma_f32 v5, -v11, v7, v9
	v_fmac_f32_e32 v16, v54, v6
	v_fma_f32 v6, -v59, v7, v8
	s_waitcnt vmcnt(3)
	v_dual_fmac_f32 v127, v58, v7 :: v_dual_fmac_f32 v4, v48, v0
	v_dual_fmac_f32 v126, v54, v7 :: v_dual_fmac_f32 v125, v45, v0
	v_fmac_f32_e32 v124, v49, v0
	v_fmac_f32_e32 v5, v44, v0
	v_fma_f32 v8, -v55, v7, v16
	s_delay_alu instid0(VALU_DEP_4) | instskip(SKIP_2) | instid1(VALU_DEP_4)
	v_dual_fmac_f32 v126, v105, v0 :: v_dual_fmac_f32 v125, v44, v1
	v_fmac_f32_e32 v6, v134, v0
	v_dual_fmac_f32 v127, v135, v0 :: v_dual_fmac_f32 v124, v48, v1
	v_fmac_f32_e32 v8, v104, v0
	v_fma_f32 v0, -v49, v1, v4
	v_fma_f32 v4, -v45, v1, v5
	s_delay_alu instid0(VALU_DEP_4)
	v_fmac_f32_e32 v127, v134, v1
	v_fmac_f32_e32 v125, v47, v2
	v_fma_f32 v5, -v135, v1, v6
	v_fma_f32 v6, -v105, v1, v8
	v_fmac_f32_e32 v4, v46, v2
	v_fmac_f32_e32 v127, v137, v2
	;; [unrolled: 1-line block ×5, first 2 shown]
	v_dual_fmac_f32 v124, v51, v2 :: v_dual_fmac_f32 v125, v46, v3
	v_fmac_f32_e32 v6, v106, v2
	v_fma_f32 v1, -v47, v3, v4
	s_delay_alu instid0(VALU_DEP_4)
	v_dual_fmac_f32 v127, v136, v3 :: v_dual_fmac_f32 v126, v107, v2
	v_fma_f32 v0, -v51, v3, v0
	s_waitcnt vmcnt(2)
	v_fmac_f32_e32 v125, v37, v129
	v_fma_f32 v4, -v107, v3, v6
	v_fmac_f32_e32 v127, v97, v129
	v_dual_fmac_f32 v1, v36, v129 :: v_dual_fmac_f32 v124, v50, v3
	s_delay_alu instid0(VALU_DEP_4) | instskip(SKIP_1) | instid1(VALU_DEP_4)
	v_fmac_f32_e32 v125, v36, v130
	v_fma_f32 v2, -v137, v3, v5
	v_dual_fmac_f32 v126, v106, v3 :: v_dual_fmac_f32 v127, v96, v130
	v_fmac_f32_e32 v4, v60, v129
	v_fma_f32 v1, -v37, v130, v1
	v_fmac_f32_e32 v0, v40, v129
	v_dual_fmac_f32 v124, v41, v129 :: v_dual_fmac_f32 v125, v39, v131
	v_dual_fmac_f32 v2, v96, v129 :: v_dual_fmac_f32 v127, v99, v131
	v_fmac_f32_e32 v126, v61, v129
	v_fma_f32 v3, -v61, v130, v4
	s_delay_alu instid0(VALU_DEP_4)
	v_fmac_f32_e32 v125, v38, v132
	v_fmac_f32_e32 v1, v38, v131
	v_fma_f32 v0, -v41, v130, v0
	v_dual_fmac_f32 v124, v40, v130 :: v_dual_fmac_f32 v127, v98, v132
	v_fma_f32 v2, -v97, v130, v2
	v_dual_fmac_f32 v126, v60, v130 :: v_dual_fmac_f32 v3, v62, v131
	v_fma_f32 v1, -v39, v132, v1
	v_fmac_f32_e32 v0, v42, v131
	v_fmac_f32_e32 v124, v43, v131
	v_cmp_ge_i32_e32 vcc_lo, v115, v128
	v_fma_f32 v3, -v63, v132, v3
	v_fmac_f32_e32 v2, v98, v131
	s_or_b32 s10, vcc_lo, s10
	s_waitcnt vmcnt(0)
	s_delay_alu instid0(VALU_DEP_2)
	v_fmac_f32_e32 v3, v68, v20
	v_fmac_f32_e32 v1, v92, v20
	v_fma_f32 v0, -v43, v132, v0
	v_dual_fmac_f32 v125, v93, v20 :: v_dual_fmac_f32 v126, v63, v131
	v_fmac_f32_e32 v127, v81, v20
	v_fmac_f32_e32 v124, v42, v132
	v_fma_f32 v2, -v99, v132, v2
	v_fma_f32 v1, -v93, v21, v1
	v_fmac_f32_e32 v0, v100, v20
	v_dual_fmac_f32 v125, v92, v21 :: v_dual_fmac_f32 v126, v62, v132
	v_dual_fmac_f32 v127, v80, v21 :: v_dual_fmac_f32 v124, v101, v20
	v_fma_f32 v3, -v69, v21, v3
	v_dual_fmac_f32 v2, v80, v20 :: v_dual_fmac_f32 v1, v94, v22
	v_fma_f32 v0, -v101, v21, v0
	v_fmac_f32_e32 v125, v95, v22
	s_delay_alu instid0(VALU_DEP_4)
	v_dual_fmac_f32 v3, v70, v22 :: v_dual_fmac_f32 v126, v69, v20
	v_dual_fmac_f32 v127, v83, v22 :: v_dual_fmac_f32 v124, v100, v21
	v_fma_f32 v2, -v81, v21, v2
	v_fma_f32 v1, -v95, v23, v1
	v_fmac_f32_e32 v0, v102, v22
	v_dual_fmac_f32 v125, v94, v23 :: v_dual_fmac_f32 v126, v68, v21
	v_fmac_f32_e32 v127, v82, v23
	v_fmac_f32_e32 v2, v82, v22
	v_fma_f32 v3, -v71, v23, v3
	v_dual_fmac_f32 v124, v103, v22 :: v_dual_fmac_f32 v1, v84, v12
	v_fma_f32 v0, -v103, v23, v0
	v_fmac_f32_e32 v125, v85, v12
	s_delay_alu instid0(VALU_DEP_4) | instskip(SKIP_2) | instid1(VALU_DEP_4)
	v_dual_fmac_f32 v3, v76, v12 :: v_dual_fmac_f32 v126, v71, v22
	v_fmac_f32_e32 v127, v147, v12
	v_fma_f32 v2, -v83, v23, v2
	v_dual_fmac_f32 v125, v84, v13 :: v_dual_fmac_f32 v124, v102, v23
	s_delay_alu instid0(VALU_DEP_3)
	v_dual_fmac_f32 v0, v88, v12 :: v_dual_fmac_f32 v127, v146, v13
	v_fmac_f32_e32 v126, v70, v23
	v_fma_f32 v1, -v85, v13, v1
	v_fma_f32 v3, -v77, v13, v3
	v_fmac_f32_e32 v125, v87, v14
	v_fmac_f32_e32 v127, v149, v14
	s_delay_alu instid0(VALU_DEP_4) | instskip(SKIP_3) | instid1(VALU_DEP_4)
	v_dual_fmac_f32 v124, v89, v12 :: v_dual_fmac_f32 v1, v86, v14
	v_fmac_f32_e32 v2, v146, v12
	v_dual_fmac_f32 v126, v77, v12 :: v_dual_fmac_f32 v3, v78, v14
	v_fma_f32 v0, -v89, v13, v0
	v_dual_fmac_f32 v124, v88, v13 :: v_dual_fmac_f32 v125, v86, v15
	s_delay_alu instid0(VALU_DEP_3)
	v_fmac_f32_e32 v126, v76, v13
	v_fmac_f32_e32 v127, v148, v15
	v_fma_f32 v2, -v147, v13, v2
	v_fmac_f32_e32 v0, v90, v14
	v_fmac_f32_e32 v124, v91, v14
	;; [unrolled: 1-line block ×3, first 2 shown]
	v_fma_f32 v132, -v87, v15, v1
	v_fmac_f32_e32 v2, v148, v14
	v_fma_f32 v131, -v91, v15, v0
	v_fmac_f32_e32 v124, v90, v15
	;; [unrolled: 2-line block ×3, first 2 shown]
	v_fma_f32 v130, -v149, v15, v2
	s_and_not1_b32 exec_lo, exec_lo, s10
	s_cbranch_execnz .LBB12_27
; %bb.28:
	s_or_b32 exec_lo, exec_lo, s10
.LBB12_29:
	s_delay_alu instid0(SALU_CYCLE_1)
	s_or_b32 exec_lo, exec_lo, s7
.LBB12_30:
	s_delay_alu instid0(SALU_CYCLE_1) | instskip(NEXT) | instid1(SALU_CYCLE_1)
	s_or_b32 exec_lo, exec_lo, s6
	s_and_not1_b32 vcc_lo, exec_lo, s3
	s_cbranch_vccz .LBB12_32
	s_branch .LBB12_43
.LBB12_31:
                                        ; implicit-def: $vgpr124
                                        ; implicit-def: $vgpr131
                                        ; implicit-def: $vgpr129
                                        ; implicit-def: $vgpr126
                                        ; implicit-def: $vgpr130
                                        ; implicit-def: $vgpr127
                                        ; implicit-def: $vgpr132
                                        ; implicit-def: $vgpr125
.LBB12_32:
	v_dual_mov_b32 v124, 0 :: v_dual_mov_b32 v131, 0
	v_dual_mov_b32 v129, 0 :: v_dual_mov_b32 v126, 0
	;; [unrolled: 1-line block ×4, first 2 shown]
	s_and_saveexec_b32 s3, s2
	s_cbranch_execz .LBB12_42
; %bb.33:
	v_dual_mov_b32 v125, 0 :: v_dual_add_nc_u32 v0, v133, v123
	v_not_b32_e32 v1, v133
	v_dual_mov_b32 v126, 0 :: v_dual_mov_b32 v129, 0
	s_delay_alu instid0(VALU_DEP_3) | instskip(SKIP_3) | instid1(VALU_DEP_2)
	v_subrev_nc_u32_e32 v0, s12, v0
	v_dual_mov_b32 v131, 0 :: v_dual_mov_b32 v124, 0
	s_mov_b32 s6, 0
	s_mov_b32 s2, exec_lo
	v_dual_mov_b32 v127, 0 :: v_dual_add_nc_u32 v0, 16, v0
	v_mov_b32_e32 v132, 0
	v_mov_b32_e32 v130, 0
	s_delay_alu instid0(VALU_DEP_3) | instskip(NEXT) | instid1(VALU_DEP_1)
	v_max_i32_e32 v0, v0, v128
	v_add3_u32 v0, v0, s12, v1
	s_delay_alu instid0(VALU_DEP_1) | instskip(NEXT) | instid1(VALU_DEP_1)
	v_sub_nc_u32_e32 v0, v0, v123
	v_lshrrev_b32_e32 v1, 4, v0
	s_delay_alu instid0(VALU_DEP_1) | instskip(NEXT) | instid1(VALU_DEP_1)
	v_add_nc_u32_e32 v1, 1, v1
	v_and_b32_e32 v1, 3, v1
	s_delay_alu instid0(VALU_DEP_1)
	v_cmpx_ne_u32_e32 0, v1
	s_cbranch_execz .LBB12_37
; %bb.34:
	v_dual_mov_b32 v124, 0 :: v_dual_lshlrev_b32 v1, 7, v1
	v_dual_mov_b32 v131, 0 :: v_dual_mov_b32 v126, 0
	v_dual_mov_b32 v129, 0 :: v_dual_mov_b32 v130, 0
	;; [unrolled: 1-line block ×3, first 2 shown]
	v_mov_b32_e32 v125, 0
.LBB12_35:                              ; =>This Inner Loop Header: Depth=1
	v_ashrrev_i32_e32 v110, 31, v109
	s_delay_alu instid0(VALU_DEP_1) | instskip(NEXT) | instid1(VALU_DEP_1)
	v_lshlrev_b64 v[2:3], 2, v[109:110]
	v_add_co_u32 v2, vcc_lo, s8, v2
	s_delay_alu instid0(VALU_DEP_2)
	v_add_co_ci_u32_e32 v3, vcc_lo, s9, v3, vcc_lo
	global_load_b32 v14, v[2:3], off
	s_clause 0x2
	global_load_b128 v[2:5], v[111:112], off offset:32
	global_load_b128 v[6:9], v[111:112], off offset:16
	global_load_b128 v[10:13], v[111:112], off
	s_waitcnt vmcnt(3)
	v_subrev_nc_u32_e32 v14, s12, v14
	s_delay_alu instid0(VALU_DEP_1) | instskip(NEXT) | instid1(VALU_DEP_1)
	v_lshlrev_b32_e32 v14, 2, v14
	v_ashrrev_i32_e32 v15, 31, v14
	s_delay_alu instid0(VALU_DEP_1) | instskip(SKIP_1) | instid1(VALU_DEP_1)
	v_lshlrev_b64 v[14:15], 3, v[14:15]
	s_waitcnt lgkmcnt(0)
	v_add_co_u32 v18, vcc_lo, s4, v14
	s_delay_alu instid0(VALU_DEP_2)
	v_add_co_ci_u32_e32 v19, vcc_lo, s5, v15, vcc_lo
	s_clause 0x1
	global_load_b128 v[14:17], v[18:19], off
	global_load_b128 v[18:21], v[18:19], off offset:16
	s_clause 0x4
	global_load_b128 v[22:25], v[111:112], off offset:48
	global_load_b128 v[26:29], v[111:112], off offset:64
	;; [unrolled: 1-line block ×5, first 2 shown]
	v_add_nc_u32_e32 v1, 0xffffff80, v1
	v_add_nc_u32_e32 v109, 16, v109
	v_add_co_u32 v111, vcc_lo, 0x800, v111
	v_add_co_ci_u32_e32 v112, vcc_lo, 0, v112, vcc_lo
	s_waitcnt vmcnt(6)
	v_fmac_f32_e32 v132, v12, v14
	v_fmac_f32_e32 v124, v11, v14
	;; [unrolled: 1-line block ×5, first 2 shown]
	v_cmp_eq_u32_e32 vcc_lo, 0, v1
	v_dual_fmac_f32 v124, v10, v15 :: v_dual_fmac_f32 v129, v8, v14
	v_fma_f32 v10, -v13, v15, v132
	v_fmac_f32_e32 v127, v7, v14
	v_dual_fmac_f32 v125, v12, v15 :: v_dual_fmac_f32 v130, v6, v14
	s_delay_alu instid0(VALU_DEP_4) | instskip(NEXT) | instid1(VALU_DEP_3)
	v_fmac_f32_e32 v124, v3, v16
	v_dual_fmac_f32 v10, v4, v16 :: v_dual_fmac_f32 v127, v6, v15
	s_delay_alu instid0(VALU_DEP_3) | instskip(NEXT) | instid1(VALU_DEP_4)
	v_fmac_f32_e32 v125, v5, v16
	v_fma_f32 v7, -v7, v15, v130
	v_fma_f32 v6, -v9, v15, v129
	v_fmac_f32_e32 v126, v8, v15
	v_fma_f32 v11, -v11, v15, v131
	s_waitcnt vmcnt(4)
	v_dual_fmac_f32 v127, v23, v16 :: v_dual_fmac_f32 v124, v2, v17
	v_fmac_f32_e32 v7, v22, v16
	v_fmac_f32_e32 v6, v24, v16
	v_dual_fmac_f32 v126, v25, v16 :: v_dual_fmac_f32 v125, v4, v17
	v_fmac_f32_e32 v11, v2, v16
	v_fma_f32 v2, -v5, v17, v10
	v_fmac_f32_e32 v127, v22, v17
	s_delay_alu instid0(VALU_DEP_4)
	v_fmac_f32_e32 v126, v24, v17
	v_fma_f32 v5, -v25, v17, v6
	v_fma_f32 v3, -v3, v17, v11
	s_waitcnt vmcnt(3)
	v_fmac_f32_e32 v124, v27, v18
	v_fma_f32 v4, -v23, v17, v7
	v_fmac_f32_e32 v125, v29, v18
	s_waitcnt vmcnt(2)
	v_fmac_f32_e32 v127, v31, v18
	v_fmac_f32_e32 v2, v28, v18
	;; [unrolled: 1-line block ×5, first 2 shown]
	v_dual_fmac_f32 v4, v30, v18 :: v_dual_fmac_f32 v125, v28, v19
	v_fmac_f32_e32 v5, v32, v18
	s_waitcnt vmcnt(1)
	s_delay_alu instid0(VALU_DEP_3)
	v_dual_fmac_f32 v127, v30, v19 :: v_dual_fmac_f32 v124, v35, v20
	v_fma_f32 v2, -v29, v19, v2
	v_fma_f32 v4, -v31, v19, v4
	;; [unrolled: 1-line block ×3, first 2 shown]
	v_fmac_f32_e32 v126, v32, v19
	v_fma_f32 v3, -v27, v19, v3
	v_fmac_f32_e32 v2, v36, v20
	v_dual_fmac_f32 v125, v37, v20 :: v_dual_fmac_f32 v124, v34, v21
	s_waitcnt vmcnt(0)
	v_fmac_f32_e32 v4, v38, v20
	v_fmac_f32_e32 v3, v34, v20
	;; [unrolled: 1-line block ×3, first 2 shown]
	v_dual_fmac_f32 v125, v36, v21 :: v_dual_fmac_f32 v126, v41, v20
	v_fmac_f32_e32 v127, v39, v20
	s_delay_alu instid0(VALU_DEP_4)
	v_fma_f32 v131, -v35, v21, v3
	v_fma_f32 v132, -v37, v21, v2
	;; [unrolled: 1-line block ×3, first 2 shown]
	v_fmac_f32_e32 v126, v40, v21
	v_fmac_f32_e32 v127, v38, v21
	v_fma_f32 v129, -v41, v21, v5
	s_or_b32 s6, vcc_lo, s6
	s_delay_alu instid0(SALU_CYCLE_1)
	s_and_not1_b32 exec_lo, exec_lo, s6
	s_cbranch_execnz .LBB12_35
; %bb.36:
	s_or_b32 exec_lo, exec_lo, s6
.LBB12_37:
	s_delay_alu instid0(SALU_CYCLE_1) | instskip(NEXT) | instid1(SALU_CYCLE_1)
	s_or_b32 exec_lo, exec_lo, s2
	s_mov_b32 s2, exec_lo
	v_cmpx_lt_u32_e32 47, v0
	s_cbranch_execz .LBB12_41
; %bb.38:
	s_mov_b32 s6, 0
.LBB12_39:                              ; =>This Inner Loop Header: Depth=1
	v_ashrrev_i32_e32 v110, 31, v109
	v_add_co_u32 v56, vcc_lo, 0x1000, v111
	v_add_co_ci_u32_e32 v57, vcc_lo, 0, v112, vcc_lo
	s_delay_alu instid0(VALU_DEP_3)
	v_lshlrev_b64 v[90:91], 2, v[109:110]
	s_clause 0x15
	global_load_b128 v[44:47], v[111:112], off offset:48
	global_load_b128 v[48:51], v[111:112], off offset:32
	;; [unrolled: 1-line block ×3, first 2 shown]
	global_load_b128 v[62:65], v[111:112], off
	global_load_b128 v[0:3], v[111:112], off offset:112
	global_load_b128 v[24:27], v[111:112], off offset:96
	;; [unrolled: 1-line block ×14, first 2 shown]
	global_load_b128 v[74:77], v[56:57], off
	global_load_b128 v[78:81], v[56:57], off offset:16
	global_load_b128 v[82:85], v[56:57], off offset:112
	;; [unrolled: 1-line block ×3, first 2 shown]
	v_add_nc_u32_e32 v109, 64, v109
	v_add_co_u32 v90, vcc_lo, s8, v90
	v_add_co_ci_u32_e32 v91, vcc_lo, s9, v91, vcc_lo
	s_clause 0x3
	global_load_b32 v92, v[90:91], off
	global_load_b32 v98, v[90:91], off offset:64
	global_load_b32 v99, v[90:91], off offset:128
	;; [unrolled: 1-line block ×3, first 2 shown]
	s_waitcnt vmcnt(3)
	v_subrev_nc_u32_e32 v90, s12, v92
	s_delay_alu instid0(VALU_DEP_1) | instskip(NEXT) | instid1(VALU_DEP_1)
	v_lshlrev_b32_e32 v90, 2, v90
	v_ashrrev_i32_e32 v91, 31, v90
	s_delay_alu instid0(VALU_DEP_1) | instskip(SKIP_1) | instid1(VALU_DEP_1)
	v_lshlrev_b64 v[90:91], 3, v[90:91]
	s_waitcnt lgkmcnt(0)
	v_add_co_u32 v94, vcc_lo, s4, v90
	s_delay_alu instid0(VALU_DEP_2)
	v_add_co_ci_u32_e32 v95, vcc_lo, s5, v91, vcc_lo
	s_clause 0x1
	global_load_b128 v[90:93], v[94:95], off
	global_load_b128 v[94:97], v[94:95], off offset:16
	s_waitcnt vmcnt(1)
	v_fmac_f32_e32 v127, v59, v90
	s_delay_alu instid0(VALU_DEP_1) | instskip(NEXT) | instid1(VALU_DEP_1)
	v_dual_fmac_f32 v124, v63, v90 :: v_dual_fmac_f32 v127, v58, v91
	v_dual_fmac_f32 v125, v65, v90 :: v_dual_fmac_f32 v124, v62, v91
	s_delay_alu instid0(VALU_DEP_2) | instskip(NEXT) | instid1(VALU_DEP_2)
	v_fmac_f32_e32 v127, v45, v92
	v_fmac_f32_e32 v125, v64, v91
	;; [unrolled: 1-line block ×3, first 2 shown]
	s_delay_alu instid0(VALU_DEP_3) | instskip(NEXT) | instid1(VALU_DEP_3)
	v_dual_fmac_f32 v124, v49, v92 :: v_dual_fmac_f32 v127, v44, v93
	v_dual_fmac_f32 v125, v51, v92 :: v_dual_fmac_f32 v126, v61, v90
	s_delay_alu instid0(VALU_DEP_3) | instskip(SKIP_1) | instid1(VALU_DEP_4)
	v_fma_f32 v102, -v65, v91, v132
	v_fmac_f32_e32 v129, v60, v90
	v_fmac_f32_e32 v124, v48, v93
	s_delay_alu instid0(VALU_DEP_4)
	v_fmac_f32_e32 v125, v50, v93
	v_dual_fmac_f32 v131, v62, v90 :: v_dual_fmac_f32 v126, v60, v91
	v_fmac_f32_e32 v102, v50, v92
	v_fma_f32 v103, -v61, v91, v129
	s_waitcnt vmcnt(0)
	v_fmac_f32_e32 v125, v69, v94
	v_fma_f32 v101, -v63, v91, v131
	v_fmac_f32_e32 v130, v58, v90
	v_fmac_f32_e32 v126, v47, v92
	v_dual_fmac_f32 v103, v46, v92 :: v_dual_fmac_f32 v124, v67, v94
	s_delay_alu instid0(VALU_DEP_4) | instskip(NEXT) | instid1(VALU_DEP_4)
	v_fmac_f32_e32 v101, v48, v92
	v_fma_f32 v90, -v59, v91, v130
	s_delay_alu instid0(VALU_DEP_4) | instskip(SKIP_1) | instid1(VALU_DEP_4)
	v_dual_fmac_f32 v126, v46, v93 :: v_dual_fmac_f32 v125, v68, v95
	v_fma_f32 v102, -v51, v93, v102
	v_fma_f32 v101, -v49, v93, v101
	s_delay_alu instid0(VALU_DEP_4) | instskip(NEXT) | instid1(VALU_DEP_4)
	v_fmac_f32_e32 v90, v44, v92
	v_fmac_f32_e32 v126, v55, v94
	v_fma_f32 v103, -v47, v93, v103
	v_dual_fmac_f32 v124, v66, v95 :: v_dual_fmac_f32 v127, v53, v94
	v_fmac_f32_e32 v101, v66, v94
	v_fma_f32 v104, -v45, v93, v90
	v_dual_fmac_f32 v102, v68, v94 :: v_dual_fmac_f32 v125, v27, v96
	v_fmac_f32_e32 v103, v54, v94
	s_delay_alu instid0(VALU_DEP_4) | instskip(SKIP_1) | instid1(VALU_DEP_4)
	v_fma_f32 v101, -v67, v95, v101
	v_fmac_f32_e32 v126, v54, v95
	v_dual_fmac_f32 v104, v52, v94 :: v_dual_fmac_f32 v125, v26, v97
	v_subrev_nc_u32_e32 v94, s12, v98
	v_fmac_f32_e32 v127, v52, v95
	v_fmac_f32_e32 v101, v24, v96
	;; [unrolled: 1-line block ×3, first 2 shown]
	v_fma_f32 v102, -v69, v95, v102
	v_fma_f32 v104, -v53, v95, v104
	;; [unrolled: 1-line block ×3, first 2 shown]
	v_subrev_nc_u32_e32 v95, s12, v99
	v_lshlrev_b32_e32 v94, 2, v94
	v_subrev_nc_u32_e32 v99, s12, v100
	v_dual_fmac_f32 v127, v1, v96 :: v_dual_fmac_f32 v126, v2, v97
	v_fmac_f32_e32 v124, v25, v96
	v_lshlrev_b32_e32 v98, 2, v95
	v_fmac_f32_e32 v102, v26, v96
	v_ashrrev_i32_e32 v95, 31, v94
	v_fma_f32 v105, -v25, v97, v101
	v_fmac_f32_e32 v127, v0, v97
	v_dual_fmac_f32 v124, v24, v97 :: v_dual_fmac_f32 v103, v2, v96
	v_lshlrev_b32_e32 v24, 2, v99
	v_ashrrev_i32_e32 v99, 31, v98
	v_fma_f32 v102, -v27, v97, v102
	v_lshlrev_b64 v[26:27], 3, v[94:95]
	v_fmac_f32_e32 v104, v0, v96
	v_ashrrev_i32_e32 v25, 31, v24
	v_lshlrev_b64 v[94:95], 3, v[98:99]
	s_clause 0x1
	global_load_b128 v[62:65], v[56:57], off offset:80
	global_load_b128 v[58:61], v[56:57], off offset:64
	v_add_co_u32 v26, vcc_lo, s4, v26
	v_lshlrev_b64 v[24:25], 3, v[24:25]
	v_add_co_ci_u32_e32 v27, vcc_lo, s5, v27, vcc_lo
	v_add_co_u32 v98, vcc_lo, s4, v94
	v_add_co_ci_u32_e32 v99, vcc_lo, s5, v95, vcc_lo
	s_delay_alu instid0(VALU_DEP_4)
	v_add_co_u32 v100, vcc_lo, s4, v24
	s_clause 0x4
	global_load_b128 v[48:51], v[56:57], off offset:2096
	global_load_b128 v[44:47], v[56:57], off offset:2080
	;; [unrolled: 1-line block ×5, first 2 shown]
	v_add_co_ci_u32_e32 v101, vcc_lo, s5, v25, vcc_lo
	v_fma_f32 v104, -v1, v97, v104
	v_fma_f32 v103, -v3, v97, v103
	s_clause 0x2
	global_load_b128 v[0:3], v[26:27], off
	global_load_b128 v[24:27], v[26:27], off offset:16
	global_load_b128 v[94:97], v[98:99], off
	v_add_co_u32 v111, vcc_lo, 0x2000, v111
	v_add_co_ci_u32_e32 v112, vcc_lo, 0, v112, vcc_lo
	v_cmp_ge_i32_e32 vcc_lo, v109, v128
	s_or_b32 s6, vcc_lo, s6
	s_waitcnt vmcnt(2)
	v_fmac_f32_e32 v125, v39, v0
	v_fmac_f32_e32 v105, v36, v0
	s_delay_alu instid0(VALU_DEP_2) | instskip(NEXT) | instid1(VALU_DEP_2)
	v_dual_fmac_f32 v125, v38, v1 :: v_dual_fmac_f32 v124, v37, v0
	v_fma_f32 v105, -v37, v1, v105
	s_delay_alu instid0(VALU_DEP_2) | instskip(SKIP_2) | instid1(VALU_DEP_4)
	v_dual_fmac_f32 v125, v15, v2 :: v_dual_fmac_f32 v124, v36, v1
	v_fmac_f32_e32 v103, v30, v0
	v_fmac_f32_e32 v104, v28, v0
	;; [unrolled: 1-line block ×3, first 2 shown]
	s_delay_alu instid0(VALU_DEP_4) | instskip(NEXT) | instid1(VALU_DEP_4)
	v_dual_fmac_f32 v125, v14, v3 :: v_dual_fmac_f32 v124, v13, v2
	v_fma_f32 v103, -v31, v1, v103
	v_fmac_f32_e32 v126, v31, v0
	s_waitcnt vmcnt(1)
	s_delay_alu instid0(VALU_DEP_3) | instskip(NEXT) | instid1(VALU_DEP_3)
	v_dual_fmac_f32 v125, v43, v24 :: v_dual_fmac_f32 v124, v12, v3
	v_fmac_f32_e32 v103, v6, v2
	s_delay_alu instid0(VALU_DEP_3) | instskip(NEXT) | instid1(VALU_DEP_3)
	v_dual_fmac_f32 v127, v29, v0 :: v_dual_fmac_f32 v126, v30, v1
	v_fmac_f32_e32 v125, v42, v25
	s_delay_alu instid0(VALU_DEP_3) | instskip(NEXT) | instid1(VALU_DEP_3)
	v_fma_f32 v103, -v7, v3, v103
	v_dual_fmac_f32 v127, v28, v1 :: v_dual_fmac_f32 v102, v38, v0
	v_fma_f32 v0, -v29, v1, v104
	global_load_b128 v[28:31], v[100:101], off
	v_fma_f32 v104, -v13, v3, v105
	v_fmac_f32_e32 v127, v5, v2
	v_fma_f32 v102, -v39, v1, v102
	global_load_b128 v[36:39], v[98:99], off offset:16
	v_fmac_f32_e32 v0, v4, v2
	v_fmac_f32_e32 v104, v40, v24
	v_dual_fmac_f32 v127, v4, v3 :: v_dual_fmac_f32 v102, v14, v2
	v_fmac_f32_e32 v125, v23, v26
	s_delay_alu instid0(VALU_DEP_4) | instskip(NEXT) | instid1(VALU_DEP_3)
	v_fma_f32 v105, -v5, v3, v0
	v_dual_fmac_f32 v126, v7, v2 :: v_dual_fmac_f32 v127, v33, v24
	s_delay_alu instid0(VALU_DEP_4)
	v_fma_f32 v102, -v15, v3, v102
	global_load_b128 v[12:15], v[56:57], off offset:2128
	global_load_b128 v[98:101], v[100:101], off offset:16
	v_dual_fmac_f32 v105, v32, v24 :: v_dual_fmac_f32 v126, v6, v3
	s_clause 0x1
	global_load_b128 v[0:3], v[56:57], off offset:2144
	global_load_b128 v[4:7], v[56:57], off offset:2160
	v_dual_fmac_f32 v124, v41, v24 :: v_dual_fmac_f32 v127, v32, v25
	v_fma_f32 v33, -v33, v25, v105
	v_fmac_f32_e32 v126, v35, v24
	s_delay_alu instid0(VALU_DEP_3) | instskip(NEXT) | instid1(VALU_DEP_4)
	v_dual_fmac_f32 v103, v34, v24 :: v_dual_fmac_f32 v124, v40, v25
	v_fmac_f32_e32 v127, v17, v26
	s_delay_alu instid0(VALU_DEP_3) | instskip(SKIP_2) | instid1(VALU_DEP_4)
	v_dual_fmac_f32 v33, v16, v26 :: v_dual_fmac_f32 v126, v34, v25
	v_fmac_f32_e32 v102, v42, v24
	v_fma_f32 v24, -v41, v25, v104
	v_dual_fmac_f32 v124, v21, v26 :: v_dual_fmac_f32 v127, v16, v27
	v_fmac_f32_e32 v125, v22, v27
	s_delay_alu instid0(VALU_DEP_4) | instskip(NEXT) | instid1(VALU_DEP_4)
	v_fma_f32 v40, -v43, v25, v102
	v_fmac_f32_e32 v24, v20, v26
	v_fma_f32 v32, -v35, v25, v103
	s_waitcnt vmcnt(6)
	v_fmac_f32_e32 v127, v79, v94
	v_fmac_f32_e32 v126, v19, v26
	;; [unrolled: 1-line block ×4, first 2 shown]
	v_fma_f32 v21, -v21, v27, v24
	v_fmac_f32_e32 v127, v78, v95
	v_fmac_f32_e32 v126, v18, v27
	;; [unrolled: 1-line block ×5, first 2 shown]
	v_fma_f32 v20, -v23, v27, v40
	v_fmac_f32_e32 v32, v18, v26
	v_fma_f32 v17, -v17, v27, v33
	v_dual_fmac_f32 v124, v75, v94 :: v_dual_fmac_f32 v125, v73, v96
	s_delay_alu instid0(VALU_DEP_4) | instskip(NEXT) | instid1(VALU_DEP_4)
	v_dual_fmac_f32 v20, v76, v94 :: v_dual_fmac_f32 v127, v9, v96
	v_fma_f32 v16, -v19, v27, v32
	v_fma_f32 v18, -v75, v95, v21
	v_fmac_f32_e32 v126, v81, v94
	s_delay_alu instid0(VALU_DEP_4)
	v_fma_f32 v19, -v77, v95, v20
	v_fmac_f32_e32 v17, v78, v94
	v_fmac_f32_e32 v124, v74, v95
	v_dual_fmac_f32 v18, v70, v96 :: v_dual_fmac_f32 v125, v72, v97
	v_fmac_f32_e32 v16, v80, v94
	v_fmac_f32_e32 v19, v72, v96
	;; [unrolled: 1-line block ×3, first 2 shown]
	v_fma_f32 v17, -v79, v95, v17
	v_dual_fmac_f32 v124, v71, v96 :: v_dual_fmac_f32 v127, v8, v97
	s_delay_alu instid0(VALU_DEP_4) | instskip(SKIP_1) | instid1(VALU_DEP_3)
	v_fma_f32 v19, -v73, v97, v19
	v_fma_f32 v18, -v71, v97, v18
	v_dual_fmac_f32 v17, v8, v96 :: v_dual_fmac_f32 v124, v70, v97
	s_delay_alu instid0(VALU_DEP_1)
	v_fma_f32 v9, -v9, v97, v17
	s_waitcnt vmcnt(4)
	v_fmac_f32_e32 v19, v60, v36
	v_fmac_f32_e32 v125, v61, v36
	v_fma_f32 v16, -v81, v95, v16
	v_fmac_f32_e32 v127, v63, v36
	s_delay_alu instid0(VALU_DEP_3) | instskip(NEXT) | instid1(VALU_DEP_3)
	v_dual_fmac_f32 v126, v11, v96 :: v_dual_fmac_f32 v125, v60, v37
	v_fmac_f32_e32 v16, v10, v96
	v_fmac_f32_e32 v18, v58, v36
	s_delay_alu instid0(VALU_DEP_4) | instskip(NEXT) | instid1(VALU_DEP_4)
	v_fmac_f32_e32 v127, v62, v37
	v_fmac_f32_e32 v125, v89, v38
	s_delay_alu instid0(VALU_DEP_4)
	v_fma_f32 v8, -v11, v97, v16
	v_fma_f32 v11, -v61, v37, v19
	v_fmac_f32_e32 v126, v10, v97
	v_fma_f32 v10, -v59, v37, v18
	v_fmac_f32_e32 v125, v88, v39
	v_dual_fmac_f32 v8, v64, v36 :: v_dual_fmac_f32 v127, v83, v38
	s_delay_alu instid0(VALU_DEP_4) | instskip(SKIP_1) | instid1(VALU_DEP_3)
	v_dual_fmac_f32 v11, v88, v38 :: v_dual_fmac_f32 v126, v65, v36
	v_fmac_f32_e32 v9, v62, v36
	v_fma_f32 v8, -v65, v37, v8
	s_delay_alu instid0(VALU_DEP_4) | instskip(NEXT) | instid1(VALU_DEP_4)
	v_fmac_f32_e32 v127, v82, v39
	v_fma_f32 v11, -v89, v39, v11
	v_fmac_f32_e32 v126, v64, v37
	v_fma_f32 v9, -v63, v37, v9
	v_fmac_f32_e32 v124, v59, v36
	s_delay_alu instid0(VALU_DEP_4) | instskip(SKIP_1) | instid1(VALU_DEP_4)
	v_dual_fmac_f32 v10, v86, v38 :: v_dual_fmac_f32 v11, v68, v28
	v_fmac_f32_e32 v127, v91, v28
	v_fmac_f32_e32 v9, v82, v38
	s_delay_alu instid0(VALU_DEP_4) | instskip(SKIP_2) | instid1(VALU_DEP_4)
	v_fmac_f32_e32 v124, v58, v37
	v_dual_fmac_f32 v8, v84, v38 :: v_dual_fmac_f32 v125, v69, v28
	v_fma_f32 v11, -v69, v29, v11
	v_fma_f32 v9, -v83, v39, v9
	s_delay_alu instid0(VALU_DEP_4)
	v_fmac_f32_e32 v124, v87, v38
	v_fmac_f32_e32 v126, v85, v38
	v_fma_f32 v10, -v87, v39, v10
	v_fmac_f32_e32 v127, v90, v29
	v_fmac_f32_e32 v9, v90, v28
	;; [unrolled: 1-line block ×3, first 2 shown]
	v_dual_fmac_f32 v126, v84, v39 :: v_dual_fmac_f32 v11, v46, v30
	v_fma_f32 v8, -v85, v39, v8
	v_dual_fmac_f32 v10, v66, v28 :: v_dual_fmac_f32 v125, v68, v29
	s_delay_alu instid0(VALU_DEP_4)
	v_fmac_f32_e32 v124, v67, v28
	v_fma_f32 v9, -v91, v29, v9
	v_fmac_f32_e32 v126, v93, v28
	v_fmac_f32_e32 v127, v49, v30
	v_fma_f32 v11, -v47, v31, v11
	v_fmac_f32_e32 v124, v66, v29
	v_dual_fmac_f32 v8, v92, v28 :: v_dual_fmac_f32 v125, v47, v30
	v_fmac_f32_e32 v9, v48, v30
	v_fmac_f32_e32 v126, v92, v29
	s_delay_alu instid0(VALU_DEP_4)
	v_dual_fmac_f32 v124, v45, v30 :: v_dual_fmac_f32 v127, v48, v31
	s_waitcnt vmcnt(2)
	v_fmac_f32_e32 v11, v54, v98
	v_fma_f32 v10, -v67, v29, v10
	v_fmac_f32_e32 v125, v46, v31
	v_fmac_f32_e32 v124, v44, v31
	v_fma_f32 v9, -v49, v31, v9
	v_fma_f32 v11, -v55, v99, v11
	v_fmac_f32_e32 v126, v51, v30
	v_fmac_f32_e32 v125, v55, v98
	;; [unrolled: 1-line block ×3, first 2 shown]
	v_fma_f32 v8, -v93, v29, v8
	s_waitcnt vmcnt(1)
	v_fmac_f32_e32 v11, v2, v100
	v_fmac_f32_e32 v126, v50, v31
	;; [unrolled: 1-line block ×3, first 2 shown]
	v_fma_f32 v10, -v45, v31, v10
	s_delay_alu instid0(VALU_DEP_4) | instskip(NEXT) | instid1(VALU_DEP_2)
	v_fma_f32 v132, -v3, v101, v11
	v_dual_fmac_f32 v125, v3, v100 :: v_dual_fmac_f32 v10, v52, v98
	s_delay_alu instid0(VALU_DEP_1) | instskip(NEXT) | instid1(VALU_DEP_1)
	v_dual_fmac_f32 v126, v15, v98 :: v_dual_fmac_f32 v125, v2, v101
	v_dual_fmac_f32 v9, v12, v98 :: v_dual_fmac_f32 v126, v14, v99
	s_delay_alu instid0(VALU_DEP_3) | instskip(NEXT) | instid1(VALU_DEP_2)
	v_fma_f32 v10, -v53, v99, v10
	v_fma_f32 v9, -v13, v99, v9
	v_fmac_f32_e32 v124, v53, v98
	s_delay_alu instid0(VALU_DEP_3)
	v_fmac_f32_e32 v10, v0, v100
	s_waitcnt vmcnt(0)
	v_fmac_f32_e32 v126, v7, v100
	v_fmac_f32_e32 v9, v4, v100
	v_dual_fmac_f32 v127, v13, v98 :: v_dual_fmac_f32 v124, v52, v99
	v_fmac_f32_e32 v8, v50, v30
	v_fma_f32 v131, -v1, v101, v10
	s_delay_alu instid0(VALU_DEP_4) | instskip(NEXT) | instid1(VALU_DEP_4)
	v_fma_f32 v130, -v5, v101, v9
	v_dual_fmac_f32 v127, v12, v99 :: v_dual_fmac_f32 v126, v6, v101
	s_delay_alu instid0(VALU_DEP_4) | instskip(NEXT) | instid1(VALU_DEP_2)
	v_fma_f32 v8, -v51, v31, v8
	v_fmac_f32_e32 v127, v5, v100
	v_fmac_f32_e32 v124, v1, v100
	s_delay_alu instid0(VALU_DEP_2) | instskip(NEXT) | instid1(VALU_DEP_2)
	v_dual_fmac_f32 v8, v14, v98 :: v_dual_fmac_f32 v127, v4, v101
	v_fmac_f32_e32 v124, v0, v101
	s_delay_alu instid0(VALU_DEP_2) | instskip(NEXT) | instid1(VALU_DEP_1)
	v_fma_f32 v8, -v15, v99, v8
	v_fmac_f32_e32 v8, v6, v100
	s_delay_alu instid0(VALU_DEP_1)
	v_fma_f32 v129, -v7, v101, v8
	s_and_not1_b32 exec_lo, exec_lo, s6
	s_cbranch_execnz .LBB12_39
; %bb.40:
	s_or_b32 exec_lo, exec_lo, s6
.LBB12_41:
	s_delay_alu instid0(SALU_CYCLE_1)
	s_or_b32 exec_lo, exec_lo, s2
.LBB12_42:
	s_delay_alu instid0(SALU_CYCLE_1)
	s_or_b32 exec_lo, exec_lo, s3
.LBB12_43:
	v_mbcnt_lo_u32_b32 v0, -1, 0
	s_delay_alu instid0(VALU_DEP_1) | instskip(SKIP_2) | instid1(VALU_DEP_3)
	v_xor_b32_e32 v1, 8, v0
	v_xor_b32_e32 v9, 4, v0
	;; [unrolled: 1-line block ×3, first 2 shown]
	v_cmp_gt_i32_e32 vcc_lo, 32, v1
	v_cndmask_b32_e32 v1, v0, v1, vcc_lo
	s_delay_alu instid0(VALU_DEP_4) | instskip(NEXT) | instid1(VALU_DEP_2)
	v_cmp_gt_i32_e32 vcc_lo, 32, v9
	v_lshlrev_b32_e32 v1, 2, v1
	ds_bpermute_b32 v4, v1, v132
	s_waitcnt lgkmcnt(0)
	v_add_f32_e32 v4, v132, v4
	ds_bpermute_b32 v2, v1, v131
	ds_bpermute_b32 v6, v1, v130
	;; [unrolled: 1-line block ×3, first 2 shown]
	v_cndmask_b32_e32 v9, v0, v9, vcc_lo
	ds_bpermute_b32 v3, v1, v124
	ds_bpermute_b32 v5, v1, v125
	;; [unrolled: 1-line block ×4, first 2 shown]
	v_cmp_gt_i32_e32 vcc_lo, 32, v17
	s_waitcnt lgkmcnt(6)
	v_dual_cndmask_b32 v17, v0, v17 :: v_dual_add_f32 v2, v131, v2
	s_waitcnt lgkmcnt(5)
	v_dual_add_f32 v6, v130, v6 :: v_dual_lshlrev_b32 v9, 2, v9
	s_waitcnt lgkmcnt(4)
	v_add_f32_e32 v8, v129, v8
	ds_bpermute_b32 v10, v9, v2
	ds_bpermute_b32 v12, v9, v4
	ds_bpermute_b32 v14, v9, v6
	ds_bpermute_b32 v16, v9, v8
	s_waitcnt lgkmcnt(7)
	v_add_f32_e32 v3, v124, v3
	s_waitcnt lgkmcnt(6)
	v_add_f32_e32 v5, v125, v5
	;; [unrolled: 2-line block ×5, first 2 shown]
	ds_bpermute_b32 v11, v9, v3
	s_waitcnt lgkmcnt(3)
	v_add_f32_e32 v4, v4, v12
	s_waitcnt lgkmcnt(1)
	v_add_f32_e32 v8, v8, v16
	ds_bpermute_b32 v13, v9, v5
	v_add_f32_e32 v6, v6, v14
	ds_bpermute_b32 v15, v9, v7
	ds_bpermute_b32 v9, v9, v1
	v_lshlrev_b32_e32 v17, 2, v17
	s_waitcnt lgkmcnt(3)
	v_add_f32_e32 v3, v3, v11
	ds_bpermute_b32 v11, v17, v4
	ds_bpermute_b32 v10, v17, v3
	s_waitcnt lgkmcnt(2)
	v_add_f32_e32 v9, v1, v9
	ds_bpermute_b32 v1, v17, v2
	v_add_f32_e32 v7, v7, v15
	ds_bpermute_b32 v15, v17, v8
	;; [unrolled: 2-line block ×3, first 2 shown]
	ds_bpermute_b32 v16, v17, v9
	ds_bpermute_b32 v14, v17, v7
	;; [unrolled: 1-line block ×3, first 2 shown]
	v_xor_b32_e32 v17, 1, v0
	s_delay_alu instid0(VALU_DEP_1) | instskip(SKIP_3) | instid1(VALU_DEP_2)
	v_cmp_gt_i32_e32 vcc_lo, 32, v17
	v_cndmask_b32_e32 v0, v0, v17, vcc_lo
	v_cmp_eq_u32_e32 vcc_lo, 15, v123
	s_waitcnt lgkmcnt(5)
	v_dual_add_f32 v0, v2, v1 :: v_dual_lshlrev_b32 v17, 2, v0
	v_dual_add_f32 v1, v3, v10 :: v_dual_add_f32 v2, v4, v11
	s_waitcnt lgkmcnt(3)
	v_add_f32_e32 v4, v6, v13
	s_waitcnt lgkmcnt(0)
	v_dual_add_f32 v6, v8, v15 :: v_dual_add_f32 v3, v5, v12
	v_add_f32_e32 v5, v7, v14
	v_add_f32_e32 v7, v9, v16
	ds_bpermute_b32 v8, v17, v0
	ds_bpermute_b32 v9, v17, v1
	;; [unrolled: 1-line block ×8, first 2 shown]
	s_and_b32 exec_lo, exec_lo, vcc_lo
	s_cbranch_execz .LBB12_13
; %bb.44:
	s_load_b64 s[2:3], s[0:1], 0x50
	s_waitcnt lgkmcnt(0)
	v_add_f32_e32 v8, v0, v8
	v_dual_add_f32 v0, v1, v9 :: v_dual_add_f32 v1, v3, v11
	v_dual_add_f32 v9, v2, v10 :: v_dual_add_f32 v2, v5, v13
	v_dual_add_f32 v3, v7, v15 :: v_dual_add_f32 v10, v4, v12
	v_add_f32_e32 v11, v6, v14
	s_delay_alu instid0(VALU_DEP_4)
	v_mul_f32_e64 v4, v0, -v122
	v_mul_f32_e32 v5, v0, v121
	v_mul_f32_e64 v6, v1, -v122
	v_mul_f32_e32 v7, v1, v121
	;; [unrolled: 2-line block ×4, first 2 shown]
	v_cmp_eq_f32_e32 vcc_lo, 0, v119
	v_cmp_eq_f32_e64 s0, 0, v120
	v_fmac_f32_e32 v4, v121, v8
	v_dual_fmac_f32 v2, v121, v11 :: v_dual_fmac_f32 v5, v122, v8
	v_fmac_f32_e32 v6, v121, v9
	v_dual_fmac_f32 v7, v122, v9 :: v_dual_lshlrev_b32 v8, 2, v108
	v_fmac_f32_e32 v0, v121, v10
	v_fmac_f32_e32 v1, v122, v10
	;; [unrolled: 1-line block ×3, first 2 shown]
	s_and_b32 s0, vcc_lo, s0
	s_delay_alu instid0(SALU_CYCLE_1) | instskip(NEXT) | instid1(SALU_CYCLE_1)
	s_and_saveexec_b32 s1, s0
	s_xor_b32 s0, exec_lo, s1
; %bb.45:
	v_ashrrev_i32_e32 v9, 31, v8
                                        ; implicit-def: $vgpr119
                                        ; implicit-def: $vgpr120
	s_delay_alu instid0(VALU_DEP_1) | instskip(NEXT) | instid1(VALU_DEP_1)
	v_lshlrev_b64 v[8:9], 3, v[8:9]
	v_add_co_u32 v8, vcc_lo, s2, v8
	s_delay_alu instid0(VALU_DEP_2)
	v_add_co_ci_u32_e32 v9, vcc_lo, s3, v9, vcc_lo
	s_clause 0x1
	global_store_b128 v[8:9], v[4:7], off
	global_store_b128 v[8:9], v[0:3], off offset:16
                                        ; implicit-def: $vgpr4
                                        ; implicit-def: $vgpr8
                                        ; implicit-def: $vgpr0
; %bb.46:
	s_and_not1_saveexec_b32 s0, s0
	s_cbranch_execz .LBB12_13
; %bb.47:
	v_ashrrev_i32_e32 v9, 31, v8
	s_delay_alu instid0(VALU_DEP_1) | instskip(NEXT) | instid1(VALU_DEP_1)
	v_lshlrev_b64 v[8:9], 3, v[8:9]
	v_add_co_u32 v16, vcc_lo, s2, v8
	s_delay_alu instid0(VALU_DEP_2)
	v_add_co_ci_u32_e32 v17, vcc_lo, s3, v9, vcc_lo
	s_clause 0x1
	global_load_b128 v[8:11], v[16:17], off
	global_load_b128 v[12:15], v[16:17], off offset:16
	s_waitcnt vmcnt(1)
	v_dual_fmac_f32 v4, v119, v8 :: v_dual_fmac_f32 v7, v120, v10
	v_dual_fmac_f32 v5, v120, v8 :: v_dual_fmac_f32 v6, v119, v10
	s_waitcnt vmcnt(0)
	v_dual_fmac_f32 v0, v119, v12 :: v_dual_fmac_f32 v3, v120, v14
	v_dual_fmac_f32 v1, v120, v12 :: v_dual_fmac_f32 v2, v119, v14
	v_fma_f32 v4, -v120, v9, v4
	v_fmac_f32_e32 v5, v119, v9
	v_fma_f32 v6, -v120, v11, v6
	v_fmac_f32_e32 v7, v119, v11
	;; [unrolled: 2-line block ×4, first 2 shown]
	s_clause 0x1
	global_store_b128 v[16:17], v[4:7], off
	global_store_b128 v[16:17], v[0:3], off offset:16
	s_nop 0
	s_sendmsg sendmsg(MSG_DEALLOC_VGPRS)
	s_endpgm
	.section	.rodata,"a",@progbits
	.p2align	6, 0x0
	.amdhsa_kernel _ZN9rocsparseL18bsrxmvn_4x4_kernelILj128ELj16E21rocsparse_complex_numIfEiiS2_S2_S2_EEvT3_20rocsparse_direction_NS_24const_host_device_scalarIT1_EES3_PKS3_PKT2_SC_S9_PKT4_PKT5_S7_PT6_21rocsparse_index_base_b
		.amdhsa_group_segment_fixed_size 0
		.amdhsa_private_segment_fixed_size 0
		.amdhsa_kernarg_size 96
		.amdhsa_user_sgpr_count 15
		.amdhsa_user_sgpr_dispatch_ptr 0
		.amdhsa_user_sgpr_queue_ptr 0
		.amdhsa_user_sgpr_kernarg_segment_ptr 1
		.amdhsa_user_sgpr_dispatch_id 0
		.amdhsa_user_sgpr_private_segment_size 0
		.amdhsa_wavefront_size32 1
		.amdhsa_uses_dynamic_stack 0
		.amdhsa_enable_private_segment 0
		.amdhsa_system_sgpr_workgroup_id_x 1
		.amdhsa_system_sgpr_workgroup_id_y 0
		.amdhsa_system_sgpr_workgroup_id_z 0
		.amdhsa_system_sgpr_workgroup_info 0
		.amdhsa_system_vgpr_workitem_id 0
		.amdhsa_next_free_vgpr 154
		.amdhsa_next_free_sgpr 16
		.amdhsa_reserve_vcc 1
		.amdhsa_float_round_mode_32 0
		.amdhsa_float_round_mode_16_64 0
		.amdhsa_float_denorm_mode_32 3
		.amdhsa_float_denorm_mode_16_64 3
		.amdhsa_dx10_clamp 1
		.amdhsa_ieee_mode 1
		.amdhsa_fp16_overflow 0
		.amdhsa_workgroup_processor_mode 1
		.amdhsa_memory_ordered 1
		.amdhsa_forward_progress 0
		.amdhsa_shared_vgpr_count 0
		.amdhsa_exception_fp_ieee_invalid_op 0
		.amdhsa_exception_fp_denorm_src 0
		.amdhsa_exception_fp_ieee_div_zero 0
		.amdhsa_exception_fp_ieee_overflow 0
		.amdhsa_exception_fp_ieee_underflow 0
		.amdhsa_exception_fp_ieee_inexact 0
		.amdhsa_exception_int_div_zero 0
	.end_amdhsa_kernel
	.section	.text._ZN9rocsparseL18bsrxmvn_4x4_kernelILj128ELj16E21rocsparse_complex_numIfEiiS2_S2_S2_EEvT3_20rocsparse_direction_NS_24const_host_device_scalarIT1_EES3_PKS3_PKT2_SC_S9_PKT4_PKT5_S7_PT6_21rocsparse_index_base_b,"axG",@progbits,_ZN9rocsparseL18bsrxmvn_4x4_kernelILj128ELj16E21rocsparse_complex_numIfEiiS2_S2_S2_EEvT3_20rocsparse_direction_NS_24const_host_device_scalarIT1_EES3_PKS3_PKT2_SC_S9_PKT4_PKT5_S7_PT6_21rocsparse_index_base_b,comdat
.Lfunc_end12:
	.size	_ZN9rocsparseL18bsrxmvn_4x4_kernelILj128ELj16E21rocsparse_complex_numIfEiiS2_S2_S2_EEvT3_20rocsparse_direction_NS_24const_host_device_scalarIT1_EES3_PKS3_PKT2_SC_S9_PKT4_PKT5_S7_PT6_21rocsparse_index_base_b, .Lfunc_end12-_ZN9rocsparseL18bsrxmvn_4x4_kernelILj128ELj16E21rocsparse_complex_numIfEiiS2_S2_S2_EEvT3_20rocsparse_direction_NS_24const_host_device_scalarIT1_EES3_PKS3_PKT2_SC_S9_PKT4_PKT5_S7_PT6_21rocsparse_index_base_b
                                        ; -- End function
	.section	.AMDGPU.csdata,"",@progbits
; Kernel info:
; codeLenInByte = 7412
; NumSgprs: 18
; NumVgprs: 154
; ScratchSize: 0
; MemoryBound: 0
; FloatMode: 240
; IeeeMode: 1
; LDSByteSize: 0 bytes/workgroup (compile time only)
; SGPRBlocks: 2
; VGPRBlocks: 19
; NumSGPRsForWavesPerEU: 18
; NumVGPRsForWavesPerEU: 154
; Occupancy: 9
; WaveLimiterHint : 1
; COMPUTE_PGM_RSRC2:SCRATCH_EN: 0
; COMPUTE_PGM_RSRC2:USER_SGPR: 15
; COMPUTE_PGM_RSRC2:TRAP_HANDLER: 0
; COMPUTE_PGM_RSRC2:TGID_X_EN: 1
; COMPUTE_PGM_RSRC2:TGID_Y_EN: 0
; COMPUTE_PGM_RSRC2:TGID_Z_EN: 0
; COMPUTE_PGM_RSRC2:TIDIG_COMP_CNT: 0
	.section	.text._ZN9rocsparseL18bsrxmvn_4x4_kernelILj128ELj32E21rocsparse_complex_numIfEiiS2_S2_S2_EEvT3_20rocsparse_direction_NS_24const_host_device_scalarIT1_EES3_PKS3_PKT2_SC_S9_PKT4_PKT5_S7_PT6_21rocsparse_index_base_b,"axG",@progbits,_ZN9rocsparseL18bsrxmvn_4x4_kernelILj128ELj32E21rocsparse_complex_numIfEiiS2_S2_S2_EEvT3_20rocsparse_direction_NS_24const_host_device_scalarIT1_EES3_PKS3_PKT2_SC_S9_PKT4_PKT5_S7_PT6_21rocsparse_index_base_b,comdat
	.globl	_ZN9rocsparseL18bsrxmvn_4x4_kernelILj128ELj32E21rocsparse_complex_numIfEiiS2_S2_S2_EEvT3_20rocsparse_direction_NS_24const_host_device_scalarIT1_EES3_PKS3_PKT2_SC_S9_PKT4_PKT5_S7_PT6_21rocsparse_index_base_b ; -- Begin function _ZN9rocsparseL18bsrxmvn_4x4_kernelILj128ELj32E21rocsparse_complex_numIfEiiS2_S2_S2_EEvT3_20rocsparse_direction_NS_24const_host_device_scalarIT1_EES3_PKS3_PKT2_SC_S9_PKT4_PKT5_S7_PT6_21rocsparse_index_base_b
	.p2align	8
	.type	_ZN9rocsparseL18bsrxmvn_4x4_kernelILj128ELj32E21rocsparse_complex_numIfEiiS2_S2_S2_EEvT3_20rocsparse_direction_NS_24const_host_device_scalarIT1_EES3_PKS3_PKT2_SC_S9_PKT4_PKT5_S7_PT6_21rocsparse_index_base_b,@function
_ZN9rocsparseL18bsrxmvn_4x4_kernelILj128ELj32E21rocsparse_complex_numIfEiiS2_S2_S2_EEvT3_20rocsparse_direction_NS_24const_host_device_scalarIT1_EES3_PKS3_PKT2_SC_S9_PKT4_PKT5_S7_PT6_21rocsparse_index_base_b: ; @_ZN9rocsparseL18bsrxmvn_4x4_kernelILj128ELj32E21rocsparse_complex_numIfEiiS2_S2_S2_EEvT3_20rocsparse_direction_NS_24const_host_device_scalarIT1_EES3_PKS3_PKT2_SC_S9_PKT4_PKT5_S7_PT6_21rocsparse_index_base_b
; %bb.0:
	s_clause 0x2
	s_load_b64 s[12:13], s[0:1], 0x58
	s_load_b64 s[4:5], s[0:1], 0x8
	;; [unrolled: 1-line block ×3, first 2 shown]
	s_waitcnt lgkmcnt(0)
	s_bitcmp1_b32 s13, 0
	v_mov_b32_e32 v87, s4
	s_cselect_b32 s6, -1, 0
	s_delay_alu instid0(SALU_CYCLE_1)
	s_and_b32 vcc_lo, exec_lo, s6
	s_xor_b32 s6, s6, -1
	s_cbranch_vccz .LBB13_14
; %bb.1:
	v_cndmask_b32_e64 v1, 0, 1, s6
	v_mov_b32_e32 v88, s5
	s_and_not1_b32 vcc_lo, exec_lo, s6
	s_cbranch_vccz .LBB13_15
.LBB13_2:
	s_delay_alu instid0(VALU_DEP_2)
	v_cmp_ne_u32_e32 vcc_lo, 1, v1
	v_mov_b32_e32 v85, s2
	s_cbranch_vccz .LBB13_16
.LBB13_3:
	v_cmp_ne_u32_e32 vcc_lo, 1, v1
	v_mov_b32_e32 v86, s3
	s_cbranch_vccnz .LBB13_5
.LBB13_4:
	v_dual_mov_b32 v1, s2 :: v_dual_mov_b32 v2, s3
	flat_load_b32 v86, v[1:2] offset:4
.LBB13_5:
	s_waitcnt vmcnt(0) lgkmcnt(0)
	v_cmp_eq_f32_e32 vcc_lo, 0, v87
	v_cmp_eq_f32_e64 s2, 0, v88
	s_delay_alu instid0(VALU_DEP_1)
	s_and_b32 s4, vcc_lo, s2
	s_mov_b32 s2, -1
	s_and_saveexec_b32 s3, s4
; %bb.6:
	v_cmp_neq_f32_e32 vcc_lo, 1.0, v85
	v_cmp_neq_f32_e64 s2, 0, v86
	s_delay_alu instid0(VALU_DEP_1) | instskip(NEXT) | instid1(SALU_CYCLE_1)
	s_or_b32 s2, vcc_lo, s2
	s_or_not1_b32 s2, s2, exec_lo
; %bb.7:
	s_or_b32 exec_lo, exec_lo, s3
	s_and_saveexec_b32 s3, s2
	s_cbranch_execz .LBB13_13
; %bb.8:
	s_clause 0x1
	s_load_b64 s[4:5], s[0:1], 0x18
	s_load_b64 s[2:3], s[0:1], 0x0
	v_lshrrev_b32_e32 v1, 5, v0
	s_delay_alu instid0(VALU_DEP_1)
	v_lshl_or_b32 v76, s15, 2, v1
	s_waitcnt lgkmcnt(0)
	s_cmp_lg_u64 s[4:5], 0
	s_cbranch_scc0 .LBB13_17
; %bb.9:
	s_load_b32 s6, s[0:1], 0x10
	s_mov_b32 s7, 0
                                        ; implicit-def: $vgpr1
	s_waitcnt lgkmcnt(0)
	v_cmp_gt_i32_e32 vcc_lo, s6, v76
	s_mov_b32 s6, 0
	s_and_saveexec_b32 s8, vcc_lo
	s_delay_alu instid0(SALU_CYCLE_1)
	s_xor_b32 s8, exec_lo, s8
	s_cbranch_execz .LBB13_11
; %bb.10:
	v_ashrrev_i32_e32 v77, 31, v76
	s_mov_b32 s6, exec_lo
	s_delay_alu instid0(VALU_DEP_1) | instskip(NEXT) | instid1(VALU_DEP_1)
	v_lshlrev_b64 v[1:2], 2, v[76:77]
	v_add_co_u32 v1, vcc_lo, s4, v1
	s_delay_alu instid0(VALU_DEP_2)
	v_add_co_ci_u32_e32 v2, vcc_lo, s5, v2, vcc_lo
	global_load_b32 v1, v[1:2], off
	s_waitcnt vmcnt(0)
	v_subrev_nc_u32_e32 v1, s12, v1
.LBB13_11:
	s_or_b32 exec_lo, exec_lo, s8
	s_delay_alu instid0(SALU_CYCLE_1)
	s_and_b32 vcc_lo, exec_lo, s7
	s_cbranch_vccz .LBB13_18
.LBB13_12:
	v_cmp_gt_i32_e32 vcc_lo, s2, v76
	s_and_not1_b32 s2, s6, exec_lo
	s_and_b32 s4, vcc_lo, exec_lo
	s_delay_alu instid0(SALU_CYCLE_1) | instskip(NEXT) | instid1(SALU_CYCLE_1)
	s_or_b32 s6, s2, s4
	s_and_b32 exec_lo, exec_lo, s6
	s_cbranch_execnz .LBB13_19
.LBB13_13:
	s_nop 0
	s_sendmsg sendmsg(MSG_DEALLOC_VGPRS)
	s_endpgm
.LBB13_14:
	v_dual_mov_b32 v1, s4 :: v_dual_mov_b32 v2, s5
	flat_load_b32 v87, v[1:2]
	v_cndmask_b32_e64 v1, 0, 1, s6
	v_mov_b32_e32 v88, s5
	s_and_not1_b32 vcc_lo, exec_lo, s6
	s_cbranch_vccnz .LBB13_2
.LBB13_15:
	v_dual_mov_b32 v2, s4 :: v_dual_mov_b32 v3, s5
	flat_load_b32 v88, v[2:3] offset:4
	v_cmp_ne_u32_e32 vcc_lo, 1, v1
	v_mov_b32_e32 v85, s2
	s_cbranch_vccnz .LBB13_3
.LBB13_16:
	v_dual_mov_b32 v2, s2 :: v_dual_mov_b32 v3, s3
	flat_load_b32 v85, v[2:3]
	v_cmp_ne_u32_e32 vcc_lo, 1, v1
	v_mov_b32_e32 v86, s3
	s_cbranch_vccz .LBB13_4
	s_branch .LBB13_5
.LBB13_17:
	s_mov_b32 s6, 0
                                        ; implicit-def: $vgpr1
	s_cbranch_execnz .LBB13_12
.LBB13_18:
	s_delay_alu instid0(VALU_DEP_1)
	v_mov_b32_e32 v76, v1
	s_and_b32 exec_lo, exec_lo, s6
	s_cbranch_execz .LBB13_13
.LBB13_19:
	s_load_b256 s[4:11], s[0:1], 0x20
	s_delay_alu instid0(VALU_DEP_1) | instskip(SKIP_1) | instid1(VALU_DEP_2)
	v_ashrrev_i32_e32 v77, 31, v76
	v_and_b32_e32 v89, 31, v0
	v_lshlrev_b64 v[1:2], 2, v[76:77]
	s_waitcnt lgkmcnt(0)
	s_delay_alu instid0(VALU_DEP_1) | instskip(NEXT) | instid1(VALU_DEP_2)
	v_add_co_u32 v3, vcc_lo, s4, v1
	v_add_co_ci_u32_e32 v4, vcc_lo, s5, v2, vcc_lo
	v_add_co_u32 v1, vcc_lo, s6, v1
	v_add_co_ci_u32_e32 v2, vcc_lo, s7, v2, vcc_lo
	global_load_b32 v99, v[3:4], off
	v_add_co_u32 v3, vcc_lo, v3, 4
	v_add_co_ci_u32_e32 v4, vcc_lo, 0, v4, vcc_lo
	s_cmp_eq_u64 s[6:7], 0
	s_load_b64 s[4:5], s[0:1], 0x40
	s_cselect_b32 vcc_lo, -1, 0
	s_cmp_eq_u32 s3, 1
	v_dual_cndmask_b32 v2, v2, v4 :: v_dual_cndmask_b32 v1, v1, v3
	global_load_b32 v2, v[1:2], off
	s_waitcnt vmcnt(1)
	v_subrev_nc_u32_e32 v0, s12, v99
	s_delay_alu instid0(VALU_DEP_1) | instskip(NEXT) | instid1(VALU_DEP_1)
	v_add_nc_u32_e32 v77, v0, v89
	v_ashrrev_i32_e32 v78, 31, v77
	s_waitcnt vmcnt(0)
	v_subrev_nc_u32_e32 v94, s12, v2
	s_delay_alu instid0(VALU_DEP_2) | instskip(NEXT) | instid1(VALU_DEP_2)
	v_lshlrev_b64 v[0:1], 7, v[77:78]
	v_cmp_lt_i32_e64 s2, v77, v94
	s_delay_alu instid0(VALU_DEP_2) | instskip(NEXT) | instid1(VALU_DEP_3)
	v_add_co_u32 v79, vcc_lo, s10, v0
	v_add_co_ci_u32_e32 v80, vcc_lo, s11, v1, vcc_lo
	s_cbranch_scc1 .LBB13_31
; %bb.20:
	v_dual_mov_b32 v90, 0 :: v_dual_mov_b32 v95, 0
	v_dual_mov_b32 v98, 0 :: v_dual_mov_b32 v93, 0
	;; [unrolled: 1-line block ×4, first 2 shown]
	s_mov_b32 s3, 0
	s_and_saveexec_b32 s6, s2
	s_cbranch_execz .LBB13_30
; %bb.21:
	v_dual_mov_b32 v91, 0 :: v_dual_add_nc_u32 v0, v99, v89
	v_not_b32_e32 v1, v99
	v_dual_mov_b32 v93, 0 :: v_dual_mov_b32 v92, 0
	s_delay_alu instid0(VALU_DEP_3) | instskip(SKIP_2) | instid1(VALU_DEP_3)
	v_subrev_nc_u32_e32 v0, s12, v0
	v_dual_mov_b32 v95, 0 :: v_dual_mov_b32 v90, 0
	v_dual_mov_b32 v82, v80 :: v_dual_mov_b32 v81, v79
	v_dual_mov_b32 v97, 0 :: v_dual_add_nc_u32 v0, 32, v0
	v_mov_b32_e32 v83, v77
	s_mov_b32 s10, 0
	s_mov_b32 s7, exec_lo
	s_delay_alu instid0(VALU_DEP_2) | instskip(SKIP_2) | instid1(VALU_DEP_3)
	v_max_i32_e32 v0, v0, v94
	v_mov_b32_e32 v96, 0
	v_mov_b32_e32 v98, 0
	v_add3_u32 v0, v0, s12, v1
	s_delay_alu instid0(VALU_DEP_1) | instskip(NEXT) | instid1(VALU_DEP_1)
	v_sub_nc_u32_e32 v0, v0, v89
	v_lshrrev_b32_e32 v1, 5, v0
	s_delay_alu instid0(VALU_DEP_1) | instskip(NEXT) | instid1(VALU_DEP_1)
	v_add_nc_u32_e32 v1, 1, v1
	v_and_b32_e32 v1, 3, v1
	s_delay_alu instid0(VALU_DEP_1)
	v_cmpx_ne_u32_e32 0, v1
	s_cbranch_execz .LBB13_25
; %bb.22:
	v_dual_mov_b32 v83, v77 :: v_dual_mov_b32 v82, v80
	v_dual_mov_b32 v90, 0 :: v_dual_lshlrev_b32 v1, 7, v1
	v_dual_mov_b32 v81, v79 :: v_dual_mov_b32 v98, 0
	v_dual_mov_b32 v95, 0 :: v_dual_mov_b32 v92, 0
	;; [unrolled: 1-line block ×3, first 2 shown]
	v_mov_b32_e32 v97, 0
	v_mov_b32_e32 v91, 0
.LBB13_23:                              ; =>This Inner Loop Header: Depth=1
	v_ashrrev_i32_e32 v84, 31, v83
	s_delay_alu instid0(VALU_DEP_1) | instskip(NEXT) | instid1(VALU_DEP_1)
	v_lshlrev_b64 v[2:3], 2, v[83:84]
	v_add_co_u32 v2, vcc_lo, s8, v2
	s_delay_alu instid0(VALU_DEP_2)
	v_add_co_ci_u32_e32 v3, vcc_lo, s9, v3, vcc_lo
	global_load_b32 v34, v[2:3], off
	s_clause 0x7
	global_load_b128 v[2:5], v[81:82], off offset:48
	global_load_b128 v[6:9], v[81:82], off offset:32
	;; [unrolled: 1-line block ×3, first 2 shown]
	global_load_b128 v[14:17], v[81:82], off
	global_load_b128 v[18:21], v[81:82], off offset:112
	global_load_b128 v[22:25], v[81:82], off offset:96
	;; [unrolled: 1-line block ×4, first 2 shown]
	s_waitcnt vmcnt(8)
	v_subrev_nc_u32_e32 v34, s12, v34
	s_delay_alu instid0(VALU_DEP_1) | instskip(NEXT) | instid1(VALU_DEP_1)
	v_lshlrev_b32_e32 v34, 2, v34
	v_ashrrev_i32_e32 v35, 31, v34
	s_delay_alu instid0(VALU_DEP_1) | instskip(SKIP_1) | instid1(VALU_DEP_1)
	v_lshlrev_b64 v[34:35], 3, v[34:35]
	s_waitcnt lgkmcnt(0)
	v_add_co_u32 v38, vcc_lo, s4, v34
	s_delay_alu instid0(VALU_DEP_2)
	v_add_co_ci_u32_e32 v39, vcc_lo, s5, v35, vcc_lo
	v_add_co_u32 v81, vcc_lo, 0x1000, v81
	v_add_co_ci_u32_e32 v82, vcc_lo, 0, v82, vcc_lo
	s_clause 0x1
	global_load_b128 v[34:37], v[38:39], off
	global_load_b128 v[38:41], v[38:39], off offset:16
	v_add_nc_u32_e32 v1, 0xffffff80, v1
	s_waitcnt vmcnt(1)
	v_dual_fmac_f32 v90, v15, v34 :: v_dual_add_nc_u32 v83, 32, v83
	v_fmac_f32_e32 v98, v14, v34
	v_fmac_f32_e32 v91, v7, v34
	;; [unrolled: 1-line block ×3, first 2 shown]
	s_delay_alu instid0(VALU_DEP_4) | instskip(NEXT) | instid1(VALU_DEP_4)
	v_dual_fmac_f32 v93, v31, v34 :: v_dual_fmac_f32 v90, v14, v35
	v_fma_f32 v15, -v15, v35, v98
	v_fmac_f32_e32 v96, v30, v34
	v_fmac_f32_e32 v97, v6, v34
	s_delay_alu instid0(VALU_DEP_4) | instskip(NEXT) | instid1(VALU_DEP_4)
	v_dual_fmac_f32 v91, v6, v35 :: v_dual_fmac_f32 v90, v17, v36
	v_fmac_f32_e32 v15, v16, v36
	s_delay_alu instid0(VALU_DEP_4) | instskip(SKIP_3) | instid1(VALU_DEP_4)
	v_fma_f32 v6, -v31, v35, v96
	v_fmac_f32_e32 v95, v22, v34
	v_fma_f32 v7, -v7, v35, v97
	v_fmac_f32_e32 v92, v22, v35
	v_dual_fmac_f32 v93, v30, v35 :: v_dual_fmac_f32 v6, v32, v36
	s_delay_alu instid0(VALU_DEP_4) | instskip(SKIP_4) | instid1(VALU_DEP_4)
	v_fma_f32 v14, -v23, v35, v95
	v_dual_fmac_f32 v91, v9, v36 :: v_dual_fmac_f32 v90, v16, v37
	v_fmac_f32_e32 v7, v8, v36
	v_fmac_f32_e32 v92, v25, v36
	v_fma_f32 v15, -v17, v37, v15
	v_fmac_f32_e32 v91, v8, v37
	v_fmac_f32_e32 v93, v33, v36
	;; [unrolled: 1-line block ×3, first 2 shown]
	v_fma_f32 v6, -v33, v37, v6
	s_waitcnt vmcnt(0)
	v_dual_fmac_f32 v15, v10, v38 :: v_dual_fmac_f32 v92, v24, v37
	v_fmac_f32_e32 v93, v32, v37
	v_fma_f32 v8, -v25, v37, v14
	v_fmac_f32_e32 v6, v26, v38
	v_fmac_f32_e32 v90, v11, v38
	v_fma_f32 v7, -v9, v37, v7
	v_fmac_f32_e32 v91, v3, v38
	v_fma_f32 v9, -v11, v39, v15
	v_fmac_f32_e32 v8, v18, v38
	v_fmac_f32_e32 v90, v10, v39
	v_fmac_f32_e32 v7, v2, v38
	v_dual_fmac_f32 v92, v19, v38 :: v_dual_fmac_f32 v91, v2, v39
	v_fmac_f32_e32 v93, v27, v38
	v_fma_f32 v2, -v27, v39, v6
	s_delay_alu instid0(VALU_DEP_3) | instskip(SKIP_1) | instid1(VALU_DEP_3)
	v_dual_fmac_f32 v9, v12, v40 :: v_dual_fmac_f32 v92, v18, v39
	v_fma_f32 v6, -v19, v39, v8
	v_dual_fmac_f32 v93, v26, v39 :: v_dual_fmac_f32 v2, v28, v40
	v_fmac_f32_e32 v90, v13, v40
	v_fma_f32 v3, -v3, v39, v7
	v_fmac_f32_e32 v91, v5, v40
	v_fmac_f32_e32 v6, v20, v40
	v_cmp_eq_u32_e32 vcc_lo, 0, v1
	v_fmac_f32_e32 v90, v12, v41
	v_fmac_f32_e32 v3, v4, v40
	v_dual_fmac_f32 v92, v21, v40 :: v_dual_fmac_f32 v91, v4, v41
	v_fmac_f32_e32 v93, v29, v40
	v_fma_f32 v98, -v13, v41, v9
	s_delay_alu instid0(VALU_DEP_4) | instskip(NEXT) | instid1(VALU_DEP_4)
	v_fma_f32 v97, -v5, v41, v3
	v_fmac_f32_e32 v92, v20, v41
	v_fma_f32 v96, -v29, v41, v2
	v_fmac_f32_e32 v93, v28, v41
	v_fma_f32 v95, -v21, v41, v6
	s_or_b32 s10, vcc_lo, s10
	s_delay_alu instid0(SALU_CYCLE_1)
	s_and_not1_b32 exec_lo, exec_lo, s10
	s_cbranch_execnz .LBB13_23
; %bb.24:
	s_or_b32 exec_lo, exec_lo, s10
.LBB13_25:
	s_delay_alu instid0(SALU_CYCLE_1) | instskip(NEXT) | instid1(SALU_CYCLE_1)
	s_or_b32 exec_lo, exec_lo, s7
	s_mov_b32 s7, exec_lo
	v_cmpx_lt_u32_e32 0x5f, v0
	s_cbranch_execz .LBB13_29
; %bb.26:
	s_mov_b32 s10, 0
.LBB13_27:                              ; =>This Inner Loop Header: Depth=1
	v_add_co_u32 v32, vcc_lo, 0x1000, v81
	v_ashrrev_i32_e32 v84, 31, v83
	v_add_co_ci_u32_e32 v33, vcc_lo, 0, v82, vcc_lo
	v_add_co_u32 v34, vcc_lo, v81, 0x2000
	v_add_co_ci_u32_e32 v35, vcc_lo, 0, v82, vcc_lo
	v_add_co_u32 v64, vcc_lo, 0x2000, v81
	v_lshlrev_b64 v[136:137], 2, v[83:84]
	v_add_co_ci_u32_e32 v65, vcc_lo, 0, v82, vcc_lo
	v_add_co_u32 v144, vcc_lo, 0x3000, v81
	v_add_co_ci_u32_e32 v145, vcc_lo, 0, v82, vcc_lo
	s_delay_alu instid0(VALU_DEP_4)
	v_add_co_u32 v136, vcc_lo, s8, v136
	v_add_co_ci_u32_e32 v137, vcc_lo, s9, v137, vcc_lo
	s_clause 0x1b
	global_load_b128 v[0:3], v[81:82], off offset:48
	global_load_b128 v[20:23], v[81:82], off offset:32
	;; [unrolled: 1-line block ×3, first 2 shown]
	global_load_b128 v[24:27], v[81:82], off
	global_load_b128 v[8:11], v[81:82], off offset:112
	global_load_b128 v[16:19], v[81:82], off offset:96
	;; [unrolled: 1-line block ×11, first 2 shown]
	global_load_b128 v[120:123], v[34:35], off offset:-4096
	global_load_b128 v[56:59], v[34:35], off
	global_load_b128 v[52:55], v[64:65], off offset:32
	global_load_b128 v[40:43], v[64:65], off offset:16
	;; [unrolled: 1-line block ×11, first 2 shown]
	s_clause 0x3
	global_load_b32 v78, v[136:137], off
	global_load_b32 v84, v[136:137], off offset:128
	global_load_b32 v148, v[136:137], off offset:256
	;; [unrolled: 1-line block ×3, first 2 shown]
	s_waitcnt vmcnt(3)
	v_subrev_nc_u32_e32 v78, s12, v78
	s_waitcnt vmcnt(2)
	v_subrev_nc_u32_e32 v84, s12, v84
	s_delay_alu instid0(VALU_DEP_2) | instskip(NEXT) | instid1(VALU_DEP_1)
	v_lshlrev_b32_e32 v136, 2, v78
	v_ashrrev_i32_e32 v137, 31, v136
	s_delay_alu instid0(VALU_DEP_1) | instskip(SKIP_1) | instid1(VALU_DEP_1)
	v_lshlrev_b64 v[136:137], 3, v[136:137]
	s_waitcnt lgkmcnt(0)
	v_add_co_u32 v140, vcc_lo, s4, v136
	s_delay_alu instid0(VALU_DEP_2)
	v_add_co_ci_u32_e32 v141, vcc_lo, s5, v137, vcc_lo
	s_clause 0x1
	global_load_b128 v[136:139], v[140:141], off
	global_load_b128 v[140:143], v[140:141], off offset:16
	s_waitcnt vmcnt(1)
	v_fmac_f32_e32 v92, v17, v136
	v_fmac_f32_e32 v91, v21, v136
	;; [unrolled: 1-line block ×4, first 2 shown]
	s_delay_alu instid0(VALU_DEP_4)
	v_dual_fmac_f32 v93, v29, v136 :: v_dual_fmac_f32 v92, v16, v137
	v_fmac_f32_e32 v97, v20, v136
	v_fmac_f32_e32 v91, v20, v137
	v_fma_f32 v29, -v29, v137, v96
	v_subrev_nc_u32_e32 v96, s12, v148
	v_fmac_f32_e32 v92, v19, v138
	v_fma_f32 v21, -v21, v137, v97
	v_dual_fmac_f32 v90, v25, v136 :: v_dual_fmac_f32 v91, v23, v138
	v_fma_f32 v25, -v25, v137, v98
	v_subrev_nc_u32_e32 v97, s12, v149
	s_delay_alu instid0(VALU_DEP_3) | instskip(NEXT) | instid1(VALU_DEP_4)
	v_dual_fmac_f32 v21, v22, v138 :: v_dual_fmac_f32 v90, v24, v137
	v_fmac_f32_e32 v91, v22, v139
	s_delay_alu instid0(VALU_DEP_4) | instskip(SKIP_1) | instid1(VALU_DEP_4)
	v_fmac_f32_e32 v25, v26, v138
	v_dual_fmac_f32 v93, v28, v137 :: v_dual_fmac_f32 v92, v18, v139
	v_fmac_f32_e32 v90, v27, v138
	v_fmac_f32_e32 v29, v30, v138
	s_delay_alu instid0(VALU_DEP_4)
	v_fma_f32 v78, -v27, v139, v25
	v_fma_f32 v150, -v23, v139, v21
	global_load_b128 v[20:23], v[144:145], off offset:64
	v_fmac_f32_e32 v90, v26, v139
	global_load_b128 v[24:27], v[144:145], off offset:80
	s_waitcnt vmcnt(2)
	v_fmac_f32_e32 v91, v1, v140
	v_fmac_f32_e32 v93, v31, v138
	v_fma_f32 v151, -v31, v139, v29
	v_fmac_f32_e32 v90, v5, v140
	v_fmac_f32_e32 v150, v0, v140
	;; [unrolled: 1-line block ×3, first 2 shown]
	v_dual_fmac_f32 v91, v0, v141 :: v_dual_fmac_f32 v92, v9, v140
	s_delay_alu instid0(VALU_DEP_4)
	v_fmac_f32_e32 v90, v4, v141
	v_fmac_f32_e32 v95, v16, v136
	v_dual_fmac_f32 v93, v30, v139 :: v_dual_lshlrev_b32 v16, 2, v84
	s_clause 0x1
	global_load_b128 v[28:31], v[144:145], off
	global_load_b128 v[144:147], v[144:145], off offset:16
	v_fmac_f32_e32 v90, v7, v142
	v_fma_f32 v17, -v17, v137, v95
	v_lshlrev_b32_e32 v95, 2, v97
	v_fma_f32 v5, -v5, v141, v78
	v_fma_f32 v1, -v1, v141, v150
	v_fmac_f32_e32 v90, v6, v143
	v_dual_fmac_f32 v17, v18, v138 :: v_dual_lshlrev_b32 v18, 2, v96
	s_delay_alu instid0(VALU_DEP_4) | instskip(SKIP_2) | instid1(VALU_DEP_4)
	v_fmac_f32_e32 v5, v6, v142
	v_ashrrev_i32_e32 v96, 31, v95
	v_fmac_f32_e32 v1, v2, v142
	v_fma_f32 v148, -v19, v139, v17
	v_ashrrev_i32_e32 v17, 31, v16
	v_ashrrev_i32_e32 v19, 31, v18
	v_fma_f32 v78, -v7, v143, v5
	v_lshlrev_b64 v[95:96], 3, v[95:96]
	v_dual_fmac_f32 v91, v3, v142 :: v_dual_fmac_f32 v148, v8, v140
	v_lshlrev_b64 v[16:17], 3, v[16:17]
	v_lshlrev_b64 v[18:19], 3, v[18:19]
	v_fma_f32 v84, -v3, v143, v1
	s_delay_alu instid0(VALU_DEP_4)
	v_fmac_f32_e32 v91, v2, v143
	v_dual_fmac_f32 v93, v13, v140 :: v_dual_fmac_f32 v92, v8, v141
	v_add_co_u32 v97, vcc_lo, s4, v16
	v_add_co_ci_u32_e32 v98, vcc_lo, s5, v17, vcc_lo
	v_add_co_u32 v136, vcc_lo, s4, v18
	v_add_co_ci_u32_e32 v137, vcc_lo, s5, v19, vcc_lo
	s_clause 0x1
	global_load_b128 v[16:19], v[97:98], off
	global_load_b128 v[4:7], v[97:98], off offset:16
	v_add_co_u32 v138, vcc_lo, s4, v95
	v_add_co_ci_u32_e32 v139, vcc_lo, s5, v96, vcc_lo
	s_clause 0x1
	global_load_b128 v[0:3], v[136:137], off
	global_load_b128 v[95:98], v[136:137], off offset:16
	v_dual_fmac_f32 v151, v12, v140 :: v_dual_fmac_f32 v92, v11, v142
	v_fmac_f32_e32 v93, v12, v141
	v_fma_f32 v9, -v9, v141, v148
	v_add_co_u32 v81, vcc_lo, 0x4000, v81
	s_delay_alu instid0(VALU_DEP_4)
	v_fmac_f32_e32 v92, v10, v143
	v_fma_f32 v13, -v13, v141, v151
	v_fmac_f32_e32 v93, v15, v142
	v_add_nc_u32_e32 v83, 0x80, v83
	v_add_co_ci_u32_e32 v82, vcc_lo, 0, v82, vcc_lo
	s_waitcnt vmcnt(3)
	v_dual_fmac_f32 v13, v14, v142 :: v_dual_fmac_f32 v78, v120, v16
	s_delay_alu instid0(VALU_DEP_1)
	v_fma_f32 v136, -v15, v143, v13
	v_dual_fmac_f32 v90, v121, v16 :: v_dual_fmac_f32 v93, v14, v143
	v_fmac_f32_e32 v84, v100, v16
	global_load_b128 v[12:15], v[138:139], off
	v_dual_fmac_f32 v9, v10, v142 :: v_dual_fmac_f32 v136, v116, v16
	v_dual_fmac_f32 v91, v101, v16 :: v_dual_fmac_f32 v90, v120, v17
	v_fmac_f32_e32 v92, v109, v16
	s_delay_alu instid0(VALU_DEP_3)
	v_fma_f32 v137, -v11, v143, v9
	global_load_b128 v[8:11], v[138:139], off offset:16
	v_fmac_f32_e32 v93, v117, v16
	v_dual_fmac_f32 v91, v100, v17 :: v_dual_fmac_f32 v90, v123, v18
	v_fmac_f32_e32 v137, v108, v16
	v_fma_f32 v16, -v121, v17, v78
	v_fma_f32 v78, -v101, v17, v84
	v_fmac_f32_e32 v92, v108, v17
	v_fmac_f32_e32 v93, v116, v17
	v_dual_fmac_f32 v91, v103, v18 :: v_dual_fmac_f32 v90, v122, v19
	v_fma_f32 v84, -v117, v17, v136
	v_fmac_f32_e32 v16, v122, v18
	v_fma_f32 v100, -v109, v17, v137
	v_fmac_f32_e32 v78, v102, v18
	v_dual_fmac_f32 v92, v111, v18 :: v_dual_fmac_f32 v91, v102, v19
	v_fmac_f32_e32 v93, v119, v18
	s_delay_alu instid0(VALU_DEP_4)
	v_fmac_f32_e32 v100, v110, v18
	v_fma_f32 v16, -v123, v19, v16
	v_fma_f32 v17, -v103, v19, v78
	s_waitcnt vmcnt(4)
	v_dual_fmac_f32 v91, v113, v4 :: v_dual_fmac_f32 v84, v118, v18
	v_fmac_f32_e32 v92, v110, v19
	v_dual_fmac_f32 v93, v118, v19 :: v_dual_fmac_f32 v16, v104, v4
	s_delay_alu instid0(VALU_DEP_3) | instskip(SKIP_2) | instid1(VALU_DEP_3)
	v_dual_fmac_f32 v90, v105, v4 :: v_dual_fmac_f32 v91, v112, v5
	v_fmac_f32_e32 v17, v112, v4
	v_fma_f32 v18, -v119, v19, v84
	v_dual_fmac_f32 v93, v73, v4 :: v_dual_fmac_f32 v90, v104, v5
	v_fma_f32 v78, -v111, v19, v100
	v_fmac_f32_e32 v92, v69, v4
	s_delay_alu instid0(VALU_DEP_4) | instskip(NEXT) | instid1(VALU_DEP_4)
	v_dual_fmac_f32 v18, v72, v4 :: v_dual_fmac_f32 v91, v115, v6
	v_fmac_f32_e32 v93, v72, v5
	s_delay_alu instid0(VALU_DEP_4)
	v_fmac_f32_e32 v78, v68, v4
	v_fma_f32 v4, -v105, v5, v16
	v_fma_f32 v16, -v113, v5, v17
	;; [unrolled: 1-line block ×3, first 2 shown]
	v_dual_fmac_f32 v92, v68, v5 :: v_dual_fmac_f32 v93, v75, v6
	v_dual_fmac_f32 v90, v107, v6 :: v_dual_fmac_f32 v91, v114, v7
	s_delay_alu instid0(VALU_DEP_4) | instskip(NEXT) | instid1(VALU_DEP_4)
	v_fmac_f32_e32 v16, v114, v6
	v_fmac_f32_e32 v17, v74, v6
	v_fma_f32 v18, -v69, v5, v78
	v_dual_fmac_f32 v92, v71, v6 :: v_dual_fmac_f32 v93, v74, v7
	s_waitcnt vmcnt(3)
	v_fmac_f32_e32 v91, v53, v0
	v_fma_f32 v5, -v115, v7, v16
	v_fmac_f32_e32 v4, v106, v6
	v_dual_fmac_f32 v18, v70, v6 :: v_dual_fmac_f32 v93, v125, v0
	v_fma_f32 v6, -v75, v7, v17
	s_delay_alu instid0(VALU_DEP_4) | instskip(NEXT) | instid1(VALU_DEP_4)
	v_dual_fmac_f32 v92, v70, v7 :: v_dual_fmac_f32 v5, v52, v0
	v_fma_f32 v4, -v107, v7, v4
	s_delay_alu instid0(VALU_DEP_4) | instskip(SKIP_2) | instid1(VALU_DEP_4)
	v_dual_fmac_f32 v93, v124, v1 :: v_dual_fmac_f32 v90, v106, v7
	v_fmac_f32_e32 v91, v52, v1
	v_fma_f32 v16, -v71, v7, v18
	v_fmac_f32_e32 v4, v56, v0
	s_delay_alu instid0(VALU_DEP_4)
	v_dual_fmac_f32 v6, v124, v0 :: v_dual_fmac_f32 v93, v127, v2
	v_fmac_f32_e32 v90, v57, v0
	v_dual_fmac_f32 v92, v49, v0 :: v_dual_fmac_f32 v91, v55, v2
	v_fmac_f32_e32 v16, v48, v0
	v_fma_f32 v0, -v57, v1, v4
	v_fma_f32 v4, -v53, v1, v5
	v_fmac_f32_e32 v93, v126, v3
	v_fmac_f32_e32 v91, v54, v3
	v_fma_f32 v5, -v125, v1, v6
	v_fmac_f32_e32 v92, v48, v1
	v_fma_f32 v6, -v49, v1, v16
	s_waitcnt vmcnt(2)
	v_dual_fmac_f32 v93, v45, v95 :: v_dual_fmac_f32 v4, v54, v2
	v_dual_fmac_f32 v5, v126, v2 :: v_dual_fmac_f32 v90, v56, v1
	v_fmac_f32_e32 v91, v61, v95
	s_delay_alu instid0(VALU_DEP_3) | instskip(NEXT) | instid1(VALU_DEP_4)
	v_fmac_f32_e32 v93, v44, v96
	v_fma_f32 v1, -v55, v3, v4
	v_fmac_f32_e32 v0, v58, v2
	s_delay_alu instid0(VALU_DEP_4) | instskip(NEXT) | instid1(VALU_DEP_3)
	v_dual_fmac_f32 v90, v59, v2 :: v_dual_fmac_f32 v91, v60, v96
	v_dual_fmac_f32 v6, v50, v2 :: v_dual_fmac_f32 v1, v60, v95
	s_delay_alu instid0(VALU_DEP_2) | instskip(NEXT) | instid1(VALU_DEP_3)
	v_dual_fmac_f32 v93, v47, v97 :: v_dual_fmac_f32 v90, v58, v3
	v_fmac_f32_e32 v91, v63, v97
	s_delay_alu instid0(VALU_DEP_3) | instskip(NEXT) | instid1(VALU_DEP_4)
	v_fma_f32 v4, -v51, v3, v6
	v_fma_f32 v1, -v61, v96, v1
	v_fmac_f32_e32 v92, v51, v2
	s_delay_alu instid0(VALU_DEP_4) | instskip(NEXT) | instid1(VALU_DEP_3)
	v_dual_fmac_f32 v90, v41, v95 :: v_dual_fmac_f32 v91, v62, v98
	v_dual_fmac_f32 v4, v36, v95 :: v_dual_fmac_f32 v1, v62, v97
	v_fma_f32 v0, -v59, v3, v0
	v_fma_f32 v2, -v127, v3, v5
	v_fmac_f32_e32 v93, v46, v98
	v_cmp_ge_i32_e32 vcc_lo, v83, v94
	v_fma_f32 v1, -v63, v98, v1
	v_fmac_f32_e32 v92, v50, v3
	v_fmac_f32_e32 v2, v44, v95
	s_or_b32 s10, vcc_lo, s10
	s_delay_alu instid0(VALU_DEP_1)
	v_fma_f32 v2, -v45, v96, v2
	s_waitcnt vmcnt(1)
	v_fmac_f32_e32 v91, v65, v12
	v_fma_f32 v3, -v37, v96, v4
	v_fmac_f32_e32 v0, v40, v95
	v_fmac_f32_e32 v1, v64, v12
	;; [unrolled: 1-line block ×5, first 2 shown]
	v_fma_f32 v0, -v41, v96, v0
	v_fma_f32 v1, -v65, v13, v1
	s_delay_alu instid0(VALU_DEP_4) | instskip(NEXT) | instid1(VALU_DEP_4)
	v_dual_fmac_f32 v90, v40, v96 :: v_dual_fmac_f32 v91, v67, v14
	v_fma_f32 v3, -v39, v98, v3
	s_delay_alu instid0(VALU_DEP_3) | instskip(SKIP_2) | instid1(VALU_DEP_4)
	v_dual_fmac_f32 v92, v37, v95 :: v_dual_fmac_f32 v1, v66, v14
	v_fmac_f32_e32 v0, v42, v97
	v_fmac_f32_e32 v93, v20, v13
	;; [unrolled: 1-line block ×3, first 2 shown]
	s_delay_alu instid0(VALU_DEP_4) | instskip(NEXT) | instid1(VALU_DEP_4)
	v_dual_fmac_f32 v92, v36, v96 :: v_dual_fmac_f32 v91, v66, v15
	v_fma_f32 v0, -v43, v98, v0
	s_delay_alu instid0(VALU_DEP_4) | instskip(NEXT) | instid1(VALU_DEP_4)
	v_dual_fmac_f32 v2, v46, v97 :: v_dual_fmac_f32 v93, v23, v14
	v_fma_f32 v3, -v133, v13, v3
	v_fmac_f32_e32 v90, v43, v97
	v_fmac_f32_e32 v92, v39, v97
	s_delay_alu instid0(VALU_DEP_4) | instskip(NEXT) | instid1(VALU_DEP_4)
	v_dual_fmac_f32 v0, v28, v12 :: v_dual_fmac_f32 v93, v22, v15
	v_fmac_f32_e32 v3, v134, v14
	s_delay_alu instid0(VALU_DEP_4) | instskip(NEXT) | instid1(VALU_DEP_4)
	v_fmac_f32_e32 v90, v42, v98
	v_fmac_f32_e32 v92, v38, v98
	s_delay_alu instid0(VALU_DEP_4)
	v_fma_f32 v0, -v29, v13, v0
	v_fma_f32 v1, -v67, v15, v1
	;; [unrolled: 1-line block ×4, first 2 shown]
	s_waitcnt vmcnt(0)
	v_dual_fmac_f32 v91, v33, v8 :: v_dual_fmac_f32 v0, v30, v14
	v_fmac_f32_e32 v1, v32, v8
	v_fmac_f32_e32 v90, v29, v12
	;; [unrolled: 1-line block ×3, first 2 shown]
	s_delay_alu instid0(VALU_DEP_4) | instskip(NEXT) | instid1(VALU_DEP_4)
	v_dual_fmac_f32 v91, v32, v9 :: v_dual_fmac_f32 v92, v133, v12
	v_fma_f32 v1, -v33, v9, v1
	v_fmac_f32_e32 v2, v20, v12
	v_fmac_f32_e32 v90, v28, v13
	v_fma_f32 v0, -v31, v15, v0
	v_fmac_f32_e32 v93, v24, v9
	v_fmac_f32_e32 v1, v34, v10
	v_fma_f32 v2, -v21, v13, v2
	v_dual_fmac_f32 v92, v132, v13 :: v_dual_fmac_f32 v91, v35, v10
	v_dual_fmac_f32 v90, v31, v14 :: v_dual_fmac_f32 v3, v128, v8
	s_delay_alu instid0(VALU_DEP_3) | instskip(SKIP_1) | instid1(VALU_DEP_4)
	v_fmac_f32_e32 v2, v22, v14
	v_fma_f32 v97, -v35, v11, v1
	v_dual_fmac_f32 v92, v135, v14 :: v_dual_fmac_f32 v91, v34, v11
	s_delay_alu instid0(VALU_DEP_4) | instskip(NEXT) | instid1(VALU_DEP_4)
	v_dual_fmac_f32 v90, v30, v15 :: v_dual_fmac_f32 v93, v27, v10
	v_fma_f32 v2, -v23, v15, v2
	v_fma_f32 v3, -v129, v9, v3
	v_fmac_f32_e32 v0, v144, v8
	v_fmac_f32_e32 v92, v134, v15
	v_dual_fmac_f32 v90, v145, v8 :: v_dual_fmac_f32 v93, v26, v11
	s_delay_alu instid0(VALU_DEP_4) | instskip(NEXT) | instid1(VALU_DEP_4)
	v_dual_fmac_f32 v2, v24, v8 :: v_dual_fmac_f32 v3, v130, v10
	v_fma_f32 v0, -v145, v9, v0
	s_delay_alu instid0(VALU_DEP_4) | instskip(NEXT) | instid1(VALU_DEP_4)
	v_fmac_f32_e32 v92, v129, v8
	v_fmac_f32_e32 v90, v144, v9
	s_delay_alu instid0(VALU_DEP_4)
	v_fma_f32 v2, -v25, v9, v2
	v_fma_f32 v95, -v131, v11, v3
	v_fmac_f32_e32 v0, v146, v10
	v_fmac_f32_e32 v92, v128, v9
	;; [unrolled: 1-line block ×4, first 2 shown]
	s_delay_alu instid0(VALU_DEP_4) | instskip(NEXT) | instid1(VALU_DEP_4)
	v_fma_f32 v98, -v147, v11, v0
	v_fmac_f32_e32 v92, v131, v10
	s_delay_alu instid0(VALU_DEP_4) | instskip(NEXT) | instid1(VALU_DEP_4)
	v_fmac_f32_e32 v90, v146, v11
	v_fma_f32 v96, -v27, v11, v2
	s_delay_alu instid0(VALU_DEP_3)
	v_fmac_f32_e32 v92, v130, v11
	s_and_not1_b32 exec_lo, exec_lo, s10
	s_cbranch_execnz .LBB13_27
; %bb.28:
	s_or_b32 exec_lo, exec_lo, s10
.LBB13_29:
	s_delay_alu instid0(SALU_CYCLE_1)
	s_or_b32 exec_lo, exec_lo, s7
.LBB13_30:
	s_delay_alu instid0(SALU_CYCLE_1) | instskip(NEXT) | instid1(SALU_CYCLE_1)
	s_or_b32 exec_lo, exec_lo, s6
	s_and_not1_b32 vcc_lo, exec_lo, s3
	s_cbranch_vccz .LBB13_32
	s_branch .LBB13_43
.LBB13_31:
                                        ; implicit-def: $vgpr90
                                        ; implicit-def: $vgpr98
                                        ; implicit-def: $vgpr95
                                        ; implicit-def: $vgpr92
                                        ; implicit-def: $vgpr96
                                        ; implicit-def: $vgpr93
                                        ; implicit-def: $vgpr97
                                        ; implicit-def: $vgpr91
.LBB13_32:
	v_dual_mov_b32 v90, 0 :: v_dual_mov_b32 v95, 0
	v_dual_mov_b32 v98, 0 :: v_dual_mov_b32 v93, 0
	;; [unrolled: 1-line block ×4, first 2 shown]
	s_and_saveexec_b32 s3, s2
	s_cbranch_execz .LBB13_42
; %bb.33:
	v_dual_mov_b32 v91, 0 :: v_dual_add_nc_u32 v0, v99, v89
	v_not_b32_e32 v1, v99
	v_dual_mov_b32 v93, 0 :: v_dual_mov_b32 v92, 0
	s_delay_alu instid0(VALU_DEP_3) | instskip(SKIP_3) | instid1(VALU_DEP_2)
	v_subrev_nc_u32_e32 v0, s12, v0
	v_dual_mov_b32 v95, 0 :: v_dual_mov_b32 v90, 0
	s_mov_b32 s6, 0
	s_mov_b32 s2, exec_lo
	v_dual_mov_b32 v97, 0 :: v_dual_add_nc_u32 v0, 32, v0
	v_mov_b32_e32 v96, 0
	v_mov_b32_e32 v98, 0
	s_delay_alu instid0(VALU_DEP_3) | instskip(NEXT) | instid1(VALU_DEP_1)
	v_max_i32_e32 v0, v0, v94
	v_add3_u32 v0, v0, s12, v1
	s_delay_alu instid0(VALU_DEP_1) | instskip(NEXT) | instid1(VALU_DEP_1)
	v_sub_nc_u32_e32 v0, v0, v89
	v_lshrrev_b32_e32 v1, 5, v0
	s_delay_alu instid0(VALU_DEP_1) | instskip(NEXT) | instid1(VALU_DEP_1)
	v_add_nc_u32_e32 v1, 1, v1
	v_and_b32_e32 v1, 3, v1
	s_delay_alu instid0(VALU_DEP_1)
	v_cmpx_ne_u32_e32 0, v1
	s_cbranch_execz .LBB13_37
; %bb.34:
	v_dual_mov_b32 v90, 0 :: v_dual_lshlrev_b32 v1, 7, v1
	v_dual_mov_b32 v98, 0 :: v_dual_mov_b32 v95, 0
	v_dual_mov_b32 v92, 0 :: v_dual_mov_b32 v93, 0
	;; [unrolled: 1-line block ×3, first 2 shown]
	v_mov_b32_e32 v91, 0
.LBB13_35:                              ; =>This Inner Loop Header: Depth=1
	v_ashrrev_i32_e32 v78, 31, v77
	s_delay_alu instid0(VALU_DEP_1) | instskip(NEXT) | instid1(VALU_DEP_1)
	v_lshlrev_b64 v[2:3], 2, v[77:78]
	v_add_co_u32 v2, vcc_lo, s8, v2
	s_delay_alu instid0(VALU_DEP_2)
	v_add_co_ci_u32_e32 v3, vcc_lo, s9, v3, vcc_lo
	global_load_b32 v14, v[2:3], off
	s_clause 0x2
	global_load_b128 v[2:5], v[79:80], off offset:32
	global_load_b128 v[6:9], v[79:80], off offset:16
	global_load_b128 v[10:13], v[79:80], off
	s_waitcnt vmcnt(3)
	v_subrev_nc_u32_e32 v14, s12, v14
	s_delay_alu instid0(VALU_DEP_1) | instskip(NEXT) | instid1(VALU_DEP_1)
	v_lshlrev_b32_e32 v14, 2, v14
	v_ashrrev_i32_e32 v15, 31, v14
	s_delay_alu instid0(VALU_DEP_1) | instskip(SKIP_1) | instid1(VALU_DEP_1)
	v_lshlrev_b64 v[14:15], 3, v[14:15]
	s_waitcnt lgkmcnt(0)
	v_add_co_u32 v18, vcc_lo, s4, v14
	s_delay_alu instid0(VALU_DEP_2)
	v_add_co_ci_u32_e32 v19, vcc_lo, s5, v15, vcc_lo
	s_clause 0x1
	global_load_b128 v[14:17], v[18:19], off
	global_load_b128 v[18:21], v[18:19], off offset:16
	s_clause 0x4
	global_load_b128 v[22:25], v[79:80], off offset:48
	global_load_b128 v[26:29], v[79:80], off offset:64
	;; [unrolled: 1-line block ×5, first 2 shown]
	v_add_nc_u32_e32 v77, 32, v77
	v_add_nc_u32_e32 v1, 0xffffff80, v1
	v_add_co_u32 v79, vcc_lo, 0x1000, v79
	v_add_co_ci_u32_e32 v80, vcc_lo, 0, v80, vcc_lo
	s_waitcnt vmcnt(6)
	v_fmac_f32_e32 v98, v10, v14
	v_fmac_f32_e32 v90, v11, v14
	;; [unrolled: 1-line block ×3, first 2 shown]
	v_cmp_eq_u32_e32 vcc_lo, 0, v1
	s_delay_alu instid0(VALU_DEP_4) | instskip(NEXT) | instid1(VALU_DEP_4)
	v_fma_f32 v11, -v11, v15, v98
	v_fmac_f32_e32 v90, v10, v15
	s_delay_alu instid0(VALU_DEP_4)
	v_fma_f32 v10, -v13, v15, v97
	v_fmac_f32_e32 v93, v7, v14
	v_fmac_f32_e32 v95, v8, v14
	s_or_b32 s6, vcc_lo, s6
	v_fmac_f32_e32 v90, v3, v16
	v_fmac_f32_e32 v10, v4, v16
	v_dual_fmac_f32 v92, v9, v14 :: v_dual_fmac_f32 v93, v6, v15
	s_delay_alu instid0(VALU_DEP_3) | instskip(SKIP_1) | instid1(VALU_DEP_2)
	v_dual_fmac_f32 v91, v13, v14 :: v_dual_fmac_f32 v90, v2, v17
	s_waitcnt vmcnt(4)
	v_dual_fmac_f32 v92, v8, v15 :: v_dual_fmac_f32 v93, v23, v16
	s_delay_alu instid0(VALU_DEP_2) | instskip(SKIP_2) | instid1(VALU_DEP_3)
	v_dual_fmac_f32 v91, v12, v15 :: v_dual_fmac_f32 v96, v6, v14
	v_fma_f32 v6, -v9, v15, v95
	s_waitcnt vmcnt(3)
	v_dual_fmac_f32 v90, v27, v18 :: v_dual_fmac_f32 v93, v22, v17
	s_delay_alu instid0(VALU_DEP_3)
	v_fmac_f32_e32 v91, v5, v16
	v_fma_f32 v7, -v7, v15, v96
	v_fmac_f32_e32 v6, v24, v16
	s_waitcnt vmcnt(2)
	v_dual_fmac_f32 v92, v25, v16 :: v_dual_fmac_f32 v93, v31, v18
	v_fmac_f32_e32 v91, v4, v17
	v_fmac_f32_e32 v11, v2, v16
	v_fmac_f32_e32 v7, v22, v16
	v_fma_f32 v2, -v5, v17, v10
	v_fma_f32 v5, -v25, v17, v6
	v_fmac_f32_e32 v92, v24, v17
	v_fma_f32 v3, -v3, v17, v11
	v_fma_f32 v4, -v23, v17, v7
	v_dual_fmac_f32 v2, v28, v18 :: v_dual_fmac_f32 v93, v30, v19
	v_dual_fmac_f32 v91, v29, v18 :: v_dual_fmac_f32 v90, v26, v19
	s_delay_alu instid0(VALU_DEP_3)
	v_fmac_f32_e32 v4, v30, v18
	v_fmac_f32_e32 v5, v32, v18
	;; [unrolled: 1-line block ×4, first 2 shown]
	v_fma_f32 v2, -v29, v19, v2
	v_fmac_f32_e32 v91, v28, v19
	v_fma_f32 v4, -v31, v19, v4
	v_fmac_f32_e32 v92, v32, v19
	v_fma_f32 v3, -v27, v19, v3
	s_waitcnt vmcnt(1)
	v_fmac_f32_e32 v90, v35, v20
	v_fma_f32 v5, -v33, v19, v5
	v_fmac_f32_e32 v2, v36, v20
	v_fmac_f32_e32 v91, v37, v20
	;; [unrolled: 1-line block ×4, first 2 shown]
	s_waitcnt vmcnt(0)
	v_fmac_f32_e32 v4, v38, v20
	v_fmac_f32_e32 v5, v40, v20
	v_dual_fmac_f32 v91, v36, v21 :: v_dual_fmac_f32 v92, v41, v20
	v_fmac_f32_e32 v93, v39, v20
	v_fma_f32 v98, -v35, v21, v3
	v_fma_f32 v97, -v37, v21, v2
	;; [unrolled: 1-line block ×3, first 2 shown]
	v_fmac_f32_e32 v92, v40, v21
	v_fmac_f32_e32 v93, v38, v21
	v_fma_f32 v95, -v41, v21, v5
	s_and_not1_b32 exec_lo, exec_lo, s6
	s_cbranch_execnz .LBB13_35
; %bb.36:
	s_or_b32 exec_lo, exec_lo, s6
.LBB13_37:
	s_delay_alu instid0(SALU_CYCLE_1) | instskip(NEXT) | instid1(SALU_CYCLE_1)
	s_or_b32 exec_lo, exec_lo, s2
	s_mov_b32 s2, exec_lo
	v_cmpx_lt_u32_e32 0x5f, v0
	s_cbranch_execz .LBB13_41
; %bb.38:
	s_mov_b32 s6, 0
.LBB13_39:                              ; =>This Inner Loop Header: Depth=1
	v_add_co_u32 v56, vcc_lo, 0x1000, v79
	v_ashrrev_i32_e32 v78, 31, v77
	v_add_co_ci_u32_e32 v57, vcc_lo, 0, v80, vcc_lo
	v_add_co_u32 v64, vcc_lo, v79, 0x2000
	v_add_co_ci_u32_e32 v65, vcc_lo, 0, v80, vcc_lo
	v_add_co_u32 v115, vcc_lo, 0x2000, v79
	v_lshlrev_b64 v[107:108], 2, v[77:78]
	v_add_co_ci_u32_e32 v116, vcc_lo, 0, v80, vcc_lo
	v_add_co_u32 v117, vcc_lo, 0x3000, v79
	v_add_co_ci_u32_e32 v118, vcc_lo, 0, v80, vcc_lo
	s_delay_alu instid0(VALU_DEP_4)
	v_add_co_u32 v107, vcc_lo, s8, v107
	v_add_co_ci_u32_e32 v108, vcc_lo, s9, v108, vcc_lo
	s_clause 0x15
	global_load_b128 v[8:11], v[79:80], off offset:48
	global_load_b128 v[12:15], v[79:80], off offset:32
	;; [unrolled: 1-line block ×3, first 2 shown]
	global_load_b128 v[28:31], v[79:80], off
	global_load_b128 v[0:3], v[79:80], off offset:112
	global_load_b128 v[4:7], v[79:80], off offset:96
	;; [unrolled: 1-line block ×11, first 2 shown]
	global_load_b128 v[60:63], v[64:65], off offset:-4096
	global_load_b128 v[64:67], v[64:65], off
	global_load_b128 v[68:71], v[115:116], off offset:32
	global_load_b128 v[72:75], v[115:116], off offset:16
	;; [unrolled: 1-line block ×5, first 2 shown]
	s_clause 0x3
	global_load_b32 v78, v[107:108], off
	global_load_b32 v119, v[107:108], off offset:128
	global_load_b32 v120, v[107:108], off offset:256
	;; [unrolled: 1-line block ×3, first 2 shown]
	v_add_nc_u32_e32 v77, 0x80, v77
	s_waitcnt vmcnt(3)
	v_subrev_nc_u32_e32 v78, s12, v78
	s_delay_alu instid0(VALU_DEP_1) | instskip(NEXT) | instid1(VALU_DEP_1)
	v_lshlrev_b32_e32 v107, 2, v78
	v_ashrrev_i32_e32 v108, 31, v107
	s_delay_alu instid0(VALU_DEP_1) | instskip(SKIP_1) | instid1(VALU_DEP_1)
	v_lshlrev_b64 v[107:108], 3, v[107:108]
	s_waitcnt lgkmcnt(0)
	v_add_co_u32 v111, vcc_lo, s4, v107
	s_delay_alu instid0(VALU_DEP_2)
	v_add_co_ci_u32_e32 v112, vcc_lo, s5, v108, vcc_lo
	s_clause 0x1
	global_load_b128 v[107:110], v[111:112], off
	global_load_b128 v[111:114], v[111:112], off offset:16
	s_waitcnt vmcnt(1)
	v_fmac_f32_e32 v92, v23, v107
	v_fmac_f32_e32 v91, v31, v107
	;; [unrolled: 1-line block ×4, first 2 shown]
	s_delay_alu instid0(VALU_DEP_4) | instskip(NEXT) | instid1(VALU_DEP_4)
	v_fmac_f32_e32 v92, v22, v108
	v_dual_fmac_f32 v98, v28, v107 :: v_dual_fmac_f32 v91, v30, v108
	s_delay_alu instid0(VALU_DEP_4) | instskip(NEXT) | instid1(VALU_DEP_4)
	v_fmac_f32_e32 v93, v20, v108
	v_dual_fmac_f32 v90, v28, v108 :: v_dual_fmac_f32 v95, v22, v107
	s_delay_alu instid0(VALU_DEP_3) | instskip(NEXT) | instid1(VALU_DEP_2)
	v_fma_f32 v78, -v29, v108, v98
	v_dual_fmac_f32 v97, v30, v107 :: v_dual_fmac_f32 v90, v13, v109
	s_delay_alu instid0(VALU_DEP_3) | instskip(NEXT) | instid1(VALU_DEP_3)
	v_fma_f32 v95, -v23, v108, v95
	v_fmac_f32_e32 v78, v12, v109
	s_delay_alu instid0(VALU_DEP_3) | instskip(SKIP_1) | instid1(VALU_DEP_4)
	v_fma_f32 v97, -v31, v108, v97
	v_fmac_f32_e32 v96, v20, v107
	v_dual_fmac_f32 v90, v12, v110 :: v_dual_fmac_f32 v95, v10, v109
	s_delay_alu instid0(VALU_DEP_4)
	v_fma_f32 v78, -v13, v110, v78
	v_fmac_f32_e32 v93, v9, v109
	v_fmac_f32_e32 v97, v14, v109
	v_fma_f32 v96, -v21, v108, v96
	s_waitcnt vmcnt(0)
	v_fmac_f32_e32 v90, v25, v111
	v_fmac_f32_e32 v78, v24, v111
	v_dual_fmac_f32 v92, v11, v109 :: v_dual_fmac_f32 v93, v8, v110
	v_fmac_f32_e32 v91, v15, v109
	v_fma_f32 v107, -v15, v110, v97
	v_fmac_f32_e32 v96, v8, v109
	s_delay_alu instid0(VALU_DEP_4)
	v_fmac_f32_e32 v92, v10, v110
	v_fma_f32 v109, -v11, v110, v95
	v_fmac_f32_e32 v91, v14, v110
	v_fmac_f32_e32 v107, v26, v111
	v_fma_f32 v108, -v9, v110, v96
	v_fmac_f32_e32 v90, v24, v112
	v_fma_f32 v78, -v25, v112, v78
	;; [unrolled: 2-line block ×3, first 2 shown]
	v_fmac_f32_e32 v108, v16, v111
	v_subrev_nc_u32_e32 v107, s12, v119
	v_dual_fmac_f32 v109, v18, v111 :: v_dual_fmac_f32 v78, v4, v113
	v_fmac_f32_e32 v91, v26, v112
	s_delay_alu instid0(VALU_DEP_4)
	v_fma_f32 v122, -v17, v112, v108
	v_subrev_nc_u32_e32 v108, s12, v120
	v_dual_fmac_f32 v90, v5, v113 :: v_dual_lshlrev_b32 v107, 2, v107
	v_fmac_f32_e32 v92, v19, v111
	v_fmac_f32_e32 v93, v17, v111
	v_subrev_nc_u32_e32 v111, s12, v121
	s_delay_alu instid0(VALU_DEP_4) | instskip(SKIP_3) | instid1(VALU_DEP_4)
	v_dual_fmac_f32 v91, v7, v113 :: v_dual_fmac_f32 v90, v4, v114
	v_fma_f32 v123, -v19, v112, v109
	v_dual_fmac_f32 v110, v6, v113 :: v_dual_lshlrev_b32 v109, 2, v108
	v_ashrrev_i32_e32 v108, 31, v107
	v_dual_fmac_f32 v91, v6, v114 :: v_dual_lshlrev_b32 v4, 2, v111
	v_fma_f32 v78, -v5, v114, v78
	s_delay_alu instid0(VALU_DEP_4)
	v_fma_f32 v119, -v7, v114, v110
	v_ashrrev_i32_e32 v110, 31, v109
	v_lshlrev_b64 v[6:7], 3, v[107:108]
	v_ashrrev_i32_e32 v5, 31, v4
	v_fmac_f32_e32 v92, v18, v112
	v_fmac_f32_e32 v93, v16, v112
	v_lshlrev_b64 v[107:108], 3, v[109:110]
	v_fmac_f32_e32 v122, v0, v113
	v_lshlrev_b64 v[4:5], 3, v[4:5]
	v_add_co_u32 v6, vcc_lo, s4, v6
	v_add_co_ci_u32_e32 v7, vcc_lo, s5, v7, vcc_lo
	v_add_co_u32 v111, vcc_lo, s4, v107
	v_fmac_f32_e32 v123, v2, v113
	v_fmac_f32_e32 v92, v3, v113
	;; [unrolled: 1-line block ×3, first 2 shown]
	v_add_co_ci_u32_e32 v112, vcc_lo, s5, v108, vcc_lo
	s_clause 0x1
	global_load_b128 v[28:31], v[115:116], off offset:48
	global_load_b128 v[20:23], v[115:116], off offset:64
	v_add_co_u32 v115, vcc_lo, s4, v4
	s_clause 0x4
	global_load_b128 v[12:15], v[117:118], off offset:48
	global_load_b128 v[8:11], v[117:118], off offset:32
	global_load_b128 v[95:98], v[117:118], off
	global_load_b128 v[24:27], v[117:118], off offset:16
	global_load_b128 v[16:19], v[117:118], off offset:64
	v_add_co_ci_u32_e32 v116, vcc_lo, s5, v5, vcc_lo
	v_fma_f32 v113, -v1, v114, v122
	v_fma_f32 v120, -v3, v114, v123
	v_fmac_f32_e32 v92, v2, v114
	v_fmac_f32_e32 v93, v0, v114
	s_clause 0x2
	global_load_b128 v[0:3], v[6:7], off
	global_load_b128 v[4:7], v[6:7], off offset:16
	global_load_b128 v[107:110], v[111:112], off
	v_add_co_u32 v79, vcc_lo, 0x4000, v79
	v_add_co_ci_u32_e32 v80, vcc_lo, 0, v80, vcc_lo
	v_cmp_ge_i32_e32 vcc_lo, v77, v94
	s_or_b32 s6, vcc_lo, s6
	s_waitcnt vmcnt(2)
	v_fmac_f32_e32 v78, v60, v0
	v_fmac_f32_e32 v119, v62, v0
	;; [unrolled: 1-line block ×4, first 2 shown]
	s_delay_alu instid0(VALU_DEP_4) | instskip(NEXT) | instid1(VALU_DEP_4)
	v_fma_f32 v78, -v61, v1, v78
	v_fma_f32 v114, -v63, v1, v119
	s_delay_alu instid0(VALU_DEP_4) | instskip(NEXT) | instid1(VALU_DEP_4)
	v_fmac_f32_e32 v91, v62, v1
	v_fmac_f32_e32 v90, v60, v1
	global_load_b128 v[60:63], v[111:112], off offset:16
	v_dual_fmac_f32 v93, v37, v0 :: v_dual_fmac_f32 v78, v32, v2
	v_fmac_f32_e32 v120, v38, v0
	s_delay_alu instid0(VALU_DEP_2) | instskip(NEXT) | instid1(VALU_DEP_3)
	v_dual_fmac_f32 v114, v34, v2 :: v_dual_fmac_f32 v93, v36, v1
	v_fma_f32 v78, -v33, v3, v78
	s_delay_alu instid0(VALU_DEP_3) | instskip(NEXT) | instid1(VALU_DEP_3)
	v_fma_f32 v119, -v39, v1, v120
	v_fma_f32 v120, -v35, v3, v114
	s_delay_alu instid0(VALU_DEP_4) | instskip(SKIP_3) | instid1(VALU_DEP_3)
	v_fmac_f32_e32 v93, v53, v2
	v_fmac_f32_e32 v90, v33, v2
	s_waitcnt vmcnt(2)
	v_dual_fmac_f32 v119, v54, v2 :: v_dual_fmac_f32 v78, v56, v4
	v_fmac_f32_e32 v93, v52, v3
	s_delay_alu instid0(VALU_DEP_3) | instskip(NEXT) | instid1(VALU_DEP_1)
	v_dual_fmac_f32 v91, v35, v2 :: v_dual_fmac_f32 v90, v32, v3
	v_dual_fmac_f32 v92, v39, v0 :: v_dual_fmac_f32 v91, v34, v3
	s_delay_alu instid0(VALU_DEP_1) | instskip(NEXT) | instid1(VALU_DEP_2)
	v_dual_fmac_f32 v113, v36, v0 :: v_dual_fmac_f32 v92, v38, v1
	v_fmac_f32_e32 v91, v59, v4
	s_delay_alu instid0(VALU_DEP_2)
	v_fma_f32 v0, -v37, v1, v113
	global_load_b128 v[36:39], v[115:116], off
	global_load_b128 v[32:35], v[117:118], off offset:80
	global_load_b128 v[111:114], v[115:116], off offset:16
	v_fma_f32 v116, -v55, v3, v119
	v_dual_fmac_f32 v90, v57, v4 :: v_dual_fmac_f32 v91, v58, v5
	v_dual_fmac_f32 v0, v52, v2 :: v_dual_fmac_f32 v93, v49, v4
	s_delay_alu instid0(VALU_DEP_3) | instskip(NEXT) | instid1(VALU_DEP_3)
	v_fmac_f32_e32 v116, v50, v4
	v_dual_fmac_f32 v90, v56, v5 :: v_dual_fmac_f32 v91, v47, v6
	s_delay_alu instid0(VALU_DEP_3) | instskip(SKIP_2) | instid1(VALU_DEP_4)
	v_fma_f32 v115, -v53, v3, v0
	v_fmac_f32_e32 v92, v55, v2
	v_dual_fmac_f32 v120, v58, v4 :: v_dual_fmac_f32 v93, v48, v5
	v_fmac_f32_e32 v91, v46, v7
	s_delay_alu instid0(VALU_DEP_3)
	v_dual_fmac_f32 v115, v48, v4 :: v_dual_fmac_f32 v92, v54, v3
	s_clause 0x1
	global_load_b128 v[0:3], v[117:118], off offset:96
	global_load_b128 v[52:55], v[117:118], off offset:112
	v_fma_f32 v56, -v59, v5, v120
	v_fmac_f32_e32 v93, v41, v6
	v_fma_f32 v49, -v49, v5, v115
	v_fmac_f32_e32 v92, v51, v4
	v_fma_f32 v4, -v57, v5, v78
	s_waitcnt vmcnt(6)
	v_dual_fmac_f32 v56, v46, v6 :: v_dual_fmac_f32 v91, v67, v107
	s_delay_alu instid0(VALU_DEP_3) | instskip(NEXT) | instid1(VALU_DEP_3)
	v_dual_fmac_f32 v49, v40, v6 :: v_dual_fmac_f32 v92, v50, v5
	v_fmac_f32_e32 v4, v44, v6
	v_fma_f32 v48, -v51, v5, v116
	v_dual_fmac_f32 v90, v45, v6 :: v_dual_fmac_f32 v93, v40, v7
	v_fma_f32 v5, -v47, v7, v56
	v_fmac_f32_e32 v92, v43, v6
	s_delay_alu instid0(VALU_DEP_4)
	v_fmac_f32_e32 v48, v42, v6
	v_fma_f32 v4, -v45, v7, v4
	v_fmac_f32_e32 v93, v73, v107
	v_fmac_f32_e32 v5, v66, v107
	v_dual_fmac_f32 v90, v44, v7 :: v_dual_fmac_f32 v91, v66, v108
	v_fma_f32 v6, -v41, v7, v49
	v_fma_f32 v40, -v43, v7, v48
	v_dual_fmac_f32 v92, v42, v7 :: v_dual_fmac_f32 v93, v72, v108
	v_fma_f32 v5, -v67, v108, v5
	v_fmac_f32_e32 v4, v64, v107
	v_dual_fmac_f32 v90, v65, v107 :: v_dual_fmac_f32 v91, v71, v109
	s_delay_alu instid0(VALU_DEP_4)
	v_dual_fmac_f32 v6, v72, v107 :: v_dual_fmac_f32 v93, v29, v109
	v_fmac_f32_e32 v40, v74, v107
	v_fmac_f32_e32 v5, v70, v109
	v_fma_f32 v4, -v65, v108, v4
	v_dual_fmac_f32 v90, v64, v108 :: v_dual_fmac_f32 v91, v70, v110
	v_fmac_f32_e32 v93, v28, v110
	v_fma_f32 v7, -v75, v108, v40
	v_fmac_f32_e32 v92, v75, v107
	v_fma_f32 v5, -v71, v110, v5
	v_fma_f32 v6, -v73, v108, v6
	v_fmac_f32_e32 v4, v68, v109
	v_fmac_f32_e32 v90, v69, v109
	v_fmac_f32_e32 v7, v30, v109
	s_delay_alu instid0(VALU_DEP_1) | instskip(SKIP_1) | instid1(VALU_DEP_1)
	v_fma_f32 v7, -v31, v110, v7
	s_waitcnt vmcnt(5)
	v_dual_fmac_f32 v6, v28, v109 :: v_dual_fmac_f32 v7, v105, v60
	v_fmac_f32_e32 v5, v22, v60
	v_fmac_f32_e32 v91, v23, v60
	;; [unrolled: 1-line block ×4, first 2 shown]
	v_fma_f32 v4, -v69, v110, v4
	s_delay_alu instid0(VALU_DEP_4)
	v_dual_fmac_f32 v90, v68, v110 :: v_dual_fmac_f32 v91, v22, v61
	v_fma_f32 v5, -v23, v61, v5
	v_fmac_f32_e32 v93, v103, v61
	v_fmac_f32_e32 v92, v31, v109
	v_fma_f32 v6, -v29, v110, v6
	v_dual_fmac_f32 v4, v20, v60 :: v_dual_fmac_f32 v91, v102, v62
	v_fmac_f32_e32 v5, v101, v62
	s_delay_alu instid0(VALU_DEP_4) | instskip(SKIP_3) | instid1(VALU_DEP_4)
	v_fmac_f32_e32 v92, v30, v110
	v_dual_fmac_f32 v90, v21, v60 :: v_dual_fmac_f32 v93, v82, v62
	v_fmac_f32_e32 v6, v103, v60
	v_fma_f32 v7, -v106, v61, v7
	v_dual_fmac_f32 v91, v101, v63 :: v_dual_fmac_f32 v92, v106, v60
	v_fma_f32 v4, -v21, v61, v4
	v_fma_f32 v5, -v102, v63, v5
	s_delay_alu instid0(VALU_DEP_4) | instskip(NEXT) | instid1(VALU_DEP_4)
	v_dual_fmac_f32 v7, v83, v62 :: v_dual_fmac_f32 v90, v20, v61
	v_fmac_f32_e32 v92, v105, v61
	v_fmac_f32_e32 v93, v81, v63
	v_fma_f32 v6, -v104, v61, v6
	s_waitcnt vmcnt(4)
	v_dual_fmac_f32 v5, v97, v36 :: v_dual_fmac_f32 v4, v99, v62
	v_dual_fmac_f32 v91, v98, v36 :: v_dual_fmac_f32 v90, v100, v62
	;; [unrolled: 1-line block ×3, first 2 shown]
	v_fma_f32 v7, -v84, v63, v7
	s_delay_alu instid0(VALU_DEP_3) | instskip(SKIP_4) | instid1(VALU_DEP_4)
	v_fmac_f32_e32 v91, v97, v37
	v_fmac_f32_e32 v6, v81, v62
	v_fma_f32 v4, -v100, v63, v4
	v_dual_fmac_f32 v90, v99, v63 :: v_dual_fmac_f32 v93, v24, v37
	v_fmac_f32_e32 v7, v26, v36
	v_fma_f32 v6, -v82, v63, v6
	v_fma_f32 v5, -v98, v37, v5
	v_fmac_f32_e32 v92, v83, v63
	v_dual_fmac_f32 v4, v95, v36 :: v_dual_fmac_f32 v93, v13, v38
	v_dual_fmac_f32 v90, v96, v36 :: v_dual_fmac_f32 v91, v11, v38
	v_fma_f32 v7, -v27, v37, v7
	v_dual_fmac_f32 v6, v24, v36 :: v_dual_fmac_f32 v5, v10, v38
	s_delay_alu instid0(VALU_DEP_3) | instskip(SKIP_3) | instid1(VALU_DEP_3)
	v_dual_fmac_f32 v92, v27, v36 :: v_dual_fmac_f32 v91, v10, v39
	v_fma_f32 v4, -v96, v37, v4
	v_dual_fmac_f32 v90, v95, v37 :: v_dual_fmac_f32 v93, v12, v39
	s_waitcnt vmcnt(2)
	v_dual_fmac_f32 v92, v26, v37 :: v_dual_fmac_f32 v91, v19, v111
	v_fmac_f32_e32 v7, v14, v38
	v_fma_f32 v6, -v25, v37, v6
	v_fma_f32 v5, -v11, v39, v5
	v_fmac_f32_e32 v4, v8, v38
	v_dual_fmac_f32 v92, v15, v38 :: v_dual_fmac_f32 v91, v18, v112
	s_delay_alu instid0(VALU_DEP_4) | instskip(SKIP_3) | instid1(VALU_DEP_4)
	v_dual_fmac_f32 v6, v12, v38 :: v_dual_fmac_f32 v93, v33, v111
	v_fma_f32 v7, -v15, v39, v7
	v_dual_fmac_f32 v90, v9, v38 :: v_dual_fmac_f32 v5, v18, v111
	v_fma_f32 v4, -v9, v39, v4
	v_fma_f32 v6, -v13, v39, v6
	s_delay_alu instid0(VALU_DEP_4)
	v_fmac_f32_e32 v7, v34, v111
	v_dual_fmac_f32 v92, v14, v39 :: v_dual_fmac_f32 v93, v32, v112
	v_fma_f32 v5, -v19, v112, v5
	v_fmac_f32_e32 v90, v8, v39
	s_waitcnt vmcnt(1)
	v_dual_fmac_f32 v4, v16, v111 :: v_dual_fmac_f32 v91, v3, v113
	s_waitcnt vmcnt(0)
	v_dual_fmac_f32 v6, v32, v111 :: v_dual_fmac_f32 v93, v53, v113
	v_fmac_f32_e32 v92, v35, v111
	v_fma_f32 v7, -v35, v112, v7
	v_fmac_f32_e32 v91, v2, v114
	v_dual_fmac_f32 v5, v2, v113 :: v_dual_fmac_f32 v90, v17, v111
	v_fma_f32 v4, -v17, v112, v4
	s_delay_alu instid0(VALU_DEP_4) | instskip(SKIP_4) | instid1(VALU_DEP_4)
	v_fmac_f32_e32 v7, v54, v113
	v_fma_f32 v6, -v33, v112, v6
	v_dual_fmac_f32 v92, v34, v112 :: v_dual_fmac_f32 v93, v52, v114
	v_fmac_f32_e32 v90, v16, v112
	v_fmac_f32_e32 v4, v0, v113
	;; [unrolled: 1-line block ×3, first 2 shown]
	s_delay_alu instid0(VALU_DEP_4)
	v_fmac_f32_e32 v92, v55, v113
	v_fma_f32 v97, -v3, v114, v5
	v_fmac_f32_e32 v90, v1, v113
	v_fma_f32 v98, -v1, v114, v4
	v_fma_f32 v96, -v53, v114, v6
	v_fma_f32 v95, -v55, v114, v7
	v_fmac_f32_e32 v92, v54, v114
	v_fmac_f32_e32 v90, v0, v114
	s_and_not1_b32 exec_lo, exec_lo, s6
	s_cbranch_execnz .LBB13_39
; %bb.40:
	s_or_b32 exec_lo, exec_lo, s6
.LBB13_41:
	s_delay_alu instid0(SALU_CYCLE_1)
	s_or_b32 exec_lo, exec_lo, s2
.LBB13_42:
	s_delay_alu instid0(SALU_CYCLE_1)
	s_or_b32 exec_lo, exec_lo, s3
.LBB13_43:
	v_mbcnt_lo_u32_b32 v0, -1, 0
	s_delay_alu instid0(VALU_DEP_1) | instskip(SKIP_2) | instid1(VALU_DEP_3)
	v_xor_b32_e32 v1, 16, v0
	v_xor_b32_e32 v9, 8, v0
	;; [unrolled: 1-line block ×3, first 2 shown]
	v_cmp_gt_i32_e32 vcc_lo, 32, v1
	v_cndmask_b32_e32 v1, v0, v1, vcc_lo
	s_delay_alu instid0(VALU_DEP_4) | instskip(NEXT) | instid1(VALU_DEP_2)
	v_cmp_gt_i32_e32 vcc_lo, 32, v9
	v_lshlrev_b32_e32 v1, 2, v1
	ds_bpermute_b32 v4, v1, v97
	s_waitcnt lgkmcnt(0)
	v_add_f32_e32 v4, v97, v4
	ds_bpermute_b32 v2, v1, v98
	ds_bpermute_b32 v6, v1, v96
	;; [unrolled: 1-line block ×3, first 2 shown]
	v_cndmask_b32_e32 v9, v0, v9, vcc_lo
	ds_bpermute_b32 v3, v1, v90
	ds_bpermute_b32 v5, v1, v91
	;; [unrolled: 1-line block ×4, first 2 shown]
	v_cmp_gt_i32_e32 vcc_lo, 32, v17
	s_waitcnt lgkmcnt(6)
	v_dual_cndmask_b32 v17, v0, v17 :: v_dual_add_f32 v2, v98, v2
	s_waitcnt lgkmcnt(5)
	v_add_f32_e32 v6, v96, v6
	s_waitcnt lgkmcnt(4)
	v_dual_add_f32 v8, v95, v8 :: v_dual_lshlrev_b32 v9, 2, v9
	s_waitcnt lgkmcnt(0)
	v_add_f32_e32 v1, v92, v1
	ds_bpermute_b32 v10, v9, v2
	ds_bpermute_b32 v12, v9, v4
	;; [unrolled: 1-line block ×3, first 2 shown]
	v_add_f32_e32 v3, v90, v3
	v_add_f32_e32 v5, v91, v5
	;; [unrolled: 1-line block ×3, first 2 shown]
	ds_bpermute_b32 v16, v9, v8
	s_waitcnt lgkmcnt(3)
	v_dual_add_f32 v2, v2, v10 :: v_dual_lshlrev_b32 v17, 2, v17
	ds_bpermute_b32 v13, v9, v5
	s_waitcnt lgkmcnt(3)
	v_add_f32_e32 v4, v4, v12
	ds_bpermute_b32 v11, v9, v3
	s_waitcnt lgkmcnt(3)
	v_add_f32_e32 v6, v6, v14
	;; [unrolled: 3-line block ×4, first 2 shown]
	ds_bpermute_b32 v9, v17, v2
	v_add_f32_e32 v3, v3, v11
	ds_bpermute_b32 v11, v17, v4
	v_add_f32_e32 v5, v5, v13
	;; [unrolled: 2-line block ×3, first 2 shown]
	ds_bpermute_b32 v15, v17, v8
	s_waitcnt lgkmcnt(3)
	v_add_f32_e32 v2, v2, v9
	ds_bpermute_b32 v10, v17, v3
	s_waitcnt lgkmcnt(3)
	v_add_f32_e32 v4, v4, v11
	;; [unrolled: 3-line block ×4, first 2 shown]
	ds_bpermute_b32 v16, v17, v1
	v_xor_b32_e32 v17, 2, v0
	s_delay_alu instid0(VALU_DEP_1) | instskip(SKIP_3) | instid1(VALU_DEP_2)
	v_cmp_gt_i32_e32 vcc_lo, 32, v17
	v_cndmask_b32_e32 v17, v0, v17, vcc_lo
	s_waitcnt lgkmcnt(3)
	v_add_f32_e32 v3, v3, v10
	v_lshlrev_b32_e32 v17, 2, v17
	ds_bpermute_b32 v13, v17, v6
	s_waitcnt lgkmcnt(2)
	v_add_f32_e32 v7, v7, v14
	ds_bpermute_b32 v15, v17, v8
	s_waitcnt lgkmcnt(2)
	v_add_f32_e32 v9, v1, v16
	ds_bpermute_b32 v1, v17, v2
	v_add_f32_e32 v5, v5, v12
	ds_bpermute_b32 v10, v17, v3
	ds_bpermute_b32 v11, v17, v4
	;; [unrolled: 1-line block ×5, first 2 shown]
	v_xor_b32_e32 v17, 1, v0
	s_delay_alu instid0(VALU_DEP_1) | instskip(SKIP_3) | instid1(VALU_DEP_2)
	v_cmp_gt_i32_e32 vcc_lo, 32, v17
	v_cndmask_b32_e32 v0, v0, v17, vcc_lo
	v_cmp_eq_u32_e32 vcc_lo, 31, v89
	s_waitcnt lgkmcnt(5)
	v_dual_add_f32 v0, v2, v1 :: v_dual_lshlrev_b32 v17, 2, v0
	s_waitcnt lgkmcnt(3)
	v_dual_add_f32 v1, v3, v10 :: v_dual_add_f32 v2, v4, v11
	s_waitcnt lgkmcnt(0)
	v_dual_add_f32 v3, v5, v12 :: v_dual_add_f32 v4, v6, v13
	v_dual_add_f32 v5, v7, v14 :: v_dual_add_f32 v6, v8, v15
	v_add_f32_e32 v7, v9, v16
	ds_bpermute_b32 v8, v17, v0
	ds_bpermute_b32 v9, v17, v1
	;; [unrolled: 1-line block ×8, first 2 shown]
	s_and_b32 exec_lo, exec_lo, vcc_lo
	s_cbranch_execz .LBB13_13
; %bb.44:
	s_load_b64 s[2:3], s[0:1], 0x50
	s_waitcnt lgkmcnt(0)
	v_add_f32_e32 v8, v0, v8
	v_dual_add_f32 v0, v1, v9 :: v_dual_add_f32 v1, v3, v11
	v_dual_add_f32 v9, v2, v10 :: v_dual_add_f32 v2, v5, v13
	v_dual_add_f32 v3, v7, v15 :: v_dual_add_f32 v10, v4, v12
	v_add_f32_e32 v11, v6, v14
	s_delay_alu instid0(VALU_DEP_4)
	v_mul_f32_e64 v4, v0, -v88
	v_mul_f32_e32 v5, v0, v87
	v_mul_f32_e64 v6, v1, -v88
	v_mul_f32_e32 v7, v1, v87
	;; [unrolled: 2-line block ×3, first 2 shown]
	v_mul_f32_e64 v2, v3, -v88
	v_fmac_f32_e32 v6, v87, v9
	v_mul_f32_e32 v3, v3, v87
	v_cmp_eq_f32_e32 vcc_lo, 0, v85
	v_cmp_eq_f32_e64 s0, 0, v86
	v_fmac_f32_e32 v4, v87, v8
	v_dual_fmac_f32 v5, v88, v8 :: v_dual_fmac_f32 v0, v87, v10
	v_dual_fmac_f32 v7, v88, v9 :: v_dual_lshlrev_b32 v8, 2, v76
	v_dual_fmac_f32 v2, v87, v11 :: v_dual_fmac_f32 v1, v88, v10
	v_fmac_f32_e32 v3, v88, v11
	s_and_b32 s0, vcc_lo, s0
	s_delay_alu instid0(SALU_CYCLE_1) | instskip(NEXT) | instid1(SALU_CYCLE_1)
	s_and_saveexec_b32 s1, s0
	s_xor_b32 s0, exec_lo, s1
; %bb.45:
	v_ashrrev_i32_e32 v9, 31, v8
                                        ; implicit-def: $vgpr85
                                        ; implicit-def: $vgpr86
	s_delay_alu instid0(VALU_DEP_1) | instskip(NEXT) | instid1(VALU_DEP_1)
	v_lshlrev_b64 v[8:9], 3, v[8:9]
	v_add_co_u32 v8, vcc_lo, s2, v8
	s_delay_alu instid0(VALU_DEP_2)
	v_add_co_ci_u32_e32 v9, vcc_lo, s3, v9, vcc_lo
	s_clause 0x1
	global_store_b128 v[8:9], v[4:7], off
	global_store_b128 v[8:9], v[0:3], off offset:16
                                        ; implicit-def: $vgpr4
                                        ; implicit-def: $vgpr8
                                        ; implicit-def: $vgpr0
; %bb.46:
	s_and_not1_saveexec_b32 s0, s0
	s_cbranch_execz .LBB13_13
; %bb.47:
	v_ashrrev_i32_e32 v9, 31, v8
	s_delay_alu instid0(VALU_DEP_1) | instskip(NEXT) | instid1(VALU_DEP_1)
	v_lshlrev_b64 v[8:9], 3, v[8:9]
	v_add_co_u32 v16, vcc_lo, s2, v8
	s_delay_alu instid0(VALU_DEP_2)
	v_add_co_ci_u32_e32 v17, vcc_lo, s3, v9, vcc_lo
	s_clause 0x1
	global_load_b128 v[8:11], v[16:17], off
	global_load_b128 v[12:15], v[16:17], off offset:16
	s_waitcnt vmcnt(1)
	v_dual_fmac_f32 v4, v85, v8 :: v_dual_fmac_f32 v7, v86, v10
	v_dual_fmac_f32 v5, v86, v8 :: v_dual_fmac_f32 v6, v85, v10
	s_waitcnt vmcnt(0)
	v_dual_fmac_f32 v0, v85, v12 :: v_dual_fmac_f32 v3, v86, v14
	v_dual_fmac_f32 v1, v86, v12 :: v_dual_fmac_f32 v2, v85, v14
	v_fma_f32 v4, -v86, v9, v4
	v_fmac_f32_e32 v5, v85, v9
	v_fma_f32 v6, -v86, v11, v6
	v_fmac_f32_e32 v7, v85, v11
	;; [unrolled: 2-line block ×4, first 2 shown]
	s_clause 0x1
	global_store_b128 v[16:17], v[4:7], off
	global_store_b128 v[16:17], v[0:3], off offset:16
	s_nop 0
	s_sendmsg sendmsg(MSG_DEALLOC_VGPRS)
	s_endpgm
	.section	.rodata,"a",@progbits
	.p2align	6, 0x0
	.amdhsa_kernel _ZN9rocsparseL18bsrxmvn_4x4_kernelILj128ELj32E21rocsparse_complex_numIfEiiS2_S2_S2_EEvT3_20rocsparse_direction_NS_24const_host_device_scalarIT1_EES3_PKS3_PKT2_SC_S9_PKT4_PKT5_S7_PT6_21rocsparse_index_base_b
		.amdhsa_group_segment_fixed_size 0
		.amdhsa_private_segment_fixed_size 0
		.amdhsa_kernarg_size 96
		.amdhsa_user_sgpr_count 15
		.amdhsa_user_sgpr_dispatch_ptr 0
		.amdhsa_user_sgpr_queue_ptr 0
		.amdhsa_user_sgpr_kernarg_segment_ptr 1
		.amdhsa_user_sgpr_dispatch_id 0
		.amdhsa_user_sgpr_private_segment_size 0
		.amdhsa_wavefront_size32 1
		.amdhsa_uses_dynamic_stack 0
		.amdhsa_enable_private_segment 0
		.amdhsa_system_sgpr_workgroup_id_x 1
		.amdhsa_system_sgpr_workgroup_id_y 0
		.amdhsa_system_sgpr_workgroup_id_z 0
		.amdhsa_system_sgpr_workgroup_info 0
		.amdhsa_system_vgpr_workitem_id 0
		.amdhsa_next_free_vgpr 152
		.amdhsa_next_free_sgpr 16
		.amdhsa_reserve_vcc 1
		.amdhsa_float_round_mode_32 0
		.amdhsa_float_round_mode_16_64 0
		.amdhsa_float_denorm_mode_32 3
		.amdhsa_float_denorm_mode_16_64 3
		.amdhsa_dx10_clamp 1
		.amdhsa_ieee_mode 1
		.amdhsa_fp16_overflow 0
		.amdhsa_workgroup_processor_mode 1
		.amdhsa_memory_ordered 1
		.amdhsa_forward_progress 0
		.amdhsa_shared_vgpr_count 0
		.amdhsa_exception_fp_ieee_invalid_op 0
		.amdhsa_exception_fp_denorm_src 0
		.amdhsa_exception_fp_ieee_div_zero 0
		.amdhsa_exception_fp_ieee_overflow 0
		.amdhsa_exception_fp_ieee_underflow 0
		.amdhsa_exception_fp_ieee_inexact 0
		.amdhsa_exception_int_div_zero 0
	.end_amdhsa_kernel
	.section	.text._ZN9rocsparseL18bsrxmvn_4x4_kernelILj128ELj32E21rocsparse_complex_numIfEiiS2_S2_S2_EEvT3_20rocsparse_direction_NS_24const_host_device_scalarIT1_EES3_PKS3_PKT2_SC_S9_PKT4_PKT5_S7_PT6_21rocsparse_index_base_b,"axG",@progbits,_ZN9rocsparseL18bsrxmvn_4x4_kernelILj128ELj32E21rocsparse_complex_numIfEiiS2_S2_S2_EEvT3_20rocsparse_direction_NS_24const_host_device_scalarIT1_EES3_PKS3_PKT2_SC_S9_PKT4_PKT5_S7_PT6_21rocsparse_index_base_b,comdat
.Lfunc_end13:
	.size	_ZN9rocsparseL18bsrxmvn_4x4_kernelILj128ELj32E21rocsparse_complex_numIfEiiS2_S2_S2_EEvT3_20rocsparse_direction_NS_24const_host_device_scalarIT1_EES3_PKS3_PKT2_SC_S9_PKT4_PKT5_S7_PT6_21rocsparse_index_base_b, .Lfunc_end13-_ZN9rocsparseL18bsrxmvn_4x4_kernelILj128ELj32E21rocsparse_complex_numIfEiiS2_S2_S2_EEvT3_20rocsparse_direction_NS_24const_host_device_scalarIT1_EES3_PKS3_PKT2_SC_S9_PKT4_PKT5_S7_PT6_21rocsparse_index_base_b
                                        ; -- End function
	.section	.AMDGPU.csdata,"",@progbits
; Kernel info:
; codeLenInByte = 7672
; NumSgprs: 18
; NumVgprs: 152
; ScratchSize: 0
; MemoryBound: 0
; FloatMode: 240
; IeeeMode: 1
; LDSByteSize: 0 bytes/workgroup (compile time only)
; SGPRBlocks: 2
; VGPRBlocks: 18
; NumSGPRsForWavesPerEU: 18
; NumVGPRsForWavesPerEU: 152
; Occupancy: 9
; WaveLimiterHint : 1
; COMPUTE_PGM_RSRC2:SCRATCH_EN: 0
; COMPUTE_PGM_RSRC2:USER_SGPR: 15
; COMPUTE_PGM_RSRC2:TRAP_HANDLER: 0
; COMPUTE_PGM_RSRC2:TGID_X_EN: 1
; COMPUTE_PGM_RSRC2:TGID_Y_EN: 0
; COMPUTE_PGM_RSRC2:TGID_Z_EN: 0
; COMPUTE_PGM_RSRC2:TIDIG_COMP_CNT: 0
	.section	.text._ZN9rocsparseL18bsrxmvn_4x4_kernelILj128ELj64E21rocsparse_complex_numIfEiiS2_S2_S2_EEvT3_20rocsparse_direction_NS_24const_host_device_scalarIT1_EES3_PKS3_PKT2_SC_S9_PKT4_PKT5_S7_PT6_21rocsparse_index_base_b,"axG",@progbits,_ZN9rocsparseL18bsrxmvn_4x4_kernelILj128ELj64E21rocsparse_complex_numIfEiiS2_S2_S2_EEvT3_20rocsparse_direction_NS_24const_host_device_scalarIT1_EES3_PKS3_PKT2_SC_S9_PKT4_PKT5_S7_PT6_21rocsparse_index_base_b,comdat
	.globl	_ZN9rocsparseL18bsrxmvn_4x4_kernelILj128ELj64E21rocsparse_complex_numIfEiiS2_S2_S2_EEvT3_20rocsparse_direction_NS_24const_host_device_scalarIT1_EES3_PKS3_PKT2_SC_S9_PKT4_PKT5_S7_PT6_21rocsparse_index_base_b ; -- Begin function _ZN9rocsparseL18bsrxmvn_4x4_kernelILj128ELj64E21rocsparse_complex_numIfEiiS2_S2_S2_EEvT3_20rocsparse_direction_NS_24const_host_device_scalarIT1_EES3_PKS3_PKT2_SC_S9_PKT4_PKT5_S7_PT6_21rocsparse_index_base_b
	.p2align	8
	.type	_ZN9rocsparseL18bsrxmvn_4x4_kernelILj128ELj64E21rocsparse_complex_numIfEiiS2_S2_S2_EEvT3_20rocsparse_direction_NS_24const_host_device_scalarIT1_EES3_PKS3_PKT2_SC_S9_PKT4_PKT5_S7_PT6_21rocsparse_index_base_b,@function
_ZN9rocsparseL18bsrxmvn_4x4_kernelILj128ELj64E21rocsparse_complex_numIfEiiS2_S2_S2_EEvT3_20rocsparse_direction_NS_24const_host_device_scalarIT1_EES3_PKS3_PKT2_SC_S9_PKT4_PKT5_S7_PT6_21rocsparse_index_base_b: ; @_ZN9rocsparseL18bsrxmvn_4x4_kernelILj128ELj64E21rocsparse_complex_numIfEiiS2_S2_S2_EEvT3_20rocsparse_direction_NS_24const_host_device_scalarIT1_EES3_PKS3_PKT2_SC_S9_PKT4_PKT5_S7_PT6_21rocsparse_index_base_b
; %bb.0:
	s_clause 0x2
	s_load_b64 s[12:13], s[0:1], 0x58
	s_load_b64 s[4:5], s[0:1], 0x8
	;; [unrolled: 1-line block ×3, first 2 shown]
	s_waitcnt lgkmcnt(0)
	s_bitcmp1_b32 s13, 0
	v_mov_b32_e32 v87, s4
	s_cselect_b32 s6, -1, 0
	s_delay_alu instid0(SALU_CYCLE_1)
	s_and_b32 vcc_lo, exec_lo, s6
	s_xor_b32 s6, s6, -1
	s_cbranch_vccz .LBB14_14
; %bb.1:
	v_cndmask_b32_e64 v1, 0, 1, s6
	v_mov_b32_e32 v88, s5
	s_and_not1_b32 vcc_lo, exec_lo, s6
	s_cbranch_vccz .LBB14_15
.LBB14_2:
	s_delay_alu instid0(VALU_DEP_2)
	v_cmp_ne_u32_e32 vcc_lo, 1, v1
	v_mov_b32_e32 v85, s2
	s_cbranch_vccz .LBB14_16
.LBB14_3:
	v_cmp_ne_u32_e32 vcc_lo, 1, v1
	v_mov_b32_e32 v86, s3
	s_cbranch_vccnz .LBB14_5
.LBB14_4:
	v_dual_mov_b32 v1, s2 :: v_dual_mov_b32 v2, s3
	flat_load_b32 v86, v[1:2] offset:4
.LBB14_5:
	s_waitcnt vmcnt(0) lgkmcnt(0)
	v_cmp_eq_f32_e32 vcc_lo, 0, v87
	v_cmp_eq_f32_e64 s2, 0, v88
	s_delay_alu instid0(VALU_DEP_1)
	s_and_b32 s4, vcc_lo, s2
	s_mov_b32 s2, -1
	s_and_saveexec_b32 s3, s4
; %bb.6:
	v_cmp_neq_f32_e32 vcc_lo, 1.0, v85
	v_cmp_neq_f32_e64 s2, 0, v86
	s_delay_alu instid0(VALU_DEP_1) | instskip(NEXT) | instid1(SALU_CYCLE_1)
	s_or_b32 s2, vcc_lo, s2
	s_or_not1_b32 s2, s2, exec_lo
; %bb.7:
	s_or_b32 exec_lo, exec_lo, s3
	s_and_saveexec_b32 s3, s2
	s_cbranch_execz .LBB14_13
; %bb.8:
	s_clause 0x1
	s_load_b64 s[4:5], s[0:1], 0x18
	s_load_b64 s[2:3], s[0:1], 0x0
	v_lshrrev_b32_e32 v1, 6, v0
	s_delay_alu instid0(VALU_DEP_1)
	v_lshl_or_b32 v76, s15, 1, v1
	s_waitcnt lgkmcnt(0)
	s_cmp_lg_u64 s[4:5], 0
	s_cbranch_scc0 .LBB14_17
; %bb.9:
	s_load_b32 s6, s[0:1], 0x10
	s_mov_b32 s7, 0
                                        ; implicit-def: $vgpr1
	s_waitcnt lgkmcnt(0)
	v_cmp_gt_i32_e32 vcc_lo, s6, v76
	s_mov_b32 s6, 0
	s_and_saveexec_b32 s8, vcc_lo
	s_delay_alu instid0(SALU_CYCLE_1)
	s_xor_b32 s8, exec_lo, s8
	s_cbranch_execz .LBB14_11
; %bb.10:
	v_ashrrev_i32_e32 v77, 31, v76
	s_mov_b32 s6, exec_lo
	s_delay_alu instid0(VALU_DEP_1) | instskip(NEXT) | instid1(VALU_DEP_1)
	v_lshlrev_b64 v[1:2], 2, v[76:77]
	v_add_co_u32 v1, vcc_lo, s4, v1
	s_delay_alu instid0(VALU_DEP_2)
	v_add_co_ci_u32_e32 v2, vcc_lo, s5, v2, vcc_lo
	global_load_b32 v1, v[1:2], off
	s_waitcnt vmcnt(0)
	v_subrev_nc_u32_e32 v1, s12, v1
.LBB14_11:
	s_or_b32 exec_lo, exec_lo, s8
	s_delay_alu instid0(SALU_CYCLE_1)
	s_and_b32 vcc_lo, exec_lo, s7
	s_cbranch_vccz .LBB14_18
.LBB14_12:
	v_cmp_gt_i32_e32 vcc_lo, s2, v76
	s_and_not1_b32 s2, s6, exec_lo
	s_and_b32 s4, vcc_lo, exec_lo
	s_delay_alu instid0(SALU_CYCLE_1) | instskip(NEXT) | instid1(SALU_CYCLE_1)
	s_or_b32 s6, s2, s4
	s_and_b32 exec_lo, exec_lo, s6
	s_cbranch_execnz .LBB14_19
.LBB14_13:
	s_nop 0
	s_sendmsg sendmsg(MSG_DEALLOC_VGPRS)
	s_endpgm
.LBB14_14:
	v_dual_mov_b32 v1, s4 :: v_dual_mov_b32 v2, s5
	flat_load_b32 v87, v[1:2]
	v_cndmask_b32_e64 v1, 0, 1, s6
	v_mov_b32_e32 v88, s5
	s_and_not1_b32 vcc_lo, exec_lo, s6
	s_cbranch_vccnz .LBB14_2
.LBB14_15:
	v_dual_mov_b32 v2, s4 :: v_dual_mov_b32 v3, s5
	flat_load_b32 v88, v[2:3] offset:4
	v_cmp_ne_u32_e32 vcc_lo, 1, v1
	v_mov_b32_e32 v85, s2
	s_cbranch_vccnz .LBB14_3
.LBB14_16:
	v_dual_mov_b32 v2, s2 :: v_dual_mov_b32 v3, s3
	flat_load_b32 v85, v[2:3]
	v_cmp_ne_u32_e32 vcc_lo, 1, v1
	v_mov_b32_e32 v86, s3
	s_cbranch_vccz .LBB14_4
	s_branch .LBB14_5
.LBB14_17:
	s_mov_b32 s6, 0
                                        ; implicit-def: $vgpr1
	s_cbranch_execnz .LBB14_12
.LBB14_18:
	s_delay_alu instid0(VALU_DEP_1)
	v_mov_b32_e32 v76, v1
	s_and_b32 exec_lo, exec_lo, s6
	s_cbranch_execz .LBB14_13
.LBB14_19:
	s_load_b256 s[4:11], s[0:1], 0x20
	s_delay_alu instid0(VALU_DEP_1) | instskip(SKIP_1) | instid1(VALU_DEP_2)
	v_ashrrev_i32_e32 v77, 31, v76
	v_and_b32_e32 v89, 63, v0
	v_lshlrev_b64 v[1:2], 2, v[76:77]
	s_waitcnt lgkmcnt(0)
	s_delay_alu instid0(VALU_DEP_1) | instskip(NEXT) | instid1(VALU_DEP_2)
	v_add_co_u32 v3, vcc_lo, s4, v1
	v_add_co_ci_u32_e32 v4, vcc_lo, s5, v2, vcc_lo
	v_add_co_u32 v1, vcc_lo, s6, v1
	v_add_co_ci_u32_e32 v2, vcc_lo, s7, v2, vcc_lo
	global_load_b32 v99, v[3:4], off
	v_add_co_u32 v3, vcc_lo, v3, 4
	v_add_co_ci_u32_e32 v4, vcc_lo, 0, v4, vcc_lo
	s_cmp_eq_u64 s[6:7], 0
	s_load_b64 s[4:5], s[0:1], 0x40
	s_cselect_b32 vcc_lo, -1, 0
	s_cmp_eq_u32 s3, 1
	v_dual_cndmask_b32 v2, v2, v4 :: v_dual_cndmask_b32 v1, v1, v3
	global_load_b32 v2, v[1:2], off
	s_waitcnt vmcnt(1)
	v_subrev_nc_u32_e32 v0, s12, v99
	s_delay_alu instid0(VALU_DEP_1) | instskip(NEXT) | instid1(VALU_DEP_1)
	v_add_nc_u32_e32 v77, v0, v89
	v_ashrrev_i32_e32 v78, 31, v77
	s_waitcnt vmcnt(0)
	v_subrev_nc_u32_e32 v94, s12, v2
	s_delay_alu instid0(VALU_DEP_2) | instskip(NEXT) | instid1(VALU_DEP_2)
	v_lshlrev_b64 v[0:1], 7, v[77:78]
	v_cmp_lt_i32_e64 s2, v77, v94
	s_delay_alu instid0(VALU_DEP_2) | instskip(NEXT) | instid1(VALU_DEP_3)
	v_add_co_u32 v79, vcc_lo, s10, v0
	v_add_co_ci_u32_e32 v80, vcc_lo, s11, v1, vcc_lo
	s_cbranch_scc1 .LBB14_31
; %bb.20:
	v_dual_mov_b32 v90, 0 :: v_dual_mov_b32 v95, 0
	v_dual_mov_b32 v98, 0 :: v_dual_mov_b32 v93, 0
	;; [unrolled: 1-line block ×4, first 2 shown]
	s_mov_b32 s3, 0
	s_and_saveexec_b32 s6, s2
	s_cbranch_execz .LBB14_30
; %bb.21:
	v_dual_mov_b32 v91, 0 :: v_dual_add_nc_u32 v0, v99, v89
	v_not_b32_e32 v1, v99
	v_dual_mov_b32 v93, 0 :: v_dual_mov_b32 v92, 0
	s_delay_alu instid0(VALU_DEP_3) | instskip(SKIP_2) | instid1(VALU_DEP_3)
	v_subrev_nc_u32_e32 v0, s12, v0
	v_dual_mov_b32 v95, 0 :: v_dual_mov_b32 v90, 0
	v_dual_mov_b32 v82, v80 :: v_dual_mov_b32 v81, v79
	v_dual_mov_b32 v97, 0 :: v_dual_add_nc_u32 v0, 64, v0
	v_mov_b32_e32 v83, v77
	s_mov_b32 s10, 0
	s_mov_b32 s7, exec_lo
	s_delay_alu instid0(VALU_DEP_2) | instskip(SKIP_2) | instid1(VALU_DEP_3)
	v_max_i32_e32 v0, v0, v94
	v_mov_b32_e32 v96, 0
	v_mov_b32_e32 v98, 0
	v_add3_u32 v0, v0, s12, v1
	s_delay_alu instid0(VALU_DEP_1) | instskip(NEXT) | instid1(VALU_DEP_1)
	v_sub_nc_u32_e32 v0, v0, v89
	v_lshrrev_b32_e32 v1, 6, v0
	s_delay_alu instid0(VALU_DEP_1) | instskip(NEXT) | instid1(VALU_DEP_1)
	v_add_nc_u32_e32 v1, 1, v1
	v_and_b32_e32 v1, 3, v1
	s_delay_alu instid0(VALU_DEP_1)
	v_cmpx_ne_u32_e32 0, v1
	s_cbranch_execz .LBB14_25
; %bb.22:
	v_dual_mov_b32 v83, v77 :: v_dual_mov_b32 v82, v80
	v_dual_mov_b32 v90, 0 :: v_dual_lshlrev_b32 v1, 7, v1
	v_dual_mov_b32 v81, v79 :: v_dual_mov_b32 v98, 0
	v_dual_mov_b32 v95, 0 :: v_dual_mov_b32 v92, 0
	;; [unrolled: 1-line block ×3, first 2 shown]
	v_mov_b32_e32 v97, 0
	v_mov_b32_e32 v91, 0
.LBB14_23:                              ; =>This Inner Loop Header: Depth=1
	v_ashrrev_i32_e32 v84, 31, v83
	s_delay_alu instid0(VALU_DEP_1) | instskip(NEXT) | instid1(VALU_DEP_1)
	v_lshlrev_b64 v[2:3], 2, v[83:84]
	v_add_co_u32 v2, vcc_lo, s8, v2
	s_delay_alu instid0(VALU_DEP_2)
	v_add_co_ci_u32_e32 v3, vcc_lo, s9, v3, vcc_lo
	global_load_b32 v34, v[2:3], off
	s_clause 0x7
	global_load_b128 v[2:5], v[81:82], off offset:48
	global_load_b128 v[6:9], v[81:82], off offset:32
	global_load_b128 v[10:13], v[81:82], off offset:16
	global_load_b128 v[14:17], v[81:82], off
	global_load_b128 v[18:21], v[81:82], off offset:112
	global_load_b128 v[22:25], v[81:82], off offset:96
	;; [unrolled: 1-line block ×4, first 2 shown]
	s_waitcnt vmcnt(8)
	v_subrev_nc_u32_e32 v34, s12, v34
	s_delay_alu instid0(VALU_DEP_1) | instskip(NEXT) | instid1(VALU_DEP_1)
	v_lshlrev_b32_e32 v34, 2, v34
	v_ashrrev_i32_e32 v35, 31, v34
	s_delay_alu instid0(VALU_DEP_1) | instskip(SKIP_1) | instid1(VALU_DEP_1)
	v_lshlrev_b64 v[34:35], 3, v[34:35]
	s_waitcnt lgkmcnt(0)
	v_add_co_u32 v38, vcc_lo, s4, v34
	s_delay_alu instid0(VALU_DEP_2)
	v_add_co_ci_u32_e32 v39, vcc_lo, s5, v35, vcc_lo
	v_add_co_u32 v81, vcc_lo, 0x2000, v81
	v_add_co_ci_u32_e32 v82, vcc_lo, 0, v82, vcc_lo
	s_clause 0x1
	global_load_b128 v[34:37], v[38:39], off
	global_load_b128 v[38:41], v[38:39], off offset:16
	v_add_nc_u32_e32 v1, 0xffffff80, v1
	s_waitcnt vmcnt(1)
	v_dual_fmac_f32 v90, v15, v34 :: v_dual_add_nc_u32 v83, 64, v83
	v_fmac_f32_e32 v98, v14, v34
	v_fmac_f32_e32 v91, v7, v34
	;; [unrolled: 1-line block ×3, first 2 shown]
	s_delay_alu instid0(VALU_DEP_4) | instskip(NEXT) | instid1(VALU_DEP_4)
	v_dual_fmac_f32 v93, v31, v34 :: v_dual_fmac_f32 v90, v14, v35
	v_fma_f32 v15, -v15, v35, v98
	v_fmac_f32_e32 v96, v30, v34
	v_fmac_f32_e32 v97, v6, v34
	s_delay_alu instid0(VALU_DEP_4) | instskip(NEXT) | instid1(VALU_DEP_4)
	v_dual_fmac_f32 v91, v6, v35 :: v_dual_fmac_f32 v90, v17, v36
	v_fmac_f32_e32 v15, v16, v36
	s_delay_alu instid0(VALU_DEP_4) | instskip(SKIP_3) | instid1(VALU_DEP_4)
	v_fma_f32 v6, -v31, v35, v96
	v_fmac_f32_e32 v95, v22, v34
	v_fma_f32 v7, -v7, v35, v97
	v_fmac_f32_e32 v92, v22, v35
	v_dual_fmac_f32 v93, v30, v35 :: v_dual_fmac_f32 v6, v32, v36
	s_delay_alu instid0(VALU_DEP_4) | instskip(SKIP_4) | instid1(VALU_DEP_4)
	v_fma_f32 v14, -v23, v35, v95
	v_dual_fmac_f32 v91, v9, v36 :: v_dual_fmac_f32 v90, v16, v37
	v_fmac_f32_e32 v7, v8, v36
	v_fmac_f32_e32 v92, v25, v36
	v_fma_f32 v15, -v17, v37, v15
	v_fmac_f32_e32 v91, v8, v37
	v_fmac_f32_e32 v93, v33, v36
	;; [unrolled: 1-line block ×3, first 2 shown]
	v_fma_f32 v6, -v33, v37, v6
	s_waitcnt vmcnt(0)
	v_dual_fmac_f32 v15, v10, v38 :: v_dual_fmac_f32 v92, v24, v37
	v_fmac_f32_e32 v93, v32, v37
	v_fma_f32 v8, -v25, v37, v14
	v_fmac_f32_e32 v6, v26, v38
	v_fmac_f32_e32 v90, v11, v38
	v_fma_f32 v7, -v9, v37, v7
	v_fmac_f32_e32 v91, v3, v38
	v_fma_f32 v9, -v11, v39, v15
	v_fmac_f32_e32 v8, v18, v38
	v_fmac_f32_e32 v90, v10, v39
	;; [unrolled: 1-line block ×3, first 2 shown]
	v_dual_fmac_f32 v92, v19, v38 :: v_dual_fmac_f32 v91, v2, v39
	v_fmac_f32_e32 v93, v27, v38
	v_fma_f32 v2, -v27, v39, v6
	s_delay_alu instid0(VALU_DEP_3) | instskip(SKIP_1) | instid1(VALU_DEP_3)
	v_dual_fmac_f32 v9, v12, v40 :: v_dual_fmac_f32 v92, v18, v39
	v_fma_f32 v6, -v19, v39, v8
	v_dual_fmac_f32 v93, v26, v39 :: v_dual_fmac_f32 v2, v28, v40
	v_fmac_f32_e32 v90, v13, v40
	v_fma_f32 v3, -v3, v39, v7
	v_fmac_f32_e32 v91, v5, v40
	v_fmac_f32_e32 v6, v20, v40
	v_cmp_eq_u32_e32 vcc_lo, 0, v1
	v_fmac_f32_e32 v90, v12, v41
	v_fmac_f32_e32 v3, v4, v40
	v_dual_fmac_f32 v92, v21, v40 :: v_dual_fmac_f32 v91, v4, v41
	v_fmac_f32_e32 v93, v29, v40
	v_fma_f32 v98, -v13, v41, v9
	s_delay_alu instid0(VALU_DEP_4) | instskip(NEXT) | instid1(VALU_DEP_4)
	v_fma_f32 v97, -v5, v41, v3
	v_fmac_f32_e32 v92, v20, v41
	v_fma_f32 v96, -v29, v41, v2
	v_fmac_f32_e32 v93, v28, v41
	v_fma_f32 v95, -v21, v41, v6
	s_or_b32 s10, vcc_lo, s10
	s_delay_alu instid0(SALU_CYCLE_1)
	s_and_not1_b32 exec_lo, exec_lo, s10
	s_cbranch_execnz .LBB14_23
; %bb.24:
	s_or_b32 exec_lo, exec_lo, s10
.LBB14_25:
	s_delay_alu instid0(SALU_CYCLE_1) | instskip(NEXT) | instid1(SALU_CYCLE_1)
	s_or_b32 exec_lo, exec_lo, s7
	s_mov_b32 s7, exec_lo
	v_cmpx_lt_u32_e32 0xbf, v0
	s_cbranch_execz .LBB14_29
; %bb.26:
	s_mov_b32 s10, 0
.LBB14_27:                              ; =>This Inner Loop Header: Depth=1
	v_ashrrev_i32_e32 v84, 31, v83
	v_add_co_u32 v32, vcc_lo, 0x2000, v81
	v_add_co_ci_u32_e32 v33, vcc_lo, 0, v82, vcc_lo
	v_add_co_u32 v34, vcc_lo, 0x4000, v81
	s_delay_alu instid0(VALU_DEP_4) | instskip(SKIP_3) | instid1(VALU_DEP_4)
	v_lshlrev_b64 v[136:137], 2, v[83:84]
	v_add_co_ci_u32_e32 v35, vcc_lo, 0, v82, vcc_lo
	v_add_co_u32 v144, vcc_lo, 0x6000, v81
	v_add_co_ci_u32_e32 v145, vcc_lo, 0, v82, vcc_lo
	v_add_co_u32 v136, vcc_lo, s8, v136
	v_add_co_ci_u32_e32 v137, vcc_lo, s9, v137, vcc_lo
	s_clause 0x1b
	global_load_b128 v[0:3], v[81:82], off offset:48
	global_load_b128 v[20:23], v[81:82], off offset:32
	;; [unrolled: 1-line block ×3, first 2 shown]
	global_load_b128 v[24:27], v[81:82], off
	global_load_b128 v[8:11], v[81:82], off offset:112
	global_load_b128 v[16:19], v[81:82], off offset:96
	;; [unrolled: 1-line block ×6, first 2 shown]
	global_load_b128 v[104:107], v[32:33], off
	global_load_b128 v[108:111], v[32:33], off offset:16
	global_load_b128 v[72:75], v[32:33], off offset:112
	;; [unrolled: 1-line block ×7, first 2 shown]
	global_load_b128 v[52:55], v[34:35], off
	global_load_b128 v[44:47], v[34:35], off offset:16
	global_load_b128 v[40:43], v[34:35], off offset:112
	;; [unrolled: 1-line block ×9, first 2 shown]
	s_clause 0x3
	global_load_b32 v78, v[136:137], off
	global_load_b32 v84, v[136:137], off offset:256
	global_load_b32 v148, v[136:137], off offset:512
	;; [unrolled: 1-line block ×3, first 2 shown]
	s_waitcnt vmcnt(3)
	v_subrev_nc_u32_e32 v78, s12, v78
	s_waitcnt vmcnt(2)
	v_subrev_nc_u32_e32 v84, s12, v84
	s_delay_alu instid0(VALU_DEP_2) | instskip(NEXT) | instid1(VALU_DEP_1)
	v_lshlrev_b32_e32 v136, 2, v78
	v_ashrrev_i32_e32 v137, 31, v136
	s_delay_alu instid0(VALU_DEP_1) | instskip(SKIP_1) | instid1(VALU_DEP_1)
	v_lshlrev_b64 v[136:137], 3, v[136:137]
	s_waitcnt lgkmcnt(0)
	v_add_co_u32 v140, vcc_lo, s4, v136
	s_delay_alu instid0(VALU_DEP_2)
	v_add_co_ci_u32_e32 v141, vcc_lo, s5, v137, vcc_lo
	s_clause 0x1
	global_load_b128 v[136:139], v[140:141], off
	global_load_b128 v[140:143], v[140:141], off offset:16
	s_waitcnt vmcnt(1)
	v_fmac_f32_e32 v92, v17, v136
	v_fmac_f32_e32 v91, v21, v136
	;; [unrolled: 1-line block ×4, first 2 shown]
	s_delay_alu instid0(VALU_DEP_4)
	v_dual_fmac_f32 v93, v29, v136 :: v_dual_fmac_f32 v92, v16, v137
	v_fmac_f32_e32 v97, v20, v136
	v_fmac_f32_e32 v91, v20, v137
	v_fma_f32 v29, -v29, v137, v96
	v_subrev_nc_u32_e32 v96, s12, v148
	v_fmac_f32_e32 v92, v19, v138
	v_fma_f32 v21, -v21, v137, v97
	v_dual_fmac_f32 v90, v25, v136 :: v_dual_fmac_f32 v91, v23, v138
	v_fma_f32 v25, -v25, v137, v98
	v_subrev_nc_u32_e32 v97, s12, v149
	s_delay_alu instid0(VALU_DEP_3) | instskip(NEXT) | instid1(VALU_DEP_4)
	v_dual_fmac_f32 v21, v22, v138 :: v_dual_fmac_f32 v90, v24, v137
	v_fmac_f32_e32 v91, v22, v139
	s_delay_alu instid0(VALU_DEP_4) | instskip(SKIP_1) | instid1(VALU_DEP_4)
	v_fmac_f32_e32 v25, v26, v138
	v_dual_fmac_f32 v93, v28, v137 :: v_dual_fmac_f32 v92, v18, v139
	v_fmac_f32_e32 v90, v27, v138
	v_fmac_f32_e32 v29, v30, v138
	s_delay_alu instid0(VALU_DEP_4)
	v_fma_f32 v78, -v27, v139, v25
	v_fma_f32 v150, -v23, v139, v21
	global_load_b128 v[20:23], v[144:145], off offset:64
	v_fmac_f32_e32 v90, v26, v139
	global_load_b128 v[24:27], v[144:145], off offset:80
	s_waitcnt vmcnt(2)
	v_fmac_f32_e32 v91, v1, v140
	v_fmac_f32_e32 v93, v31, v138
	v_fma_f32 v151, -v31, v139, v29
	v_fmac_f32_e32 v90, v5, v140
	v_fmac_f32_e32 v150, v0, v140
	;; [unrolled: 1-line block ×3, first 2 shown]
	v_dual_fmac_f32 v91, v0, v141 :: v_dual_fmac_f32 v92, v9, v140
	s_delay_alu instid0(VALU_DEP_4)
	v_fmac_f32_e32 v90, v4, v141
	v_fmac_f32_e32 v95, v16, v136
	v_dual_fmac_f32 v93, v30, v139 :: v_dual_lshlrev_b32 v16, 2, v84
	s_clause 0x1
	global_load_b128 v[28:31], v[144:145], off
	global_load_b128 v[144:147], v[144:145], off offset:16
	v_fmac_f32_e32 v90, v7, v142
	v_fma_f32 v17, -v17, v137, v95
	v_lshlrev_b32_e32 v95, 2, v97
	v_fma_f32 v5, -v5, v141, v78
	v_fma_f32 v1, -v1, v141, v150
	v_fmac_f32_e32 v90, v6, v143
	v_dual_fmac_f32 v17, v18, v138 :: v_dual_lshlrev_b32 v18, 2, v96
	s_delay_alu instid0(VALU_DEP_4) | instskip(SKIP_2) | instid1(VALU_DEP_4)
	v_fmac_f32_e32 v5, v6, v142
	v_ashrrev_i32_e32 v96, 31, v95
	v_fmac_f32_e32 v1, v2, v142
	v_fma_f32 v148, -v19, v139, v17
	v_ashrrev_i32_e32 v17, 31, v16
	v_ashrrev_i32_e32 v19, 31, v18
	v_fma_f32 v78, -v7, v143, v5
	v_lshlrev_b64 v[95:96], 3, v[95:96]
	v_dual_fmac_f32 v91, v3, v142 :: v_dual_fmac_f32 v148, v8, v140
	v_lshlrev_b64 v[16:17], 3, v[16:17]
	v_lshlrev_b64 v[18:19], 3, v[18:19]
	v_fma_f32 v84, -v3, v143, v1
	s_delay_alu instid0(VALU_DEP_4)
	v_fmac_f32_e32 v91, v2, v143
	v_dual_fmac_f32 v93, v13, v140 :: v_dual_fmac_f32 v92, v8, v141
	v_add_co_u32 v97, vcc_lo, s4, v16
	v_add_co_ci_u32_e32 v98, vcc_lo, s5, v17, vcc_lo
	v_add_co_u32 v136, vcc_lo, s4, v18
	v_add_co_ci_u32_e32 v137, vcc_lo, s5, v19, vcc_lo
	s_clause 0x1
	global_load_b128 v[16:19], v[97:98], off
	global_load_b128 v[4:7], v[97:98], off offset:16
	v_add_co_u32 v138, vcc_lo, s4, v95
	v_add_co_ci_u32_e32 v139, vcc_lo, s5, v96, vcc_lo
	s_clause 0x1
	global_load_b128 v[0:3], v[136:137], off
	global_load_b128 v[95:98], v[136:137], off offset:16
	v_dual_fmac_f32 v151, v12, v140 :: v_dual_fmac_f32 v92, v11, v142
	v_fmac_f32_e32 v93, v12, v141
	v_fma_f32 v9, -v9, v141, v148
	v_add_co_u32 v81, vcc_lo, 0x8000, v81
	s_delay_alu instid0(VALU_DEP_4)
	v_fmac_f32_e32 v92, v10, v143
	v_fma_f32 v13, -v13, v141, v151
	v_fmac_f32_e32 v93, v15, v142
	v_add_nc_u32_e32 v83, 0x100, v83
	v_add_co_ci_u32_e32 v82, vcc_lo, 0, v82, vcc_lo
	s_waitcnt vmcnt(3)
	v_dual_fmac_f32 v13, v14, v142 :: v_dual_fmac_f32 v78, v104, v16
	s_delay_alu instid0(VALU_DEP_1)
	v_fma_f32 v136, -v15, v143, v13
	v_dual_fmac_f32 v90, v105, v16 :: v_dual_fmac_f32 v93, v14, v143
	v_fmac_f32_e32 v84, v100, v16
	global_load_b128 v[12:15], v[138:139], off
	v_dual_fmac_f32 v9, v10, v142 :: v_dual_fmac_f32 v136, v120, v16
	v_dual_fmac_f32 v91, v101, v16 :: v_dual_fmac_f32 v90, v104, v17
	v_fmac_f32_e32 v92, v113, v16
	s_delay_alu instid0(VALU_DEP_3)
	v_fma_f32 v137, -v11, v143, v9
	global_load_b128 v[8:11], v[138:139], off offset:16
	v_fmac_f32_e32 v93, v121, v16
	v_dual_fmac_f32 v91, v100, v17 :: v_dual_fmac_f32 v90, v107, v18
	v_fmac_f32_e32 v137, v112, v16
	v_fma_f32 v16, -v105, v17, v78
	v_fma_f32 v78, -v101, v17, v84
	v_fmac_f32_e32 v92, v112, v17
	v_fmac_f32_e32 v93, v120, v17
	v_dual_fmac_f32 v91, v103, v18 :: v_dual_fmac_f32 v90, v106, v19
	v_fma_f32 v84, -v121, v17, v136
	v_fmac_f32_e32 v16, v106, v18
	v_fma_f32 v100, -v113, v17, v137
	v_fmac_f32_e32 v78, v102, v18
	v_dual_fmac_f32 v92, v115, v18 :: v_dual_fmac_f32 v91, v102, v19
	v_fmac_f32_e32 v93, v123, v18
	s_delay_alu instid0(VALU_DEP_4)
	v_fmac_f32_e32 v100, v114, v18
	v_fma_f32 v16, -v107, v19, v16
	v_fma_f32 v17, -v103, v19, v78
	s_waitcnt vmcnt(4)
	v_dual_fmac_f32 v91, v69, v4 :: v_dual_fmac_f32 v84, v122, v18
	v_fmac_f32_e32 v92, v114, v19
	v_dual_fmac_f32 v93, v122, v19 :: v_dual_fmac_f32 v16, v108, v4
	s_delay_alu instid0(VALU_DEP_3) | instskip(SKIP_2) | instid1(VALU_DEP_3)
	v_dual_fmac_f32 v90, v109, v4 :: v_dual_fmac_f32 v91, v68, v5
	v_fmac_f32_e32 v17, v68, v4
	v_fma_f32 v18, -v123, v19, v84
	v_dual_fmac_f32 v93, v117, v4 :: v_dual_fmac_f32 v90, v108, v5
	v_fma_f32 v78, -v115, v19, v100
	v_fmac_f32_e32 v92, v73, v4
	s_delay_alu instid0(VALU_DEP_4) | instskip(NEXT) | instid1(VALU_DEP_4)
	v_dual_fmac_f32 v18, v116, v4 :: v_dual_fmac_f32 v91, v71, v6
	v_fmac_f32_e32 v93, v116, v5
	s_delay_alu instid0(VALU_DEP_4)
	v_fmac_f32_e32 v78, v72, v4
	v_fma_f32 v4, -v109, v5, v16
	v_fma_f32 v16, -v69, v5, v17
	;; [unrolled: 1-line block ×3, first 2 shown]
	v_dual_fmac_f32 v92, v72, v5 :: v_dual_fmac_f32 v93, v119, v6
	v_dual_fmac_f32 v90, v111, v6 :: v_dual_fmac_f32 v91, v70, v7
	s_delay_alu instid0(VALU_DEP_4) | instskip(NEXT) | instid1(VALU_DEP_4)
	v_fmac_f32_e32 v16, v70, v6
	v_fmac_f32_e32 v17, v118, v6
	v_fma_f32 v18, -v73, v5, v78
	v_dual_fmac_f32 v92, v75, v6 :: v_dual_fmac_f32 v93, v118, v7
	s_waitcnt vmcnt(3)
	v_fmac_f32_e32 v91, v49, v0
	v_fma_f32 v5, -v71, v7, v16
	v_fmac_f32_e32 v4, v110, v6
	v_dual_fmac_f32 v18, v74, v6 :: v_dual_fmac_f32 v93, v125, v0
	v_fma_f32 v6, -v119, v7, v17
	s_delay_alu instid0(VALU_DEP_4) | instskip(NEXT) | instid1(VALU_DEP_4)
	v_dual_fmac_f32 v92, v74, v7 :: v_dual_fmac_f32 v5, v48, v0
	v_fma_f32 v4, -v111, v7, v4
	s_delay_alu instid0(VALU_DEP_4) | instskip(SKIP_2) | instid1(VALU_DEP_4)
	v_dual_fmac_f32 v93, v124, v1 :: v_dual_fmac_f32 v90, v110, v7
	v_fmac_f32_e32 v91, v48, v1
	v_fma_f32 v16, -v75, v7, v18
	v_fmac_f32_e32 v4, v52, v0
	s_delay_alu instid0(VALU_DEP_4)
	v_dual_fmac_f32 v6, v124, v0 :: v_dual_fmac_f32 v93, v127, v2
	v_fmac_f32_e32 v90, v53, v0
	v_dual_fmac_f32 v92, v65, v0 :: v_dual_fmac_f32 v91, v51, v2
	v_fmac_f32_e32 v16, v64, v0
	v_fma_f32 v0, -v53, v1, v4
	v_fma_f32 v4, -v49, v1, v5
	v_fmac_f32_e32 v93, v126, v3
	v_fmac_f32_e32 v91, v50, v3
	v_fma_f32 v5, -v125, v1, v6
	v_fmac_f32_e32 v92, v64, v1
	v_fma_f32 v6, -v65, v1, v16
	s_waitcnt vmcnt(2)
	v_dual_fmac_f32 v93, v57, v95 :: v_dual_fmac_f32 v4, v50, v2
	v_dual_fmac_f32 v5, v126, v2 :: v_dual_fmac_f32 v90, v52, v1
	v_fmac_f32_e32 v91, v37, v95
	s_delay_alu instid0(VALU_DEP_3) | instskip(NEXT) | instid1(VALU_DEP_4)
	v_fmac_f32_e32 v93, v56, v96
	v_fma_f32 v1, -v51, v3, v4
	v_fmac_f32_e32 v0, v54, v2
	s_delay_alu instid0(VALU_DEP_4) | instskip(NEXT) | instid1(VALU_DEP_3)
	v_dual_fmac_f32 v90, v55, v2 :: v_dual_fmac_f32 v91, v36, v96
	v_dual_fmac_f32 v6, v66, v2 :: v_dual_fmac_f32 v1, v36, v95
	s_delay_alu instid0(VALU_DEP_2) | instskip(NEXT) | instid1(VALU_DEP_3)
	v_dual_fmac_f32 v93, v59, v97 :: v_dual_fmac_f32 v90, v54, v3
	v_fmac_f32_e32 v91, v39, v97
	s_delay_alu instid0(VALU_DEP_3) | instskip(NEXT) | instid1(VALU_DEP_4)
	v_fma_f32 v4, -v67, v3, v6
	v_fma_f32 v1, -v37, v96, v1
	v_fmac_f32_e32 v92, v67, v2
	s_delay_alu instid0(VALU_DEP_4) | instskip(NEXT) | instid1(VALU_DEP_3)
	v_dual_fmac_f32 v90, v45, v95 :: v_dual_fmac_f32 v91, v38, v98
	v_dual_fmac_f32 v4, v40, v95 :: v_dual_fmac_f32 v1, v38, v97
	v_fma_f32 v0, -v55, v3, v0
	v_fma_f32 v2, -v127, v3, v5
	v_fmac_f32_e32 v93, v58, v98
	v_cmp_ge_i32_e32 vcc_lo, v83, v94
	v_fma_f32 v1, -v39, v98, v1
	v_fmac_f32_e32 v92, v66, v3
	v_fmac_f32_e32 v2, v56, v95
	s_or_b32 s10, vcc_lo, s10
	s_delay_alu instid0(VALU_DEP_1)
	v_fma_f32 v2, -v57, v96, v2
	s_waitcnt vmcnt(1)
	v_fmac_f32_e32 v91, v61, v12
	v_fma_f32 v3, -v41, v96, v4
	v_fmac_f32_e32 v0, v44, v95
	v_fmac_f32_e32 v1, v60, v12
	;; [unrolled: 1-line block ×5, first 2 shown]
	v_fma_f32 v0, -v45, v96, v0
	v_fma_f32 v1, -v61, v13, v1
	s_delay_alu instid0(VALU_DEP_4) | instskip(NEXT) | instid1(VALU_DEP_4)
	v_dual_fmac_f32 v90, v44, v96 :: v_dual_fmac_f32 v91, v63, v14
	v_fma_f32 v3, -v43, v98, v3
	s_delay_alu instid0(VALU_DEP_3) | instskip(SKIP_2) | instid1(VALU_DEP_4)
	v_dual_fmac_f32 v92, v41, v95 :: v_dual_fmac_f32 v1, v62, v14
	v_fmac_f32_e32 v0, v46, v97
	v_fmac_f32_e32 v93, v20, v13
	v_fmac_f32_e32 v3, v132, v12
	s_delay_alu instid0(VALU_DEP_4) | instskip(NEXT) | instid1(VALU_DEP_4)
	v_dual_fmac_f32 v92, v40, v96 :: v_dual_fmac_f32 v91, v62, v15
	v_fma_f32 v0, -v47, v98, v0
	s_delay_alu instid0(VALU_DEP_4) | instskip(NEXT) | instid1(VALU_DEP_4)
	v_dual_fmac_f32 v2, v58, v97 :: v_dual_fmac_f32 v93, v23, v14
	v_fma_f32 v3, -v133, v13, v3
	v_fmac_f32_e32 v90, v47, v97
	v_fmac_f32_e32 v92, v43, v97
	s_delay_alu instid0(VALU_DEP_4) | instskip(NEXT) | instid1(VALU_DEP_4)
	v_dual_fmac_f32 v0, v28, v12 :: v_dual_fmac_f32 v93, v22, v15
	v_fmac_f32_e32 v3, v134, v14
	s_delay_alu instid0(VALU_DEP_4) | instskip(NEXT) | instid1(VALU_DEP_4)
	v_fmac_f32_e32 v90, v46, v98
	v_fmac_f32_e32 v92, v42, v98
	s_delay_alu instid0(VALU_DEP_4)
	v_fma_f32 v0, -v29, v13, v0
	v_fma_f32 v1, -v63, v15, v1
	;; [unrolled: 1-line block ×4, first 2 shown]
	s_waitcnt vmcnt(0)
	v_dual_fmac_f32 v91, v33, v8 :: v_dual_fmac_f32 v0, v30, v14
	v_fmac_f32_e32 v1, v32, v8
	v_fmac_f32_e32 v90, v29, v12
	;; [unrolled: 1-line block ×3, first 2 shown]
	s_delay_alu instid0(VALU_DEP_4) | instskip(NEXT) | instid1(VALU_DEP_4)
	v_dual_fmac_f32 v91, v32, v9 :: v_dual_fmac_f32 v92, v133, v12
	v_fma_f32 v1, -v33, v9, v1
	v_fmac_f32_e32 v2, v20, v12
	v_fmac_f32_e32 v90, v28, v13
	v_fma_f32 v0, -v31, v15, v0
	v_fmac_f32_e32 v93, v24, v9
	v_fmac_f32_e32 v1, v34, v10
	v_fma_f32 v2, -v21, v13, v2
	v_dual_fmac_f32 v92, v132, v13 :: v_dual_fmac_f32 v91, v35, v10
	v_dual_fmac_f32 v90, v31, v14 :: v_dual_fmac_f32 v3, v128, v8
	s_delay_alu instid0(VALU_DEP_3) | instskip(SKIP_1) | instid1(VALU_DEP_4)
	v_fmac_f32_e32 v2, v22, v14
	v_fma_f32 v97, -v35, v11, v1
	v_dual_fmac_f32 v92, v135, v14 :: v_dual_fmac_f32 v91, v34, v11
	s_delay_alu instid0(VALU_DEP_4) | instskip(NEXT) | instid1(VALU_DEP_4)
	v_dual_fmac_f32 v90, v30, v15 :: v_dual_fmac_f32 v93, v27, v10
	v_fma_f32 v2, -v23, v15, v2
	v_fma_f32 v3, -v129, v9, v3
	v_fmac_f32_e32 v0, v144, v8
	v_fmac_f32_e32 v92, v134, v15
	v_dual_fmac_f32 v90, v145, v8 :: v_dual_fmac_f32 v93, v26, v11
	s_delay_alu instid0(VALU_DEP_4) | instskip(NEXT) | instid1(VALU_DEP_4)
	v_dual_fmac_f32 v2, v24, v8 :: v_dual_fmac_f32 v3, v130, v10
	v_fma_f32 v0, -v145, v9, v0
	s_delay_alu instid0(VALU_DEP_4) | instskip(NEXT) | instid1(VALU_DEP_4)
	v_fmac_f32_e32 v92, v129, v8
	v_fmac_f32_e32 v90, v144, v9
	s_delay_alu instid0(VALU_DEP_4)
	v_fma_f32 v2, -v25, v9, v2
	v_fma_f32 v95, -v131, v11, v3
	v_fmac_f32_e32 v0, v146, v10
	v_fmac_f32_e32 v92, v128, v9
	;; [unrolled: 1-line block ×4, first 2 shown]
	s_delay_alu instid0(VALU_DEP_4) | instskip(NEXT) | instid1(VALU_DEP_4)
	v_fma_f32 v98, -v147, v11, v0
	v_fmac_f32_e32 v92, v131, v10
	s_delay_alu instid0(VALU_DEP_4) | instskip(NEXT) | instid1(VALU_DEP_4)
	v_fmac_f32_e32 v90, v146, v11
	v_fma_f32 v96, -v27, v11, v2
	s_delay_alu instid0(VALU_DEP_3)
	v_fmac_f32_e32 v92, v130, v11
	s_and_not1_b32 exec_lo, exec_lo, s10
	s_cbranch_execnz .LBB14_27
; %bb.28:
	s_or_b32 exec_lo, exec_lo, s10
.LBB14_29:
	s_delay_alu instid0(SALU_CYCLE_1)
	s_or_b32 exec_lo, exec_lo, s7
.LBB14_30:
	s_delay_alu instid0(SALU_CYCLE_1) | instskip(NEXT) | instid1(SALU_CYCLE_1)
	s_or_b32 exec_lo, exec_lo, s6
	s_and_not1_b32 vcc_lo, exec_lo, s3
	s_cbranch_vccz .LBB14_32
	s_branch .LBB14_43
.LBB14_31:
                                        ; implicit-def: $vgpr90
                                        ; implicit-def: $vgpr98
                                        ; implicit-def: $vgpr95
                                        ; implicit-def: $vgpr92
                                        ; implicit-def: $vgpr96
                                        ; implicit-def: $vgpr93
                                        ; implicit-def: $vgpr97
                                        ; implicit-def: $vgpr91
.LBB14_32:
	v_dual_mov_b32 v90, 0 :: v_dual_mov_b32 v95, 0
	v_dual_mov_b32 v98, 0 :: v_dual_mov_b32 v93, 0
	;; [unrolled: 1-line block ×4, first 2 shown]
	s_and_saveexec_b32 s3, s2
	s_cbranch_execz .LBB14_42
; %bb.33:
	v_dual_mov_b32 v91, 0 :: v_dual_add_nc_u32 v0, v99, v89
	v_not_b32_e32 v1, v99
	v_dual_mov_b32 v93, 0 :: v_dual_mov_b32 v92, 0
	s_delay_alu instid0(VALU_DEP_3) | instskip(SKIP_3) | instid1(VALU_DEP_2)
	v_subrev_nc_u32_e32 v0, s12, v0
	v_dual_mov_b32 v95, 0 :: v_dual_mov_b32 v90, 0
	s_mov_b32 s6, 0
	s_mov_b32 s2, exec_lo
	v_dual_mov_b32 v97, 0 :: v_dual_add_nc_u32 v0, 64, v0
	v_mov_b32_e32 v96, 0
	v_mov_b32_e32 v98, 0
	s_delay_alu instid0(VALU_DEP_3) | instskip(NEXT) | instid1(VALU_DEP_1)
	v_max_i32_e32 v0, v0, v94
	v_add3_u32 v0, v0, s12, v1
	s_delay_alu instid0(VALU_DEP_1) | instskip(NEXT) | instid1(VALU_DEP_1)
	v_sub_nc_u32_e32 v0, v0, v89
	v_lshrrev_b32_e32 v1, 6, v0
	s_delay_alu instid0(VALU_DEP_1) | instskip(NEXT) | instid1(VALU_DEP_1)
	v_add_nc_u32_e32 v1, 1, v1
	v_and_b32_e32 v1, 3, v1
	s_delay_alu instid0(VALU_DEP_1)
	v_cmpx_ne_u32_e32 0, v1
	s_cbranch_execz .LBB14_37
; %bb.34:
	v_dual_mov_b32 v90, 0 :: v_dual_lshlrev_b32 v1, 7, v1
	v_dual_mov_b32 v98, 0 :: v_dual_mov_b32 v95, 0
	v_dual_mov_b32 v92, 0 :: v_dual_mov_b32 v93, 0
	;; [unrolled: 1-line block ×3, first 2 shown]
	v_mov_b32_e32 v91, 0
.LBB14_35:                              ; =>This Inner Loop Header: Depth=1
	v_ashrrev_i32_e32 v78, 31, v77
	s_delay_alu instid0(VALU_DEP_1) | instskip(NEXT) | instid1(VALU_DEP_1)
	v_lshlrev_b64 v[2:3], 2, v[77:78]
	v_add_co_u32 v2, vcc_lo, s8, v2
	s_delay_alu instid0(VALU_DEP_2)
	v_add_co_ci_u32_e32 v3, vcc_lo, s9, v3, vcc_lo
	global_load_b32 v14, v[2:3], off
	s_clause 0x2
	global_load_b128 v[2:5], v[79:80], off offset:32
	global_load_b128 v[6:9], v[79:80], off offset:16
	global_load_b128 v[10:13], v[79:80], off
	s_waitcnt vmcnt(3)
	v_subrev_nc_u32_e32 v14, s12, v14
	s_delay_alu instid0(VALU_DEP_1) | instskip(NEXT) | instid1(VALU_DEP_1)
	v_lshlrev_b32_e32 v14, 2, v14
	v_ashrrev_i32_e32 v15, 31, v14
	s_delay_alu instid0(VALU_DEP_1) | instskip(SKIP_1) | instid1(VALU_DEP_1)
	v_lshlrev_b64 v[14:15], 3, v[14:15]
	s_waitcnt lgkmcnt(0)
	v_add_co_u32 v18, vcc_lo, s4, v14
	s_delay_alu instid0(VALU_DEP_2)
	v_add_co_ci_u32_e32 v19, vcc_lo, s5, v15, vcc_lo
	s_clause 0x1
	global_load_b128 v[14:17], v[18:19], off
	global_load_b128 v[18:21], v[18:19], off offset:16
	s_clause 0x4
	global_load_b128 v[22:25], v[79:80], off offset:48
	global_load_b128 v[26:29], v[79:80], off offset:64
	;; [unrolled: 1-line block ×5, first 2 shown]
	v_add_nc_u32_e32 v77, 64, v77
	v_add_nc_u32_e32 v1, 0xffffff80, v1
	v_add_co_u32 v79, vcc_lo, 0x2000, v79
	v_add_co_ci_u32_e32 v80, vcc_lo, 0, v80, vcc_lo
	s_waitcnt vmcnt(6)
	v_fmac_f32_e32 v98, v10, v14
	v_fmac_f32_e32 v90, v11, v14
	;; [unrolled: 1-line block ×3, first 2 shown]
	v_cmp_eq_u32_e32 vcc_lo, 0, v1
	s_delay_alu instid0(VALU_DEP_4) | instskip(NEXT) | instid1(VALU_DEP_4)
	v_fma_f32 v11, -v11, v15, v98
	v_fmac_f32_e32 v90, v10, v15
	s_delay_alu instid0(VALU_DEP_4)
	v_fma_f32 v10, -v13, v15, v97
	v_fmac_f32_e32 v93, v7, v14
	v_fmac_f32_e32 v95, v8, v14
	s_or_b32 s6, vcc_lo, s6
	v_fmac_f32_e32 v90, v3, v16
	v_fmac_f32_e32 v10, v4, v16
	v_dual_fmac_f32 v92, v9, v14 :: v_dual_fmac_f32 v93, v6, v15
	s_delay_alu instid0(VALU_DEP_3) | instskip(SKIP_1) | instid1(VALU_DEP_2)
	v_dual_fmac_f32 v91, v13, v14 :: v_dual_fmac_f32 v90, v2, v17
	s_waitcnt vmcnt(4)
	v_dual_fmac_f32 v92, v8, v15 :: v_dual_fmac_f32 v93, v23, v16
	s_delay_alu instid0(VALU_DEP_2) | instskip(SKIP_2) | instid1(VALU_DEP_3)
	v_dual_fmac_f32 v91, v12, v15 :: v_dual_fmac_f32 v96, v6, v14
	v_fma_f32 v6, -v9, v15, v95
	s_waitcnt vmcnt(3)
	v_dual_fmac_f32 v90, v27, v18 :: v_dual_fmac_f32 v93, v22, v17
	s_delay_alu instid0(VALU_DEP_3)
	v_fmac_f32_e32 v91, v5, v16
	v_fma_f32 v7, -v7, v15, v96
	v_fmac_f32_e32 v6, v24, v16
	s_waitcnt vmcnt(2)
	v_dual_fmac_f32 v92, v25, v16 :: v_dual_fmac_f32 v93, v31, v18
	v_fmac_f32_e32 v91, v4, v17
	v_fmac_f32_e32 v11, v2, v16
	;; [unrolled: 1-line block ×3, first 2 shown]
	v_fma_f32 v2, -v5, v17, v10
	v_fma_f32 v5, -v25, v17, v6
	v_fmac_f32_e32 v92, v24, v17
	v_fma_f32 v3, -v3, v17, v11
	v_fma_f32 v4, -v23, v17, v7
	v_dual_fmac_f32 v2, v28, v18 :: v_dual_fmac_f32 v93, v30, v19
	v_dual_fmac_f32 v91, v29, v18 :: v_dual_fmac_f32 v90, v26, v19
	s_delay_alu instid0(VALU_DEP_3)
	v_fmac_f32_e32 v4, v30, v18
	v_fmac_f32_e32 v5, v32, v18
	;; [unrolled: 1-line block ×4, first 2 shown]
	v_fma_f32 v2, -v29, v19, v2
	v_fmac_f32_e32 v91, v28, v19
	v_fma_f32 v4, -v31, v19, v4
	v_fmac_f32_e32 v92, v32, v19
	v_fma_f32 v3, -v27, v19, v3
	s_waitcnt vmcnt(1)
	v_fmac_f32_e32 v90, v35, v20
	v_fma_f32 v5, -v33, v19, v5
	v_fmac_f32_e32 v2, v36, v20
	v_fmac_f32_e32 v91, v37, v20
	v_fmac_f32_e32 v3, v34, v20
	v_fmac_f32_e32 v90, v34, v21
	s_waitcnt vmcnt(0)
	v_fmac_f32_e32 v4, v38, v20
	v_fmac_f32_e32 v5, v40, v20
	v_dual_fmac_f32 v91, v36, v21 :: v_dual_fmac_f32 v92, v41, v20
	v_fmac_f32_e32 v93, v39, v20
	v_fma_f32 v98, -v35, v21, v3
	v_fma_f32 v97, -v37, v21, v2
	;; [unrolled: 1-line block ×3, first 2 shown]
	v_fmac_f32_e32 v92, v40, v21
	v_fmac_f32_e32 v93, v38, v21
	v_fma_f32 v95, -v41, v21, v5
	s_and_not1_b32 exec_lo, exec_lo, s6
	s_cbranch_execnz .LBB14_35
; %bb.36:
	s_or_b32 exec_lo, exec_lo, s6
.LBB14_37:
	s_delay_alu instid0(SALU_CYCLE_1) | instskip(NEXT) | instid1(SALU_CYCLE_1)
	s_or_b32 exec_lo, exec_lo, s2
	s_mov_b32 s2, exec_lo
	v_cmpx_lt_u32_e32 0xbf, v0
	s_cbranch_execz .LBB14_41
; %bb.38:
	s_mov_b32 s6, 0
.LBB14_39:                              ; =>This Inner Loop Header: Depth=1
	v_ashrrev_i32_e32 v78, 31, v77
	v_add_co_u32 v60, vcc_lo, 0x2000, v79
	v_add_co_ci_u32_e32 v61, vcc_lo, 0, v80, vcc_lo
	v_add_co_u32 v115, vcc_lo, 0x4000, v79
	s_delay_alu instid0(VALU_DEP_4) | instskip(SKIP_3) | instid1(VALU_DEP_4)
	v_lshlrev_b64 v[107:108], 2, v[77:78]
	v_add_co_ci_u32_e32 v116, vcc_lo, 0, v80, vcc_lo
	v_add_co_u32 v117, vcc_lo, 0x6000, v79
	v_add_co_ci_u32_e32 v118, vcc_lo, 0, v80, vcc_lo
	v_add_co_u32 v107, vcc_lo, s8, v107
	v_add_co_ci_u32_e32 v108, vcc_lo, s9, v108, vcc_lo
	s_clause 0x15
	global_load_b128 v[8:11], v[79:80], off offset:48
	global_load_b128 v[12:15], v[79:80], off offset:32
	;; [unrolled: 1-line block ×3, first 2 shown]
	global_load_b128 v[28:31], v[79:80], off
	global_load_b128 v[0:3], v[79:80], off offset:112
	global_load_b128 v[4:7], v[79:80], off offset:96
	;; [unrolled: 1-line block ×6, first 2 shown]
	global_load_b128 v[40:43], v[60:61], off
	global_load_b128 v[44:47], v[60:61], off offset:16
	global_load_b128 v[48:51], v[60:61], off offset:112
	;; [unrolled: 1-line block ×7, first 2 shown]
	global_load_b128 v[72:75], v[115:116], off
	global_load_b128 v[81:84], v[115:116], off offset:16
	global_load_b128 v[99:102], v[115:116], off offset:112
	;; [unrolled: 1-line block ×3, first 2 shown]
	s_clause 0x3
	global_load_b32 v78, v[107:108], off
	global_load_b32 v119, v[107:108], off offset:256
	global_load_b32 v120, v[107:108], off offset:512
	global_load_b32 v121, v[107:108], off offset:768
	v_add_nc_u32_e32 v77, 0x100, v77
	s_waitcnt vmcnt(3)
	v_subrev_nc_u32_e32 v78, s12, v78
	s_delay_alu instid0(VALU_DEP_1) | instskip(NEXT) | instid1(VALU_DEP_1)
	v_lshlrev_b32_e32 v107, 2, v78
	v_ashrrev_i32_e32 v108, 31, v107
	s_delay_alu instid0(VALU_DEP_1) | instskip(SKIP_1) | instid1(VALU_DEP_1)
	v_lshlrev_b64 v[107:108], 3, v[107:108]
	s_waitcnt lgkmcnt(0)
	v_add_co_u32 v111, vcc_lo, s4, v107
	s_delay_alu instid0(VALU_DEP_2)
	v_add_co_ci_u32_e32 v112, vcc_lo, s5, v108, vcc_lo
	s_clause 0x1
	global_load_b128 v[107:110], v[111:112], off
	global_load_b128 v[111:114], v[111:112], off offset:16
	s_waitcnt vmcnt(1)
	v_fmac_f32_e32 v92, v23, v107
	v_fmac_f32_e32 v91, v31, v107
	;; [unrolled: 1-line block ×4, first 2 shown]
	s_delay_alu instid0(VALU_DEP_4) | instskip(NEXT) | instid1(VALU_DEP_4)
	v_fmac_f32_e32 v92, v22, v108
	v_dual_fmac_f32 v98, v28, v107 :: v_dual_fmac_f32 v91, v30, v108
	s_delay_alu instid0(VALU_DEP_4) | instskip(NEXT) | instid1(VALU_DEP_4)
	v_fmac_f32_e32 v93, v20, v108
	v_dual_fmac_f32 v90, v28, v108 :: v_dual_fmac_f32 v95, v22, v107
	s_delay_alu instid0(VALU_DEP_3) | instskip(NEXT) | instid1(VALU_DEP_2)
	v_fma_f32 v78, -v29, v108, v98
	v_dual_fmac_f32 v97, v30, v107 :: v_dual_fmac_f32 v90, v13, v109
	s_delay_alu instid0(VALU_DEP_3) | instskip(NEXT) | instid1(VALU_DEP_3)
	v_fma_f32 v95, -v23, v108, v95
	v_fmac_f32_e32 v78, v12, v109
	s_delay_alu instid0(VALU_DEP_3) | instskip(SKIP_1) | instid1(VALU_DEP_4)
	v_fma_f32 v97, -v31, v108, v97
	v_fmac_f32_e32 v96, v20, v107
	v_dual_fmac_f32 v90, v12, v110 :: v_dual_fmac_f32 v95, v10, v109
	s_delay_alu instid0(VALU_DEP_4)
	v_fma_f32 v78, -v13, v110, v78
	v_fmac_f32_e32 v93, v9, v109
	v_fmac_f32_e32 v97, v14, v109
	v_fma_f32 v96, -v21, v108, v96
	s_waitcnt vmcnt(0)
	v_fmac_f32_e32 v90, v25, v111
	v_fmac_f32_e32 v78, v24, v111
	v_dual_fmac_f32 v92, v11, v109 :: v_dual_fmac_f32 v93, v8, v110
	v_fmac_f32_e32 v91, v15, v109
	v_fma_f32 v107, -v15, v110, v97
	v_fmac_f32_e32 v96, v8, v109
	s_delay_alu instid0(VALU_DEP_4)
	v_fmac_f32_e32 v92, v10, v110
	v_fma_f32 v109, -v11, v110, v95
	v_fmac_f32_e32 v91, v14, v110
	v_fmac_f32_e32 v107, v26, v111
	v_fma_f32 v108, -v9, v110, v96
	v_fmac_f32_e32 v90, v24, v112
	v_fma_f32 v78, -v25, v112, v78
	v_fmac_f32_e32 v91, v27, v111
	v_fma_f32 v110, -v27, v112, v107
	v_fmac_f32_e32 v108, v16, v111
	v_subrev_nc_u32_e32 v107, s12, v119
	v_dual_fmac_f32 v109, v18, v111 :: v_dual_fmac_f32 v78, v4, v113
	v_fmac_f32_e32 v91, v26, v112
	s_delay_alu instid0(VALU_DEP_4)
	v_fma_f32 v122, -v17, v112, v108
	v_subrev_nc_u32_e32 v108, s12, v120
	v_dual_fmac_f32 v90, v5, v113 :: v_dual_lshlrev_b32 v107, 2, v107
	v_fmac_f32_e32 v92, v19, v111
	v_fmac_f32_e32 v93, v17, v111
	v_subrev_nc_u32_e32 v111, s12, v121
	s_delay_alu instid0(VALU_DEP_4) | instskip(SKIP_3) | instid1(VALU_DEP_4)
	v_dual_fmac_f32 v91, v7, v113 :: v_dual_fmac_f32 v90, v4, v114
	v_fma_f32 v123, -v19, v112, v109
	v_dual_fmac_f32 v110, v6, v113 :: v_dual_lshlrev_b32 v109, 2, v108
	v_ashrrev_i32_e32 v108, 31, v107
	v_dual_fmac_f32 v91, v6, v114 :: v_dual_lshlrev_b32 v4, 2, v111
	v_fma_f32 v78, -v5, v114, v78
	s_delay_alu instid0(VALU_DEP_4)
	v_fma_f32 v119, -v7, v114, v110
	v_ashrrev_i32_e32 v110, 31, v109
	v_lshlrev_b64 v[6:7], 3, v[107:108]
	v_ashrrev_i32_e32 v5, 31, v4
	v_fmac_f32_e32 v92, v18, v112
	v_fmac_f32_e32 v93, v16, v112
	v_lshlrev_b64 v[107:108], 3, v[109:110]
	v_fmac_f32_e32 v122, v0, v113
	v_lshlrev_b64 v[4:5], 3, v[4:5]
	v_add_co_u32 v6, vcc_lo, s4, v6
	v_add_co_ci_u32_e32 v7, vcc_lo, s5, v7, vcc_lo
	v_add_co_u32 v111, vcc_lo, s4, v107
	v_fmac_f32_e32 v123, v2, v113
	v_fmac_f32_e32 v92, v3, v113
	;; [unrolled: 1-line block ×3, first 2 shown]
	v_add_co_ci_u32_e32 v112, vcc_lo, s5, v108, vcc_lo
	s_clause 0x1
	global_load_b128 v[28:31], v[115:116], off offset:80
	global_load_b128 v[20:23], v[115:116], off offset:64
	v_add_co_u32 v115, vcc_lo, s4, v4
	s_clause 0x4
	global_load_b128 v[12:15], v[117:118], off offset:48
	global_load_b128 v[8:11], v[117:118], off offset:32
	global_load_b128 v[95:98], v[117:118], off
	global_load_b128 v[24:27], v[117:118], off offset:16
	global_load_b128 v[16:19], v[117:118], off offset:64
	v_add_co_ci_u32_e32 v116, vcc_lo, s5, v5, vcc_lo
	v_fma_f32 v113, -v1, v114, v122
	v_fma_f32 v120, -v3, v114, v123
	v_fmac_f32_e32 v92, v2, v114
	v_fmac_f32_e32 v93, v0, v114
	s_clause 0x2
	global_load_b128 v[0:3], v[6:7], off
	global_load_b128 v[4:7], v[6:7], off offset:16
	global_load_b128 v[107:110], v[111:112], off
	v_add_co_u32 v79, vcc_lo, 0x8000, v79
	v_add_co_ci_u32_e32 v80, vcc_lo, 0, v80, vcc_lo
	v_cmp_ge_i32_e32 vcc_lo, v77, v94
	s_or_b32 s6, vcc_lo, s6
	s_waitcnt vmcnt(2)
	v_fmac_f32_e32 v78, v40, v0
	v_fmac_f32_e32 v119, v42, v0
	;; [unrolled: 1-line block ×4, first 2 shown]
	s_delay_alu instid0(VALU_DEP_4) | instskip(NEXT) | instid1(VALU_DEP_4)
	v_fma_f32 v78, -v41, v1, v78
	v_fma_f32 v114, -v43, v1, v119
	s_delay_alu instid0(VALU_DEP_4) | instskip(NEXT) | instid1(VALU_DEP_4)
	v_fmac_f32_e32 v91, v42, v1
	v_fmac_f32_e32 v90, v40, v1
	global_load_b128 v[40:43], v[111:112], off offset:16
	v_dual_fmac_f32 v93, v45, v0 :: v_dual_fmac_f32 v78, v36, v2
	v_fmac_f32_e32 v120, v46, v0
	s_delay_alu instid0(VALU_DEP_2) | instskip(NEXT) | instid1(VALU_DEP_3)
	v_dual_fmac_f32 v114, v38, v2 :: v_dual_fmac_f32 v93, v44, v1
	v_fma_f32 v78, -v37, v3, v78
	s_delay_alu instid0(VALU_DEP_3) | instskip(NEXT) | instid1(VALU_DEP_3)
	v_fma_f32 v119, -v47, v1, v120
	v_fma_f32 v120, -v39, v3, v114
	s_delay_alu instid0(VALU_DEP_4) | instskip(SKIP_3) | instid1(VALU_DEP_3)
	v_fmac_f32_e32 v93, v33, v2
	v_fmac_f32_e32 v90, v37, v2
	s_waitcnt vmcnt(2)
	v_dual_fmac_f32 v119, v34, v2 :: v_dual_fmac_f32 v78, v60, v4
	v_fmac_f32_e32 v93, v32, v3
	s_delay_alu instid0(VALU_DEP_3) | instskip(NEXT) | instid1(VALU_DEP_1)
	v_dual_fmac_f32 v91, v39, v2 :: v_dual_fmac_f32 v90, v36, v3
	v_dual_fmac_f32 v92, v47, v0 :: v_dual_fmac_f32 v91, v38, v3
	s_delay_alu instid0(VALU_DEP_1) | instskip(NEXT) | instid1(VALU_DEP_2)
	v_dual_fmac_f32 v113, v44, v0 :: v_dual_fmac_f32 v92, v46, v1
	v_fmac_f32_e32 v91, v63, v4
	s_delay_alu instid0(VALU_DEP_2)
	v_fma_f32 v0, -v45, v1, v113
	global_load_b128 v[44:47], v[115:116], off
	global_load_b128 v[36:39], v[117:118], off offset:80
	global_load_b128 v[111:114], v[115:116], off offset:16
	v_fma_f32 v116, -v35, v3, v119
	v_dual_fmac_f32 v90, v61, v4 :: v_dual_fmac_f32 v91, v62, v5
	v_dual_fmac_f32 v0, v32, v2 :: v_dual_fmac_f32 v93, v57, v4
	s_delay_alu instid0(VALU_DEP_3) | instskip(NEXT) | instid1(VALU_DEP_3)
	v_fmac_f32_e32 v116, v58, v4
	v_dual_fmac_f32 v90, v60, v5 :: v_dual_fmac_f32 v91, v55, v6
	s_delay_alu instid0(VALU_DEP_3) | instskip(SKIP_2) | instid1(VALU_DEP_4)
	v_fma_f32 v115, -v33, v3, v0
	v_fmac_f32_e32 v92, v35, v2
	v_dual_fmac_f32 v120, v62, v4 :: v_dual_fmac_f32 v93, v56, v5
	v_fmac_f32_e32 v91, v54, v7
	s_delay_alu instid0(VALU_DEP_3)
	v_dual_fmac_f32 v115, v56, v4 :: v_dual_fmac_f32 v92, v34, v3
	s_clause 0x1
	global_load_b128 v[0:3], v[117:118], off offset:96
	global_load_b128 v[32:35], v[117:118], off offset:112
	v_fma_f32 v60, -v63, v5, v120
	v_fmac_f32_e32 v93, v49, v6
	v_fma_f32 v57, -v57, v5, v115
	v_fmac_f32_e32 v92, v59, v4
	v_fma_f32 v4, -v61, v5, v78
	s_waitcnt vmcnt(6)
	v_dual_fmac_f32 v60, v54, v6 :: v_dual_fmac_f32 v91, v75, v107
	s_delay_alu instid0(VALU_DEP_3) | instskip(NEXT) | instid1(VALU_DEP_3)
	v_dual_fmac_f32 v57, v48, v6 :: v_dual_fmac_f32 v92, v58, v5
	v_fmac_f32_e32 v4, v52, v6
	v_fma_f32 v56, -v59, v5, v116
	v_dual_fmac_f32 v90, v53, v6 :: v_dual_fmac_f32 v93, v48, v7
	v_fma_f32 v5, -v55, v7, v60
	v_fmac_f32_e32 v92, v51, v6
	v_fma_f32 v4, -v53, v7, v4
	s_delay_alu instid0(VALU_DEP_4) | instskip(NEXT) | instid1(VALU_DEP_4)
	v_dual_fmac_f32 v90, v52, v7 :: v_dual_fmac_f32 v91, v74, v108
	v_fmac_f32_e32 v5, v74, v107
	v_fmac_f32_e32 v93, v82, v107
	;; [unrolled: 1-line block ×3, first 2 shown]
	v_fma_f32 v6, -v49, v7, v57
	v_dual_fmac_f32 v92, v50, v7 :: v_dual_fmac_f32 v91, v71, v109
	v_fma_f32 v5, -v75, v108, v5
	v_fmac_f32_e32 v93, v81, v108
	v_fma_f32 v48, -v51, v7, v56
	v_fmac_f32_e32 v4, v72, v107
	v_dual_fmac_f32 v6, v81, v107 :: v_dual_fmac_f32 v91, v70, v110
	s_delay_alu instid0(VALU_DEP_3) | instskip(SKIP_1) | instid1(VALU_DEP_4)
	v_dual_fmac_f32 v5, v70, v109 :: v_dual_fmac_f32 v48, v83, v107
	v_fmac_f32_e32 v93, v65, v109
	v_fma_f32 v4, -v73, v108, v4
	s_delay_alu instid0(VALU_DEP_4) | instskip(NEXT) | instid1(VALU_DEP_4)
	v_fma_f32 v6, -v82, v108, v6
	v_fma_f32 v5, -v71, v110, v5
	v_fmac_f32_e32 v92, v84, v107
	v_fma_f32 v7, -v84, v108, v48
	v_fmac_f32_e32 v90, v73, v107
	v_fmac_f32_e32 v4, v68, v109
	;; [unrolled: 1-line block ×4, first 2 shown]
	s_delay_alu instid0(VALU_DEP_4) | instskip(NEXT) | instid1(VALU_DEP_1)
	v_dual_fmac_f32 v7, v66, v109 :: v_dual_fmac_f32 v90, v72, v108
	v_fma_f32 v7, -v67, v110, v7
	s_waitcnt vmcnt(5)
	s_delay_alu instid0(VALU_DEP_1)
	v_dual_fmac_f32 v90, v69, v109 :: v_dual_fmac_f32 v7, v30, v40
	v_fmac_f32_e32 v5, v22, v40
	v_fmac_f32_e32 v92, v83, v108
	;; [unrolled: 1-line block ×3, first 2 shown]
	v_fma_f32 v4, -v69, v110, v4
	v_fmac_f32_e32 v90, v68, v110
	v_fma_f32 v5, -v23, v41, v5
	v_dual_fmac_f32 v92, v67, v109 :: v_dual_fmac_f32 v93, v29, v40
	v_fma_f32 v6, -v65, v110, v6
	v_fmac_f32_e32 v91, v22, v41
	s_delay_alu instid0(VALU_DEP_4) | instskip(NEXT) | instid1(VALU_DEP_4)
	v_fmac_f32_e32 v5, v105, v42
	v_dual_fmac_f32 v92, v66, v110 :: v_dual_fmac_f32 v93, v28, v41
	s_delay_alu instid0(VALU_DEP_3) | instskip(SKIP_1) | instid1(VALU_DEP_3)
	v_dual_fmac_f32 v4, v20, v40 :: v_dual_fmac_f32 v91, v106, v42
	v_fmac_f32_e32 v90, v21, v40
	v_fmac_f32_e32 v92, v31, v40
	v_fma_f32 v7, -v31, v41, v7
	v_fmac_f32_e32 v6, v28, v40
	v_fma_f32 v4, -v21, v41, v4
	v_fmac_f32_e32 v93, v100, v42
	s_delay_alu instid0(VALU_DEP_4) | instskip(NEXT) | instid1(VALU_DEP_4)
	v_dual_fmac_f32 v90, v20, v41 :: v_dual_fmac_f32 v7, v101, v42
	v_fma_f32 v6, -v29, v41, v6
	v_fma_f32 v5, -v106, v43, v5
	s_delay_alu instid0(VALU_DEP_4) | instskip(SKIP_3) | instid1(VALU_DEP_3)
	v_fmac_f32_e32 v93, v99, v43
	v_dual_fmac_f32 v91, v105, v43 :: v_dual_fmac_f32 v92, v30, v41
	v_fmac_f32_e32 v4, v103, v42
	s_waitcnt vmcnt(4)
	v_dual_fmac_f32 v90, v104, v42 :: v_dual_fmac_f32 v93, v25, v44
	v_fma_f32 v7, -v102, v43, v7
	v_dual_fmac_f32 v6, v99, v42 :: v_dual_fmac_f32 v5, v97, v44
	v_fmac_f32_e32 v91, v98, v44
	v_fmac_f32_e32 v92, v102, v42
	v_fma_f32 v4, -v104, v43, v4
	v_dual_fmac_f32 v90, v103, v43 :: v_dual_fmac_f32 v93, v24, v45
	v_fmac_f32_e32 v7, v26, v44
	v_fma_f32 v6, -v100, v43, v6
	v_fma_f32 v5, -v98, v45, v5
	v_fmac_f32_e32 v91, v97, v45
	v_fmac_f32_e32 v92, v101, v43
	v_dual_fmac_f32 v4, v95, v44 :: v_dual_fmac_f32 v93, v13, v46
	s_delay_alu instid0(VALU_DEP_3) | instskip(SKIP_2) | instid1(VALU_DEP_3)
	v_dual_fmac_f32 v90, v96, v44 :: v_dual_fmac_f32 v91, v11, v46
	v_fma_f32 v7, -v27, v45, v7
	v_dual_fmac_f32 v6, v24, v44 :: v_dual_fmac_f32 v5, v10, v46
	v_dual_fmac_f32 v92, v27, v44 :: v_dual_fmac_f32 v91, v10, v47
	v_fma_f32 v4, -v96, v45, v4
	v_dual_fmac_f32 v90, v95, v45 :: v_dual_fmac_f32 v93, v12, v47
	s_waitcnt vmcnt(2)
	s_delay_alu instid0(VALU_DEP_3)
	v_dual_fmac_f32 v92, v26, v45 :: v_dual_fmac_f32 v91, v19, v111
	v_fmac_f32_e32 v7, v14, v46
	v_fma_f32 v6, -v25, v45, v6
	v_fma_f32 v5, -v11, v47, v5
	v_fmac_f32_e32 v4, v8, v46
	v_dual_fmac_f32 v92, v15, v46 :: v_dual_fmac_f32 v91, v18, v112
	s_delay_alu instid0(VALU_DEP_4) | instskip(SKIP_3) | instid1(VALU_DEP_4)
	v_dual_fmac_f32 v6, v12, v46 :: v_dual_fmac_f32 v93, v37, v111
	v_fma_f32 v7, -v15, v47, v7
	v_dual_fmac_f32 v90, v9, v46 :: v_dual_fmac_f32 v5, v18, v111
	v_fma_f32 v4, -v9, v47, v4
	v_fma_f32 v6, -v13, v47, v6
	s_delay_alu instid0(VALU_DEP_4)
	v_fmac_f32_e32 v7, v38, v111
	v_dual_fmac_f32 v92, v14, v47 :: v_dual_fmac_f32 v93, v36, v112
	v_fma_f32 v5, -v19, v112, v5
	v_fmac_f32_e32 v90, v8, v47
	s_waitcnt vmcnt(1)
	v_dual_fmac_f32 v4, v16, v111 :: v_dual_fmac_f32 v91, v3, v113
	s_waitcnt vmcnt(0)
	v_dual_fmac_f32 v6, v36, v111 :: v_dual_fmac_f32 v93, v33, v113
	v_fmac_f32_e32 v92, v39, v111
	v_fma_f32 v7, -v39, v112, v7
	v_fmac_f32_e32 v91, v2, v114
	v_dual_fmac_f32 v5, v2, v113 :: v_dual_fmac_f32 v90, v17, v111
	v_fma_f32 v4, -v17, v112, v4
	s_delay_alu instid0(VALU_DEP_4) | instskip(SKIP_4) | instid1(VALU_DEP_4)
	v_fmac_f32_e32 v7, v34, v113
	v_fma_f32 v6, -v37, v112, v6
	v_dual_fmac_f32 v92, v38, v112 :: v_dual_fmac_f32 v93, v32, v114
	v_fmac_f32_e32 v90, v16, v112
	v_fmac_f32_e32 v4, v0, v113
	;; [unrolled: 1-line block ×3, first 2 shown]
	s_delay_alu instid0(VALU_DEP_4)
	v_fmac_f32_e32 v92, v35, v113
	v_fma_f32 v97, -v3, v114, v5
	v_fmac_f32_e32 v90, v1, v113
	v_fma_f32 v98, -v1, v114, v4
	v_fma_f32 v96, -v33, v114, v6
	;; [unrolled: 1-line block ×3, first 2 shown]
	v_fmac_f32_e32 v92, v34, v114
	v_fmac_f32_e32 v90, v0, v114
	s_and_not1_b32 exec_lo, exec_lo, s6
	s_cbranch_execnz .LBB14_39
; %bb.40:
	s_or_b32 exec_lo, exec_lo, s6
.LBB14_41:
	s_delay_alu instid0(SALU_CYCLE_1)
	s_or_b32 exec_lo, exec_lo, s2
.LBB14_42:
	s_delay_alu instid0(SALU_CYCLE_1)
	s_or_b32 exec_lo, exec_lo, s3
.LBB14_43:
	v_mbcnt_lo_u32_b32 v0, -1, 0
	s_delay_alu instid0(VALU_DEP_1) | instskip(SKIP_2) | instid1(VALU_DEP_3)
	v_or_b32_e32 v1, 32, v0
	v_xor_b32_e32 v9, 16, v0
	v_xor_b32_e32 v17, 8, v0
	v_cmp_gt_i32_e32 vcc_lo, 32, v1
	v_cndmask_b32_e32 v1, v0, v1, vcc_lo
	s_delay_alu instid0(VALU_DEP_4) | instskip(NEXT) | instid1(VALU_DEP_2)
	v_cmp_gt_i32_e32 vcc_lo, 32, v9
	v_lshlrev_b32_e32 v1, 2, v1
	ds_bpermute_b32 v4, v1, v97
	s_waitcnt lgkmcnt(0)
	v_add_f32_e32 v4, v97, v4
	ds_bpermute_b32 v2, v1, v98
	ds_bpermute_b32 v6, v1, v96
	;; [unrolled: 1-line block ×3, first 2 shown]
	v_cndmask_b32_e32 v9, v0, v9, vcc_lo
	ds_bpermute_b32 v3, v1, v90
	ds_bpermute_b32 v5, v1, v91
	;; [unrolled: 1-line block ×4, first 2 shown]
	v_cmp_gt_i32_e32 vcc_lo, 32, v17
	s_waitcnt lgkmcnt(6)
	v_dual_cndmask_b32 v17, v0, v17 :: v_dual_add_f32 v2, v98, v2
	s_waitcnt lgkmcnt(5)
	v_add_f32_e32 v6, v96, v6
	s_waitcnt lgkmcnt(4)
	v_dual_add_f32 v8, v95, v8 :: v_dual_lshlrev_b32 v9, 2, v9
	s_waitcnt lgkmcnt(0)
	v_add_f32_e32 v1, v92, v1
	ds_bpermute_b32 v10, v9, v2
	ds_bpermute_b32 v12, v9, v4
	;; [unrolled: 1-line block ×3, first 2 shown]
	v_add_f32_e32 v3, v90, v3
	v_add_f32_e32 v5, v91, v5
	;; [unrolled: 1-line block ×3, first 2 shown]
	ds_bpermute_b32 v16, v9, v8
	s_waitcnt lgkmcnt(3)
	v_dual_add_f32 v2, v2, v10 :: v_dual_lshlrev_b32 v17, 2, v17
	ds_bpermute_b32 v13, v9, v5
	s_waitcnt lgkmcnt(3)
	v_add_f32_e32 v4, v4, v12
	ds_bpermute_b32 v11, v9, v3
	s_waitcnt lgkmcnt(3)
	v_add_f32_e32 v6, v6, v14
	;; [unrolled: 3-line block ×4, first 2 shown]
	ds_bpermute_b32 v9, v17, v2
	v_add_f32_e32 v3, v3, v11
	ds_bpermute_b32 v11, v17, v4
	v_add_f32_e32 v5, v5, v13
	;; [unrolled: 2-line block ×3, first 2 shown]
	ds_bpermute_b32 v15, v17, v8
	s_waitcnt lgkmcnt(3)
	v_add_f32_e32 v2, v2, v9
	ds_bpermute_b32 v10, v17, v3
	s_waitcnt lgkmcnt(3)
	v_add_f32_e32 v4, v4, v11
	;; [unrolled: 3-line block ×4, first 2 shown]
	ds_bpermute_b32 v16, v17, v1
	v_xor_b32_e32 v17, 4, v0
	s_delay_alu instid0(VALU_DEP_1) | instskip(SKIP_1) | instid1(VALU_DEP_1)
	v_cmp_gt_i32_e32 vcc_lo, 32, v17
	v_cndmask_b32_e32 v17, v0, v17, vcc_lo
	v_lshlrev_b32_e32 v17, 2, v17
	s_waitcnt lgkmcnt(0)
	v_add_f32_e32 v1, v1, v16
	ds_bpermute_b32 v11, v17, v4
	s_waitcnt lgkmcnt(0)
	v_add_f32_e32 v4, v4, v11
	ds_bpermute_b32 v9, v17, v2
	ds_bpermute_b32 v13, v17, v6
	;; [unrolled: 1-line block ×3, first 2 shown]
	v_add_f32_e32 v3, v3, v10
	v_add_f32_e32 v5, v5, v12
	;; [unrolled: 1-line block ×3, first 2 shown]
	ds_bpermute_b32 v16, v17, v1
	s_waitcnt lgkmcnt(3)
	v_add_f32_e32 v2, v2, v9
	ds_bpermute_b32 v10, v17, v3
	s_waitcnt lgkmcnt(2)
	v_add_f32_e32 v8, v8, v15
	ds_bpermute_b32 v14, v17, v7
	v_add_f32_e32 v6, v6, v13
	ds_bpermute_b32 v12, v17, v5
	v_xor_b32_e32 v17, 2, v0
	s_waitcnt lgkmcnt(3)
	v_add_f32_e32 v9, v1, v16
	s_delay_alu instid0(VALU_DEP_2) | instskip(SKIP_1) | instid1(VALU_DEP_1)
	v_cmp_gt_i32_e32 vcc_lo, 32, v17
	v_cndmask_b32_e32 v17, v0, v17, vcc_lo
	v_lshlrev_b32_e32 v17, 2, v17
	ds_bpermute_b32 v1, v17, v2
	s_waitcnt lgkmcnt(3)
	v_add_f32_e32 v3, v3, v10
	ds_bpermute_b32 v13, v17, v6
	s_waitcnt lgkmcnt(2)
	v_add_f32_e32 v5, v5, v12
	ds_bpermute_b32 v15, v17, v8
	v_add_f32_e32 v7, v7, v14
	ds_bpermute_b32 v10, v17, v3
	ds_bpermute_b32 v11, v17, v4
	;; [unrolled: 1-line block ×5, first 2 shown]
	v_xor_b32_e32 v17, 1, v0
	s_delay_alu instid0(VALU_DEP_1) | instskip(SKIP_3) | instid1(VALU_DEP_2)
	v_cmp_gt_i32_e32 vcc_lo, 32, v17
	v_cndmask_b32_e32 v0, v0, v17, vcc_lo
	v_cmp_eq_u32_e32 vcc_lo, 63, v89
	s_waitcnt lgkmcnt(7)
	v_dual_add_f32 v0, v2, v1 :: v_dual_lshlrev_b32 v17, 2, v0
	s_waitcnt lgkmcnt(3)
	v_dual_add_f32 v1, v3, v10 :: v_dual_add_f32 v2, v4, v11
	v_add_f32_e32 v4, v6, v13
	s_waitcnt lgkmcnt(2)
	v_dual_add_f32 v6, v8, v15 :: v_dual_add_f32 v3, v5, v12
	s_waitcnt lgkmcnt(0)
	v_add_f32_e32 v5, v7, v14
	v_add_f32_e32 v7, v9, v16
	ds_bpermute_b32 v8, v17, v0
	ds_bpermute_b32 v9, v17, v1
	;; [unrolled: 1-line block ×8, first 2 shown]
	s_and_b32 exec_lo, exec_lo, vcc_lo
	s_cbranch_execz .LBB14_13
; %bb.44:
	s_load_b64 s[2:3], s[0:1], 0x50
	s_waitcnt lgkmcnt(0)
	v_add_f32_e32 v8, v0, v8
	v_dual_add_f32 v0, v1, v9 :: v_dual_add_f32 v1, v3, v11
	v_dual_add_f32 v9, v2, v10 :: v_dual_add_f32 v2, v5, v13
	;; [unrolled: 1-line block ×3, first 2 shown]
	v_add_f32_e32 v11, v6, v14
	s_delay_alu instid0(VALU_DEP_4)
	v_mul_f32_e64 v4, v0, -v88
	v_mul_f32_e32 v5, v0, v87
	v_mul_f32_e64 v6, v1, -v88
	v_mul_f32_e32 v7, v1, v87
	;; [unrolled: 2-line block ×3, first 2 shown]
	v_mul_f32_e64 v2, v3, -v88
	v_fmac_f32_e32 v6, v87, v9
	v_mul_f32_e32 v3, v3, v87
	v_cmp_eq_f32_e32 vcc_lo, 0, v85
	v_cmp_eq_f32_e64 s0, 0, v86
	v_fmac_f32_e32 v4, v87, v8
	v_dual_fmac_f32 v5, v88, v8 :: v_dual_fmac_f32 v0, v87, v10
	v_dual_fmac_f32 v7, v88, v9 :: v_dual_lshlrev_b32 v8, 2, v76
	v_dual_fmac_f32 v2, v87, v11 :: v_dual_fmac_f32 v1, v88, v10
	v_fmac_f32_e32 v3, v88, v11
	s_and_b32 s0, vcc_lo, s0
	s_delay_alu instid0(SALU_CYCLE_1) | instskip(NEXT) | instid1(SALU_CYCLE_1)
	s_and_saveexec_b32 s1, s0
	s_xor_b32 s0, exec_lo, s1
; %bb.45:
	v_ashrrev_i32_e32 v9, 31, v8
                                        ; implicit-def: $vgpr85
                                        ; implicit-def: $vgpr86
	s_delay_alu instid0(VALU_DEP_1) | instskip(NEXT) | instid1(VALU_DEP_1)
	v_lshlrev_b64 v[8:9], 3, v[8:9]
	v_add_co_u32 v8, vcc_lo, s2, v8
	s_delay_alu instid0(VALU_DEP_2)
	v_add_co_ci_u32_e32 v9, vcc_lo, s3, v9, vcc_lo
	s_clause 0x1
	global_store_b128 v[8:9], v[4:7], off
	global_store_b128 v[8:9], v[0:3], off offset:16
                                        ; implicit-def: $vgpr4
                                        ; implicit-def: $vgpr8
                                        ; implicit-def: $vgpr0
; %bb.46:
	s_and_not1_saveexec_b32 s0, s0
	s_cbranch_execz .LBB14_13
; %bb.47:
	v_ashrrev_i32_e32 v9, 31, v8
	s_delay_alu instid0(VALU_DEP_1) | instskip(NEXT) | instid1(VALU_DEP_1)
	v_lshlrev_b64 v[8:9], 3, v[8:9]
	v_add_co_u32 v16, vcc_lo, s2, v8
	s_delay_alu instid0(VALU_DEP_2)
	v_add_co_ci_u32_e32 v17, vcc_lo, s3, v9, vcc_lo
	s_clause 0x1
	global_load_b128 v[8:11], v[16:17], off
	global_load_b128 v[12:15], v[16:17], off offset:16
	s_waitcnt vmcnt(1)
	v_dual_fmac_f32 v4, v85, v8 :: v_dual_fmac_f32 v7, v86, v10
	v_dual_fmac_f32 v5, v86, v8 :: v_dual_fmac_f32 v6, v85, v10
	s_waitcnt vmcnt(0)
	v_dual_fmac_f32 v0, v85, v12 :: v_dual_fmac_f32 v3, v86, v14
	v_dual_fmac_f32 v1, v86, v12 :: v_dual_fmac_f32 v2, v85, v14
	v_fma_f32 v4, -v86, v9, v4
	v_fmac_f32_e32 v5, v85, v9
	v_fma_f32 v6, -v86, v11, v6
	v_fmac_f32_e32 v7, v85, v11
	;; [unrolled: 2-line block ×4, first 2 shown]
	s_clause 0x1
	global_store_b128 v[16:17], v[4:7], off
	global_store_b128 v[16:17], v[0:3], off offset:16
	s_nop 0
	s_sendmsg sendmsg(MSG_DEALLOC_VGPRS)
	s_endpgm
	.section	.rodata,"a",@progbits
	.p2align	6, 0x0
	.amdhsa_kernel _ZN9rocsparseL18bsrxmvn_4x4_kernelILj128ELj64E21rocsparse_complex_numIfEiiS2_S2_S2_EEvT3_20rocsparse_direction_NS_24const_host_device_scalarIT1_EES3_PKS3_PKT2_SC_S9_PKT4_PKT5_S7_PT6_21rocsparse_index_base_b
		.amdhsa_group_segment_fixed_size 0
		.amdhsa_private_segment_fixed_size 0
		.amdhsa_kernarg_size 96
		.amdhsa_user_sgpr_count 15
		.amdhsa_user_sgpr_dispatch_ptr 0
		.amdhsa_user_sgpr_queue_ptr 0
		.amdhsa_user_sgpr_kernarg_segment_ptr 1
		.amdhsa_user_sgpr_dispatch_id 0
		.amdhsa_user_sgpr_private_segment_size 0
		.amdhsa_wavefront_size32 1
		.amdhsa_uses_dynamic_stack 0
		.amdhsa_enable_private_segment 0
		.amdhsa_system_sgpr_workgroup_id_x 1
		.amdhsa_system_sgpr_workgroup_id_y 0
		.amdhsa_system_sgpr_workgroup_id_z 0
		.amdhsa_system_sgpr_workgroup_info 0
		.amdhsa_system_vgpr_workitem_id 0
		.amdhsa_next_free_vgpr 152
		.amdhsa_next_free_sgpr 16
		.amdhsa_reserve_vcc 1
		.amdhsa_float_round_mode_32 0
		.amdhsa_float_round_mode_16_64 0
		.amdhsa_float_denorm_mode_32 3
		.amdhsa_float_denorm_mode_16_64 3
		.amdhsa_dx10_clamp 1
		.amdhsa_ieee_mode 1
		.amdhsa_fp16_overflow 0
		.amdhsa_workgroup_processor_mode 1
		.amdhsa_memory_ordered 1
		.amdhsa_forward_progress 0
		.amdhsa_shared_vgpr_count 0
		.amdhsa_exception_fp_ieee_invalid_op 0
		.amdhsa_exception_fp_denorm_src 0
		.amdhsa_exception_fp_ieee_div_zero 0
		.amdhsa_exception_fp_ieee_overflow 0
		.amdhsa_exception_fp_ieee_underflow 0
		.amdhsa_exception_fp_ieee_inexact 0
		.amdhsa_exception_int_div_zero 0
	.end_amdhsa_kernel
	.section	.text._ZN9rocsparseL18bsrxmvn_4x4_kernelILj128ELj64E21rocsparse_complex_numIfEiiS2_S2_S2_EEvT3_20rocsparse_direction_NS_24const_host_device_scalarIT1_EES3_PKS3_PKT2_SC_S9_PKT4_PKT5_S7_PT6_21rocsparse_index_base_b,"axG",@progbits,_ZN9rocsparseL18bsrxmvn_4x4_kernelILj128ELj64E21rocsparse_complex_numIfEiiS2_S2_S2_EEvT3_20rocsparse_direction_NS_24const_host_device_scalarIT1_EES3_PKS3_PKT2_SC_S9_PKT4_PKT5_S7_PT6_21rocsparse_index_base_b,comdat
.Lfunc_end14:
	.size	_ZN9rocsparseL18bsrxmvn_4x4_kernelILj128ELj64E21rocsparse_complex_numIfEiiS2_S2_S2_EEvT3_20rocsparse_direction_NS_24const_host_device_scalarIT1_EES3_PKS3_PKT2_SC_S9_PKT4_PKT5_S7_PT6_21rocsparse_index_base_b, .Lfunc_end14-_ZN9rocsparseL18bsrxmvn_4x4_kernelILj128ELj64E21rocsparse_complex_numIfEiiS2_S2_S2_EEvT3_20rocsparse_direction_NS_24const_host_device_scalarIT1_EES3_PKS3_PKT2_SC_S9_PKT4_PKT5_S7_PT6_21rocsparse_index_base_b
                                        ; -- End function
	.section	.AMDGPU.csdata,"",@progbits
; Kernel info:
; codeLenInByte = 7788
; NumSgprs: 18
; NumVgprs: 152
; ScratchSize: 0
; MemoryBound: 0
; FloatMode: 240
; IeeeMode: 1
; LDSByteSize: 0 bytes/workgroup (compile time only)
; SGPRBlocks: 2
; VGPRBlocks: 18
; NumSGPRsForWavesPerEU: 18
; NumVGPRsForWavesPerEU: 152
; Occupancy: 9
; WaveLimiterHint : 1
; COMPUTE_PGM_RSRC2:SCRATCH_EN: 0
; COMPUTE_PGM_RSRC2:USER_SGPR: 15
; COMPUTE_PGM_RSRC2:TRAP_HANDLER: 0
; COMPUTE_PGM_RSRC2:TGID_X_EN: 1
; COMPUTE_PGM_RSRC2:TGID_Y_EN: 0
; COMPUTE_PGM_RSRC2:TGID_Z_EN: 0
; COMPUTE_PGM_RSRC2:TIDIG_COMP_CNT: 0
	.section	.text._ZN9rocsparseL18bsrxmvn_4x4_kernelILj128ELj4E21rocsparse_complex_numIdEiiS2_S2_S2_EEvT3_20rocsparse_direction_NS_24const_host_device_scalarIT1_EES3_PKS3_PKT2_SC_S9_PKT4_PKT5_S7_PT6_21rocsparse_index_base_b,"axG",@progbits,_ZN9rocsparseL18bsrxmvn_4x4_kernelILj128ELj4E21rocsparse_complex_numIdEiiS2_S2_S2_EEvT3_20rocsparse_direction_NS_24const_host_device_scalarIT1_EES3_PKS3_PKT2_SC_S9_PKT4_PKT5_S7_PT6_21rocsparse_index_base_b,comdat
	.globl	_ZN9rocsparseL18bsrxmvn_4x4_kernelILj128ELj4E21rocsparse_complex_numIdEiiS2_S2_S2_EEvT3_20rocsparse_direction_NS_24const_host_device_scalarIT1_EES3_PKS3_PKT2_SC_S9_PKT4_PKT5_S7_PT6_21rocsparse_index_base_b ; -- Begin function _ZN9rocsparseL18bsrxmvn_4x4_kernelILj128ELj4E21rocsparse_complex_numIdEiiS2_S2_S2_EEvT3_20rocsparse_direction_NS_24const_host_device_scalarIT1_EES3_PKS3_PKT2_SC_S9_PKT4_PKT5_S7_PT6_21rocsparse_index_base_b
	.p2align	8
	.type	_ZN9rocsparseL18bsrxmvn_4x4_kernelILj128ELj4E21rocsparse_complex_numIdEiiS2_S2_S2_EEvT3_20rocsparse_direction_NS_24const_host_device_scalarIT1_EES3_PKS3_PKT2_SC_S9_PKT4_PKT5_S7_PT6_21rocsparse_index_base_b,@function
_ZN9rocsparseL18bsrxmvn_4x4_kernelILj128ELj4E21rocsparse_complex_numIdEiiS2_S2_S2_EEvT3_20rocsparse_direction_NS_24const_host_device_scalarIT1_EES3_PKS3_PKT2_SC_S9_PKT4_PKT5_S7_PT6_21rocsparse_index_base_b: ; @_ZN9rocsparseL18bsrxmvn_4x4_kernelILj128ELj4E21rocsparse_complex_numIdEiiS2_S2_S2_EEvT3_20rocsparse_direction_NS_24const_host_device_scalarIT1_EES3_PKS3_PKT2_SC_S9_PKT4_PKT5_S7_PT6_21rocsparse_index_base_b
; %bb.0:
	s_load_b64 s[12:13], s[2:3], 0x68
	s_load_b64 s[16:17], s[0:1], 0x4
	s_load_b128 s[8:11], s[2:3], 0x8
	v_bfe_u32 v2, v0, 10, 10
	s_mov_b64 s[0:1], src_shared_base
	s_load_b128 s[4:7], s[2:3], 0x50
	v_and_b32_e32 v1, 0x3ff, v0
	v_bfe_u32 v0, v0, 20, 10
	s_waitcnt lgkmcnt(0)
	s_bitcmp1_b32 s13, 0
	v_mul_u32_u24_e32 v2, s17, v2
	s_cselect_b32 s0, -1, 0
	v_mov_b32_e32 v23, s11
	s_and_b32 vcc_lo, s0, exec_lo
	s_cselect_b32 s13, s1, s9
	s_lshr_b32 s14, s16, 16
	v_dual_mov_b32 v4, s4 :: v_dual_mov_b32 v5, s5
	s_mul_i32 s14, s14, s17
	v_dual_mov_b32 v7, s13 :: v_dual_mov_b32 v22, s10
	v_mad_u32_u24 v2, s14, v1, v2
	s_xor_b32 s10, s0, -1
	s_delay_alu instid0(VALU_DEP_1) | instskip(SKIP_1) | instid1(VALU_DEP_2)
	v_add_lshl_u32 v0, v2, v0, 3
	v_dual_mov_b32 v2, s8 :: v_dual_mov_b32 v3, s9
	v_add_nc_u32_e32 v6, 0x400, v0
	ds_store_2addr_stride64_b64 v0, v[4:5], v[2:3] offset1:2
	v_cndmask_b32_e64 v6, s8, v6, s0
	flat_load_b64 v[20:21], v[6:7]
	s_cbranch_vccnz .LBB15_2
; %bb.1:
	v_dual_mov_b32 v2, s8 :: v_dual_mov_b32 v3, s9
	flat_load_b64 v[22:23], v[2:3] offset:8
.LBB15_2:
	s_and_b32 s8, s0, exec_lo
	s_cselect_b32 s1, s1, s5
	v_cndmask_b32_e64 v2, s4, v0, s0
	v_mov_b32_e32 v3, s1
	v_dual_mov_b32 v19, s7 :: v_dual_mov_b32 v18, s6
	s_and_not1_b32 vcc_lo, exec_lo, s10
	flat_load_b64 v[16:17], v[2:3]
	s_cbranch_vccnz .LBB15_4
; %bb.3:
	v_dual_mov_b32 v2, s4 :: v_dual_mov_b32 v3, s5
	flat_load_b64 v[18:19], v[2:3] offset:8
.LBB15_4:
	s_waitcnt vmcnt(1) lgkmcnt(1)
	v_cmp_eq_f64_e32 vcc_lo, 0, v[20:21]
	v_cmp_eq_f64_e64 s0, 0, v[22:23]
	s_delay_alu instid0(VALU_DEP_1)
	s_and_b32 s4, vcc_lo, s0
	s_mov_b32 s0, -1
	s_and_saveexec_b32 s1, s4
	s_cbranch_execz .LBB15_6
; %bb.5:
	s_waitcnt vmcnt(0) lgkmcnt(0)
	v_cmp_neq_f64_e32 vcc_lo, 1.0, v[16:17]
	v_cmp_neq_f64_e64 s0, 0, v[18:19]
	s_delay_alu instid0(VALU_DEP_1) | instskip(NEXT) | instid1(SALU_CYCLE_1)
	s_or_b32 s0, vcc_lo, s0
	s_or_not1_b32 s0, s0, exec_lo
.LBB15_6:
	s_or_b32 exec_lo, exec_lo, s1
	s_and_saveexec_b32 s1, s0
	s_cbranch_execz .LBB15_12
; %bb.7:
	s_clause 0x1
	s_load_b64 s[4:5], s[2:3], 0x20
	s_load_b64 s[0:1], s[2:3], 0x0
	v_lshrrev_b32_e32 v0, 2, v1
	s_delay_alu instid0(VALU_DEP_1)
	v_lshl_or_b32 v24, s15, 5, v0
	s_waitcnt lgkmcnt(0)
	s_cmp_lg_u64 s[4:5], 0
	s_cbranch_scc0 .LBB15_13
; %bb.8:
	s_load_b32 s6, s[2:3], 0x18
	s_mov_b32 s7, 0
                                        ; implicit-def: $vgpr0
	s_waitcnt lgkmcnt(0)
	v_cmp_gt_i32_e32 vcc_lo, s6, v24
	s_mov_b32 s6, 0
	s_and_saveexec_b32 s8, vcc_lo
	s_delay_alu instid0(SALU_CYCLE_1)
	s_xor_b32 s8, exec_lo, s8
	s_cbranch_execz .LBB15_10
; %bb.9:
	v_ashrrev_i32_e32 v25, 31, v24
	s_mov_b32 s6, exec_lo
	s_delay_alu instid0(VALU_DEP_1) | instskip(NEXT) | instid1(VALU_DEP_1)
	v_lshlrev_b64 v[2:3], 2, v[24:25]
	v_add_co_u32 v2, vcc_lo, s4, v2
	s_delay_alu instid0(VALU_DEP_2)
	v_add_co_ci_u32_e32 v3, vcc_lo, s5, v3, vcc_lo
	global_load_b32 v0, v[2:3], off
	s_waitcnt vmcnt(0)
	v_subrev_nc_u32_e32 v0, s12, v0
.LBB15_10:
	s_or_b32 exec_lo, exec_lo, s8
	s_delay_alu instid0(SALU_CYCLE_1)
	s_and_b32 vcc_lo, exec_lo, s7
	s_cbranch_vccz .LBB15_14
.LBB15_11:
	v_cmp_gt_i32_e32 vcc_lo, s0, v24
	s_and_not1_b32 s0, s6, exec_lo
	s_and_b32 s4, vcc_lo, exec_lo
	s_delay_alu instid0(SALU_CYCLE_1) | instskip(NEXT) | instid1(SALU_CYCLE_1)
	s_or_b32 s6, s0, s4
	s_and_b32 exec_lo, exec_lo, s6
	s_cbranch_execnz .LBB15_15
.LBB15_12:
	s_nop 0
	s_sendmsg sendmsg(MSG_DEALLOC_VGPRS)
	s_endpgm
.LBB15_13:
	s_mov_b32 s6, 0
                                        ; implicit-def: $vgpr0
	s_cbranch_execnz .LBB15_11
.LBB15_14:
	s_delay_alu instid0(VALU_DEP_1)
	v_mov_b32_e32 v24, v0
	s_and_b32 exec_lo, exec_lo, s6
	s_cbranch_execz .LBB15_12
.LBB15_15:
	s_load_b256 s[4:11], s[2:3], 0x28
	s_delay_alu instid0(VALU_DEP_1) | instskip(SKIP_1) | instid1(VALU_DEP_2)
	v_ashrrev_i32_e32 v25, 31, v24
	v_and_b32_e32 v50, 3, v1
	v_lshlrev_b64 v[2:3], 2, v[24:25]
	s_waitcnt lgkmcnt(0)
	s_delay_alu instid0(VALU_DEP_1) | instskip(NEXT) | instid1(VALU_DEP_2)
	v_add_co_u32 v4, vcc_lo, s4, v2
	v_add_co_ci_u32_e32 v5, vcc_lo, s5, v3, vcc_lo
	v_add_co_u32 v0, vcc_lo, s6, v2
	v_add_co_ci_u32_e32 v2, vcc_lo, s7, v3, vcc_lo
	global_load_b32 v52, v[4:5], off
	v_add_co_u32 v4, vcc_lo, v4, 4
	v_add_co_ci_u32_e32 v3, vcc_lo, 0, v5, vcc_lo
	s_cmp_eq_u64 s[6:7], 0
	s_load_b64 s[4:5], s[2:3], 0x48
	s_cselect_b32 vcc_lo, -1, 0
	s_cmp_eq_u32 s1, 1
	v_dual_cndmask_b32 v3, v2, v3 :: v_dual_cndmask_b32 v2, v0, v4
	global_load_b32 v2, v[2:3], off
	s_waitcnt vmcnt(1)
	v_subrev_nc_u32_e32 v0, s12, v52
	s_delay_alu instid0(VALU_DEP_1) | instskip(NEXT) | instid1(VALU_DEP_1)
	v_add_nc_u32_e32 v25, v0, v50
	v_ashrrev_i32_e32 v26, 31, v25
	s_waitcnt vmcnt(0)
	v_subrev_nc_u32_e32 v51, s12, v2
	s_delay_alu instid0(VALU_DEP_2) | instskip(NEXT) | instid1(VALU_DEP_2)
	v_lshlrev_b64 v[0:1], 8, v[25:26]
	v_cmp_lt_i32_e64 s0, v25, v51
	s_delay_alu instid0(VALU_DEP_2) | instskip(NEXT) | instid1(VALU_DEP_3)
	v_add_co_u32 v27, vcc_lo, s10, v0
	v_add_co_ci_u32_e32 v28, vcc_lo, s11, v1, vcc_lo
	s_cbranch_scc1 .LBB15_27
; %bb.16:
	v_mov_b32_e32 v33, 0
	v_mov_b32_e32 v34, 0
	s_delay_alu instid0(VALU_DEP_2) | instskip(NEXT) | instid1(VALU_DEP_2)
	v_mov_b32_e32 v31, v33
	v_dual_mov_b32 v29, v33 :: v_dual_mov_b32 v30, v34
	v_dual_mov_b32 v38, v34 :: v_dual_mov_b32 v37, v33
	v_mov_b32_e32 v32, v34
	v_dual_mov_b32 v40, v34 :: v_dual_mov_b32 v39, v33
	v_dual_mov_b32 v42, v34 :: v_dual_mov_b32 v41, v33
	;; [unrolled: 1-line block ×4, first 2 shown]
	s_and_saveexec_b32 s6, s0
	s_cbranch_execz .LBB15_26
; %bb.17:
	v_dual_mov_b32 v35, 0 :: v_dual_add_nc_u32 v0, v52, v50
	v_mov_b32_e32 v46, v28
	v_not_b32_e32 v1, v52
	v_mov_b32_e32 v47, v25
	s_delay_alu instid0(VALU_DEP_4) | instskip(SKIP_2) | instid1(VALU_DEP_1)
	v_subrev_nc_u32_e32 v0, s12, v0
	s_mov_b32 s10, 0
	s_mov_b32 s7, exec_lo
	v_dual_mov_b32 v45, v27 :: v_dual_add_nc_u32 v0, 4, v0
	s_delay_alu instid0(VALU_DEP_1) | instskip(NEXT) | instid1(VALU_DEP_1)
	v_max_i32_e32 v0, v0, v51
	v_add3_u32 v0, v0, s12, v1
	s_delay_alu instid0(VALU_DEP_1) | instskip(NEXT) | instid1(VALU_DEP_1)
	v_sub_nc_u32_e32 v0, v0, v50
	v_lshrrev_b32_e32 v1, 2, v0
	s_delay_alu instid0(VALU_DEP_1) | instskip(NEXT) | instid1(VALU_DEP_1)
	v_dual_mov_b32 v36, 0 :: v_dual_add_nc_u32 v1, 1, v1
	v_mov_b32_e32 v44, v36
	v_mov_b32_e32 v42, v36
	v_dual_mov_b32 v40, v36 :: v_dual_mov_b32 v43, v35
	s_delay_alu instid0(VALU_DEP_4)
	v_and_b32_e32 v1, 3, v1
	v_mov_b32_e32 v41, v35
	v_mov_b32_e32 v39, v35
	v_dual_mov_b32 v29, v35 :: v_dual_mov_b32 v30, v36
	v_dual_mov_b32 v31, v35 :: v_dual_mov_b32 v32, v36
	;; [unrolled: 1-line block ×4, first 2 shown]
	v_cmpx_ne_u32_e32 0, v1
	s_cbranch_execz .LBB15_21
; %bb.18:
	v_dual_mov_b32 v33, 0 :: v_dual_mov_b32 v46, v28
	v_dual_mov_b32 v34, 0 :: v_dual_lshlrev_b32 v1, 8, v1
	s_delay_alu instid0(VALU_DEP_2) | instskip(SKIP_1) | instid1(VALU_DEP_3)
	v_mov_b32_e32 v31, v33
	v_mov_b32_e32 v29, v33
	v_dual_mov_b32 v47, v25 :: v_dual_mov_b32 v38, v34
	v_mov_b32_e32 v40, v34
	v_dual_mov_b32 v42, v34 :: v_dual_mov_b32 v39, v33
	v_dual_mov_b32 v44, v34 :: v_dual_mov_b32 v41, v33
	;; [unrolled: 1-line block ×5, first 2 shown]
	v_mov_b32_e32 v35, v33
.LBB15_19:                              ; =>This Inner Loop Header: Depth=1
	v_ashrrev_i32_e32 v48, 31, v47
	v_add_nc_u32_e32 v1, 0xffffff00, v1
	s_delay_alu instid0(VALU_DEP_2) | instskip(NEXT) | instid1(VALU_DEP_2)
	v_lshlrev_b64 v[2:3], 2, v[47:48]
	v_cmp_eq_u32_e64 s1, 0, v1
	v_add_nc_u32_e32 v47, 4, v47
	s_delay_alu instid0(VALU_DEP_2) | instskip(NEXT) | instid1(VALU_DEP_3)
	s_or_b32 s10, s1, s10
	v_add_co_u32 v2, vcc_lo, s8, v2
	s_delay_alu instid0(VALU_DEP_4)
	v_add_co_ci_u32_e32 v3, vcc_lo, s9, v3, vcc_lo
	global_load_b32 v14, v[2:3], off
	s_clause 0x7
	global_load_b128 v[2:5], v[45:46], off offset:16
	global_load_b128 v[6:9], v[45:46], off
	global_load_b128 v[10:13], v[45:46], off offset:80
	global_load_b128 v[53:56], v[45:46], off offset:64
	;; [unrolled: 1-line block ×6, first 2 shown]
	s_waitcnt vmcnt(8)
	v_subrev_nc_u32_e32 v14, s12, v14
	s_delay_alu instid0(VALU_DEP_1) | instskip(NEXT) | instid1(VALU_DEP_1)
	v_lshlrev_b32_e32 v14, 2, v14
	v_ashrrev_i32_e32 v15, 31, v14
	s_delay_alu instid0(VALU_DEP_1) | instskip(SKIP_1) | instid1(VALU_DEP_1)
	v_lshlrev_b64 v[14:15], 4, v[14:15]
	s_waitcnt lgkmcnt(0)
	v_add_co_u32 v14, vcc_lo, s4, v14
	s_delay_alu instid0(VALU_DEP_2)
	v_add_co_ci_u32_e32 v15, vcc_lo, s5, v15, vcc_lo
	s_clause 0x1
	global_load_b128 v[73:76], v[14:15], off
	global_load_b128 v[77:80], v[14:15], off offset:16
	s_clause 0x7
	global_load_b128 v[81:84], v[45:46], off offset:48
	global_load_b128 v[85:88], v[45:46], off offset:32
	;; [unrolled: 1-line block ×8, first 2 shown]
	s_clause 0x1
	global_load_b128 v[113:116], v[14:15], off offset:32
	global_load_b128 v[117:120], v[14:15], off offset:48
	v_add_co_u32 v45, vcc_lo, 0x400, v45
	v_add_co_ci_u32_e32 v46, vcc_lo, 0, v46, vcc_lo
	s_waitcnt vmcnt(11)
	v_fma_f64 v[14:15], v[6:7], v[73:74], v[37:38]
	v_fma_f64 v[33:34], v[8:9], v[73:74], v[33:34]
	v_fma_f64 v[37:38], v[53:54], v[73:74], v[43:44]
	v_fma_f64 v[35:36], v[55:56], v[73:74], v[35:36]
	v_fma_f64 v[39:40], v[61:62], v[73:74], v[39:40]
	v_fma_f64 v[41:42], v[63:64], v[73:74], v[41:42]
	v_fma_f64 v[31:32], v[69:70], v[73:74], v[31:32]
	v_fma_f64 v[29:30], v[71:72], v[73:74], v[29:30]
	v_fma_f64 v[8:9], -v[8:9], v[75:76], v[14:15]
	v_fma_f64 v[6:7], v[6:7], v[75:76], v[33:34]
	v_fma_f64 v[14:15], -v[55:56], v[75:76], v[37:38]
	v_fma_f64 v[33:34], v[53:54], v[75:76], v[35:36]
	v_fma_f64 v[35:36], -v[63:64], v[75:76], v[39:40]
	v_fma_f64 v[37:38], v[61:62], v[75:76], v[41:42]
	v_fma_f64 v[31:32], -v[71:72], v[75:76], v[31:32]
	v_fma_f64 v[29:30], v[69:70], v[75:76], v[29:30]
	s_waitcnt vmcnt(10)
	v_fma_f64 v[8:9], v[2:3], v[77:78], v[8:9]
	v_fma_f64 v[6:7], v[4:5], v[77:78], v[6:7]
	v_fma_f64 v[14:15], v[10:11], v[77:78], v[14:15]
	v_fma_f64 v[33:34], v[12:13], v[77:78], v[33:34]
	v_fma_f64 v[35:36], v[57:58], v[77:78], v[35:36]
	v_fma_f64 v[37:38], v[59:60], v[77:78], v[37:38]
	v_fma_f64 v[31:32], v[65:66], v[77:78], v[31:32]
	v_fma_f64 v[29:30], v[67:68], v[77:78], v[29:30]
	v_fma_f64 v[4:5], -v[4:5], v[79:80], v[8:9]
	v_fma_f64 v[2:3], v[2:3], v[79:80], v[6:7]
	v_fma_f64 v[6:7], -v[12:13], v[79:80], v[14:15]
	v_fma_f64 v[8:9], v[10:11], v[79:80], v[33:34]
	v_fma_f64 v[10:11], -v[59:60], v[79:80], v[35:36]
	v_fma_f64 v[12:13], v[57:58], v[79:80], v[37:38]
	v_fma_f64 v[14:15], -v[67:68], v[79:80], v[31:32]
	v_fma_f64 v[29:30], v[65:66], v[79:80], v[29:30]
	s_waitcnt vmcnt(1)
	v_fma_f64 v[4:5], v[85:86], v[113:114], v[4:5]
	v_fma_f64 v[2:3], v[87:88], v[113:114], v[2:3]
	v_fma_f64 v[6:7], v[93:94], v[113:114], v[6:7]
	v_fma_f64 v[8:9], v[95:96], v[113:114], v[8:9]
	v_fma_f64 v[10:11], v[101:102], v[113:114], v[10:11]
	v_fma_f64 v[12:13], v[103:104], v[113:114], v[12:13]
	v_fma_f64 v[14:15], v[109:110], v[113:114], v[14:15]
	v_fma_f64 v[29:30], v[111:112], v[113:114], v[29:30]
	v_fma_f64 v[4:5], -v[87:88], v[115:116], v[4:5]
	v_fma_f64 v[2:3], v[85:86], v[115:116], v[2:3]
	v_fma_f64 v[6:7], -v[95:96], v[115:116], v[6:7]
	v_fma_f64 v[8:9], v[93:94], v[115:116], v[8:9]
	v_fma_f64 v[10:11], -v[103:104], v[115:116], v[10:11]
	v_fma_f64 v[12:13], v[101:102], v[115:116], v[12:13]
	v_fma_f64 v[14:15], -v[111:112], v[115:116], v[14:15]
	v_fma_f64 v[29:30], v[109:110], v[115:116], v[29:30]
	s_waitcnt vmcnt(0)
	v_fma_f64 v[4:5], v[81:82], v[117:118], v[4:5]
	v_fma_f64 v[2:3], v[83:84], v[117:118], v[2:3]
	v_fma_f64 v[6:7], v[89:90], v[117:118], v[6:7]
	v_fma_f64 v[8:9], v[91:92], v[117:118], v[8:9]
	v_fma_f64 v[10:11], v[97:98], v[117:118], v[10:11]
	v_fma_f64 v[12:13], v[99:100], v[117:118], v[12:13]
	v_fma_f64 v[14:15], v[105:106], v[117:118], v[14:15]
	v_fma_f64 v[29:30], v[107:108], v[117:118], v[29:30]
	v_fma_f64 v[37:38], -v[83:84], v[119:120], v[4:5]
	v_fma_f64 v[33:34], v[81:82], v[119:120], v[2:3]
	v_fma_f64 v[43:44], -v[91:92], v[119:120], v[6:7]
	v_fma_f64 v[35:36], v[89:90], v[119:120], v[8:9]
	v_fma_f64 v[39:40], -v[99:100], v[119:120], v[10:11]
	v_fma_f64 v[41:42], v[97:98], v[119:120], v[12:13]
	v_fma_f64 v[31:32], -v[107:108], v[119:120], v[14:15]
	v_fma_f64 v[29:30], v[105:106], v[119:120], v[29:30]
	s_and_not1_b32 exec_lo, exec_lo, s10
	s_cbranch_execnz .LBB15_19
; %bb.20:
	s_or_b32 exec_lo, exec_lo, s10
.LBB15_21:
	s_delay_alu instid0(SALU_CYCLE_1) | instskip(NEXT) | instid1(SALU_CYCLE_1)
	s_or_b32 exec_lo, exec_lo, s7
	s_mov_b32 s7, exec_lo
	v_cmpx_lt_u32_e32 11, v0
	s_cbranch_execz .LBB15_25
; %bb.22:
	s_mov_b32 s10, 0
.LBB15_23:                              ; =>This Inner Loop Header: Depth=1
	v_ashrrev_i32_e32 v48, 31, v47
	s_delay_alu instid0(VALU_DEP_1) | instskip(SKIP_1) | instid1(VALU_DEP_2)
	v_lshlrev_b64 v[0:1], 2, v[47:48]
	v_add_nc_u32_e32 v47, 16, v47
	v_add_co_u32 v48, vcc_lo, s8, v0
	s_delay_alu instid0(VALU_DEP_3)
	v_add_co_ci_u32_e32 v49, vcc_lo, s9, v1, vcc_lo
	global_load_b32 v53, v[48:49], off
	s_clause 0x3
	global_load_b128 v[12:15], v[45:46], off
	global_load_b128 v[8:11], v[45:46], off offset:64
	global_load_b128 v[4:7], v[45:46], off offset:128
	;; [unrolled: 1-line block ×3, first 2 shown]
	s_clause 0x2
	global_load_b32 v26, v[48:49], off offset:16
	global_load_b32 v149, v[48:49], off offset:32
	;; [unrolled: 1-line block ×3, first 2 shown]
	s_waitcnt vmcnt(7)
	v_subrev_nc_u32_e32 v48, s12, v53
	s_delay_alu instid0(VALU_DEP_1) | instskip(SKIP_2) | instid1(VALU_DEP_2)
	v_lshlrev_b32_e32 v48, 2, v48
	s_waitcnt vmcnt(2)
	v_subrev_nc_u32_e32 v26, s12, v26
	v_ashrrev_i32_e32 v49, 31, v48
	s_delay_alu instid0(VALU_DEP_1) | instskip(SKIP_1) | instid1(VALU_DEP_1)
	v_lshlrev_b64 v[48:49], 4, v[48:49]
	s_waitcnt lgkmcnt(0)
	v_add_co_u32 v48, vcc_lo, s4, v48
	s_delay_alu instid0(VALU_DEP_2)
	v_add_co_ci_u32_e32 v49, vcc_lo, s5, v49, vcc_lo
	global_load_b128 v[53:56], v[48:49], off
	s_clause 0x3
	global_load_b128 v[57:60], v[45:46], off offset:16
	global_load_b128 v[61:64], v[45:46], off offset:80
	global_load_b128 v[65:68], v[45:46], off offset:144
	global_load_b128 v[69:72], v[45:46], off offset:208
	global_load_b128 v[73:76], v[48:49], off offset:16
	s_clause 0x3
	global_load_b128 v[77:80], v[45:46], off offset:96
	global_load_b128 v[81:84], v[45:46], off offset:160
	global_load_b128 v[85:88], v[45:46], off offset:224
	global_load_b128 v[89:92], v[45:46], off offset:32
	global_load_b128 v[93:96], v[48:49], off offset:32
	;; [unrolled: 6-line block ×3, first 2 shown]
	s_clause 0x3
	global_load_b128 v[117:120], v[45:46], off offset:1024
	global_load_b128 v[121:124], v[45:46], off offset:1088
	;; [unrolled: 1-line block ×4, first 2 shown]
	v_lshlrev_b32_e32 v48, 2, v26
	s_waitcnt vmcnt(21)
	v_subrev_nc_u32_e32 v26, s12, v149
	s_delay_alu instid0(VALU_DEP_2) | instskip(NEXT) | instid1(VALU_DEP_2)
	v_ashrrev_i32_e32 v49, 31, v48
	v_lshlrev_b32_e32 v149, 2, v26
	s_waitcnt vmcnt(20)
	v_subrev_nc_u32_e32 v26, s12, v151
	s_delay_alu instid0(VALU_DEP_3) | instskip(NEXT) | instid1(VALU_DEP_3)
	v_lshlrev_b64 v[48:49], 4, v[48:49]
	v_ashrrev_i32_e32 v150, 31, v149
	s_delay_alu instid0(VALU_DEP_2) | instskip(NEXT) | instid1(VALU_DEP_3)
	v_add_co_u32 v48, vcc_lo, s4, v48
	v_add_co_ci_u32_e32 v49, vcc_lo, s5, v49, vcc_lo
	global_load_b128 v[133:136], v[48:49], off
	s_waitcnt vmcnt(20)
	v_fma_f64 v[37:38], v[12:13], v[53:54], v[37:38]
	v_fma_f64 v[33:34], v[14:15], v[53:54], v[33:34]
	v_fma_f64 v[43:44], v[8:9], v[53:54], v[43:44]
	v_fma_f64 v[35:36], v[10:11], v[53:54], v[35:36]
	v_fma_f64 v[39:40], v[4:5], v[53:54], v[39:40]
	v_fma_f64 v[41:42], v[6:7], v[53:54], v[41:42]
	v_fma_f64 v[31:32], v[0:1], v[53:54], v[31:32]
	v_fma_f64 v[29:30], v[2:3], v[53:54], v[29:30]
	v_fma_f64 v[37:38], -v[14:15], v[55:56], v[37:38]
	v_fma_f64 v[33:34], v[12:13], v[55:56], v[33:34]
	v_fma_f64 v[43:44], -v[10:11], v[55:56], v[43:44]
	v_fma_f64 v[35:36], v[8:9], v[55:56], v[35:36]
	v_fma_f64 v[39:40], -v[6:7], v[55:56], v[39:40]
	v_fma_f64 v[41:42], v[4:5], v[55:56], v[41:42]
	v_fma_f64 v[53:54], -v[2:3], v[55:56], v[31:32]
	v_fma_f64 v[55:56], v[0:1], v[55:56], v[29:30]
	s_clause 0x3
	global_load_b128 v[0:3], v[45:46], off offset:1040
	global_load_b128 v[4:7], v[45:46], off offset:1104
	global_load_b128 v[8:11], v[45:46], off offset:1168
	global_load_b128 v[12:15], v[45:46], off offset:1232
	global_load_b128 v[29:32], v[48:49], off offset:16
	s_waitcnt vmcnt(20)
	v_fma_f64 v[37:38], v[57:58], v[73:74], v[37:38]
	v_fma_f64 v[33:34], v[59:60], v[73:74], v[33:34]
	v_fma_f64 v[43:44], v[61:62], v[73:74], v[43:44]
	v_fma_f64 v[35:36], v[63:64], v[73:74], v[35:36]
	v_fma_f64 v[39:40], v[65:66], v[73:74], v[39:40]
	v_fma_f64 v[41:42], v[67:68], v[73:74], v[41:42]
	v_fma_f64 v[53:54], v[69:70], v[73:74], v[53:54]
	v_fma_f64 v[55:56], v[71:72], v[73:74], v[55:56]
	v_fma_f64 v[73:74], -v[59:60], v[75:76], v[37:38]
	v_fma_f64 v[137:138], v[57:58], v[75:76], v[33:34]
	v_fma_f64 v[63:64], -v[63:64], v[75:76], v[43:44]
	v_fma_f64 v[61:62], v[61:62], v[75:76], v[35:36]
	v_fma_f64 v[67:68], -v[67:68], v[75:76], v[39:40]
	v_fma_f64 v[65:66], v[65:66], v[75:76], v[41:42]
	v_fma_f64 v[71:72], -v[71:72], v[75:76], v[53:54]
	v_fma_f64 v[69:70], v[69:70], v[75:76], v[55:56]
	s_clause 0x3
	global_load_b128 v[33:36], v[45:46], off offset:1120
	global_load_b128 v[37:40], v[45:46], off offset:1184
	global_load_b128 v[41:44], v[45:46], off offset:1248
	global_load_b128 v[53:56], v[45:46], off offset:1056
	global_load_b128 v[57:60], v[48:49], off offset:32
	s_waitcnt vmcnt(20)
	v_fma_f64 v[73:74], v[89:90], v[93:94], v[73:74]
	v_fma_f64 v[75:76], v[91:92], v[93:94], v[137:138]
	v_fma_f64 v[63:64], v[77:78], v[93:94], v[63:64]
	v_fma_f64 v[61:62], v[79:80], v[93:94], v[61:62]
	v_fma_f64 v[67:68], v[81:82], v[93:94], v[67:68]
	v_fma_f64 v[65:66], v[83:84], v[93:94], v[65:66]
	v_fma_f64 v[71:72], v[85:86], v[93:94], v[71:72]
	v_fma_f64 v[69:70], v[87:88], v[93:94], v[69:70]
	v_fma_f64 v[91:92], -v[91:92], v[95:96], v[73:74]
	v_fma_f64 v[89:90], v[89:90], v[95:96], v[75:76]
	v_fma_f64 v[93:94], -v[79:80], v[95:96], v[63:64]
	v_fma_f64 v[137:138], v[77:78], v[95:96], v[61:62]
	v_fma_f64 v[83:84], -v[83:84], v[95:96], v[67:68]
	v_fma_f64 v[81:82], v[81:82], v[95:96], v[65:66]
	v_fma_f64 v[87:88], -v[87:88], v[95:96], v[71:72]
	v_fma_f64 v[85:86], v[85:86], v[95:96], v[69:70]
	s_clause 0x3
	global_load_b128 v[61:64], v[45:46], off offset:1072
	global_load_b128 v[65:68], v[45:46], off offset:1136
	global_load_b128 v[69:72], v[45:46], off offset:1200
	global_load_b128 v[73:76], v[45:46], off offset:1264
	global_load_b128 v[77:80], v[48:49], off offset:48
	s_waitcnt vmcnt(20)
	v_fma_f64 v[48:49], v[97:98], v[113:114], v[91:92]
	v_fma_f64 v[139:140], v[99:100], v[113:114], v[89:90]
	;; [unrolled: 1-line block ×8, first 2 shown]
	s_clause 0x3
	global_load_b128 v[81:84], v[45:46], off offset:2048
	global_load_b128 v[85:88], v[45:46], off offset:2112
	;; [unrolled: 1-line block ×4, first 2 shown]
	v_fma_f64 v[48:49], -v[99:100], v[115:116], v[48:49]
	v_fma_f64 v[139:140], v[97:98], v[115:116], v[139:140]
	v_fma_f64 v[103:104], -v[103:104], v[115:116], v[141:142]
	v_fma_f64 v[101:102], v[101:102], v[115:116], v[137:138]
	;; [unrolled: 2-line block ×4, first 2 shown]
	v_lshlrev_b64 v[97:98], 4, v[149:150]
	v_lshlrev_b32_e32 v149, 2, v26
	s_delay_alu instid0(VALU_DEP_2) | instskip(NEXT) | instid1(VALU_DEP_3)
	v_add_co_u32 v137, vcc_lo, s4, v97
	v_add_co_ci_u32_e32 v138, vcc_lo, s5, v98, vcc_lo
	s_delay_alu instid0(VALU_DEP_3)
	v_ashrrev_i32_e32 v150, 31, v149
	global_load_b128 v[97:100], v[137:138], off
	s_waitcnt vmcnt(20)
	v_fma_f64 v[48:49], v[117:118], v[133:134], v[48:49]
	v_fma_f64 v[113:114], v[119:120], v[133:134], v[139:140]
	v_fma_f64 v[103:104], v[121:122], v[133:134], v[103:104]
	v_fma_f64 v[101:102], v[123:124], v[133:134], v[101:102]
	v_fma_f64 v[107:108], v[125:126], v[133:134], v[107:108]
	v_fma_f64 v[105:106], v[127:128], v[133:134], v[105:106]
	v_fma_f64 v[111:112], v[129:130], v[133:134], v[111:112]
	v_fma_f64 v[109:110], v[131:132], v[133:134], v[109:110]
	v_fma_f64 v[48:49], -v[119:120], v[135:136], v[48:49]
	v_fma_f64 v[133:134], v[117:118], v[135:136], v[113:114]
	v_fma_f64 v[123:124], -v[123:124], v[135:136], v[103:104]
	v_fma_f64 v[121:122], v[121:122], v[135:136], v[101:102]
	v_fma_f64 v[127:128], -v[127:128], v[135:136], v[107:108]
	v_fma_f64 v[125:126], v[125:126], v[135:136], v[105:106]
	v_fma_f64 v[131:132], -v[131:132], v[135:136], v[111:112]
	v_fma_f64 v[129:130], v[129:130], v[135:136], v[109:110]
	s_clause 0x3
	global_load_b128 v[101:104], v[45:46], off offset:2064
	global_load_b128 v[105:108], v[45:46], off offset:2128
	global_load_b128 v[109:112], v[45:46], off offset:2192
	global_load_b128 v[113:116], v[45:46], off offset:2256
	global_load_b128 v[117:120], v[137:138], off offset:16
	s_waitcnt vmcnt(20)
	v_fma_f64 v[48:49], v[0:1], v[29:30], v[48:49]
	v_fma_f64 v[133:134], v[2:3], v[29:30], v[133:134]
	v_fma_f64 v[123:124], v[4:5], v[29:30], v[123:124]
	v_fma_f64 v[121:122], v[6:7], v[29:30], v[121:122]
	v_fma_f64 v[127:128], v[8:9], v[29:30], v[127:128]
	v_fma_f64 v[125:126], v[10:11], v[29:30], v[125:126]
	v_fma_f64 v[131:132], v[12:13], v[29:30], v[131:132]
	v_fma_f64 v[29:30], v[14:15], v[29:30], v[129:130]
	v_fma_f64 v[48:49], -v[2:3], v[31:32], v[48:49]
	v_fma_f64 v[129:130], v[0:1], v[31:32], v[133:134]
	v_fma_f64 v[123:124], -v[6:7], v[31:32], v[123:124]
	v_fma_f64 v[121:122], v[4:5], v[31:32], v[121:122]
	v_fma_f64 v[127:128], -v[10:11], v[31:32], v[127:128]
	v_fma_f64 v[125:126], v[8:9], v[31:32], v[125:126]
	v_fma_f64 v[131:132], -v[14:15], v[31:32], v[131:132]
	v_fma_f64 v[133:134], v[12:13], v[31:32], v[29:30]
	s_clause 0x3
	global_load_b128 v[0:3], v[45:46], off offset:2144
	global_load_b128 v[4:7], v[45:46], off offset:2208
	global_load_b128 v[8:11], v[45:46], off offset:2272
	global_load_b128 v[12:15], v[45:46], off offset:2080
	global_load_b128 v[29:32], v[137:138], off offset:32
	s_waitcnt vmcnt(20)
	v_fma_f64 v[48:49], v[53:54], v[57:58], v[48:49]
	v_fma_f64 v[129:130], v[55:56], v[57:58], v[129:130]
	v_fma_f64 v[123:124], v[33:34], v[57:58], v[123:124]
	v_fma_f64 v[121:122], v[35:36], v[57:58], v[121:122]
	v_fma_f64 v[127:128], v[37:38], v[57:58], v[127:128]
	v_fma_f64 v[125:126], v[39:40], v[57:58], v[125:126]
	v_fma_f64 v[131:132], v[41:42], v[57:58], v[131:132]
	v_fma_f64 v[57:58], v[43:44], v[57:58], v[133:134]
	v_fma_f64 v[48:49], -v[55:56], v[59:60], v[48:49]
	v_fma_f64 v[129:130], v[53:54], v[59:60], v[129:130]
	v_fma_f64 v[123:124], -v[35:36], v[59:60], v[123:124]
	v_fma_f64 v[121:122], v[33:34], v[59:60], v[121:122]
	v_fma_f64 v[127:128], -v[39:40], v[59:60], v[127:128]
	v_fma_f64 v[125:126], v[37:38], v[59:60], v[125:126]
	v_fma_f64 v[131:132], -v[43:44], v[59:60], v[131:132]
	v_fma_f64 v[133:134], v[41:42], v[59:60], v[57:58]
	s_clause 0x3
	global_load_b128 v[33:36], v[45:46], off offset:2096
	global_load_b128 v[37:40], v[45:46], off offset:2160
	global_load_b128 v[41:44], v[45:46], off offset:2224
	global_load_b128 v[53:56], v[45:46], off offset:2288
	global_load_b128 v[57:60], v[137:138], off offset:48
	s_waitcnt vmcnt(20)
	v_fma_f64 v[48:49], v[61:62], v[77:78], v[48:49]
	v_fma_f64 v[137:138], v[63:64], v[77:78], v[129:130]
	;; [unrolled: 1-line block ×8, first 2 shown]
	s_clause 0x3
	global_load_b128 v[121:124], v[45:46], off offset:3072
	global_load_b128 v[125:128], v[45:46], off offset:3136
	;; [unrolled: 1-line block ×4, first 2 shown]
	v_fma_f64 v[48:49], -v[63:64], v[79:80], v[48:49]
	v_fma_f64 v[137:138], v[61:62], v[79:80], v[137:138]
	v_fma_f64 v[67:68], -v[67:68], v[79:80], v[139:140]
	v_fma_f64 v[65:66], v[65:66], v[79:80], v[141:142]
	;; [unrolled: 2-line block ×4, first 2 shown]
	v_lshlrev_b64 v[61:62], 4, v[149:150]
	s_delay_alu instid0(VALU_DEP_1) | instskip(NEXT) | instid1(VALU_DEP_2)
	v_add_co_u32 v139, vcc_lo, s4, v61
	v_add_co_ci_u32_e32 v140, vcc_lo, s5, v62, vcc_lo
	v_cmp_ge_i32_e32 vcc_lo, v47, v51
	global_load_b128 v[61:64], v[139:140], off
	s_or_b32 s10, vcc_lo, s10
	s_waitcnt vmcnt(20)
	v_fma_f64 v[48:49], v[81:82], v[97:98], v[48:49]
	v_fma_f64 v[77:78], v[83:84], v[97:98], v[137:138]
	v_fma_f64 v[67:68], v[85:86], v[97:98], v[67:68]
	v_fma_f64 v[65:66], v[87:88], v[97:98], v[65:66]
	v_fma_f64 v[71:72], v[89:90], v[97:98], v[71:72]
	v_fma_f64 v[69:70], v[91:92], v[97:98], v[69:70]
	v_fma_f64 v[75:76], v[93:94], v[97:98], v[75:76]
	v_fma_f64 v[73:74], v[95:96], v[97:98], v[73:74]
	v_fma_f64 v[48:49], -v[83:84], v[99:100], v[48:49]
	v_fma_f64 v[97:98], v[81:82], v[99:100], v[77:78]
	v_fma_f64 v[87:88], -v[87:88], v[99:100], v[67:68]
	v_fma_f64 v[85:86], v[85:86], v[99:100], v[65:66]
	v_fma_f64 v[91:92], -v[91:92], v[99:100], v[71:72]
	v_fma_f64 v[89:90], v[89:90], v[99:100], v[69:70]
	v_fma_f64 v[95:96], -v[95:96], v[99:100], v[75:76]
	v_fma_f64 v[93:94], v[93:94], v[99:100], v[73:74]
	s_clause 0x3
	global_load_b128 v[65:68], v[45:46], off offset:3088
	global_load_b128 v[69:72], v[45:46], off offset:3152
	global_load_b128 v[73:76], v[45:46], off offset:3216
	global_load_b128 v[77:80], v[45:46], off offset:3280
	global_load_b128 v[81:84], v[139:140], off offset:16
	s_waitcnt vmcnt(20)
	v_fma_f64 v[48:49], v[101:102], v[117:118], v[48:49]
	v_fma_f64 v[97:98], v[103:104], v[117:118], v[97:98]
	v_fma_f64 v[87:88], v[105:106], v[117:118], v[87:88]
	v_fma_f64 v[85:86], v[107:108], v[117:118], v[85:86]
	v_fma_f64 v[91:92], v[109:110], v[117:118], v[91:92]
	v_fma_f64 v[89:90], v[111:112], v[117:118], v[89:90]
	v_fma_f64 v[95:96], v[113:114], v[117:118], v[95:96]
	v_fma_f64 v[93:94], v[115:116], v[117:118], v[93:94]
	v_fma_f64 v[48:49], -v[103:104], v[119:120], v[48:49]
	v_fma_f64 v[117:118], v[101:102], v[119:120], v[97:98]
	v_fma_f64 v[107:108], -v[107:108], v[119:120], v[87:88]
	v_fma_f64 v[105:106], v[105:106], v[119:120], v[85:86]
	v_fma_f64 v[111:112], -v[111:112], v[119:120], v[91:92]
	v_fma_f64 v[109:110], v[109:110], v[119:120], v[89:90]
	v_fma_f64 v[115:116], -v[115:116], v[119:120], v[95:96]
	v_fma_f64 v[113:114], v[113:114], v[119:120], v[93:94]
	s_clause 0x3
	global_load_b128 v[85:88], v[45:46], off offset:3168
	global_load_b128 v[89:92], v[45:46], off offset:3232
	global_load_b128 v[93:96], v[45:46], off offset:3296
	global_load_b128 v[97:100], v[45:46], off offset:3104
	global_load_b128 v[101:104], v[139:140], off offset:32
	;; [unrolled: 23-line block ×3, first 2 shown]
	v_add_co_u32 v45, s1, 0x1000, v45
	s_delay_alu instid0(VALU_DEP_1)
	v_add_co_ci_u32_e64 v46, s1, 0, v46, s1
	s_waitcnt vmcnt(20)
	v_fma_f64 v[31:32], v[33:34], v[57:58], v[48:49]
	v_fma_f64 v[48:49], v[35:36], v[57:58], v[113:114]
	v_fma_f64 v[113:114], v[37:38], v[57:58], v[117:118]
	v_fma_f64 v[117:118], v[39:40], v[57:58], v[119:120]
	v_fma_f64 v[111:112], v[41:42], v[57:58], v[111:112]
	v_fma_f64 v[109:110], v[43:44], v[57:58], v[109:110]
	v_fma_f64 v[115:116], v[53:54], v[57:58], v[115:116]
	v_fma_f64 v[29:30], v[55:56], v[57:58], v[29:30]
	v_fma_f64 v[31:32], -v[35:36], v[59:60], v[31:32]
	v_fma_f64 v[33:34], v[33:34], v[59:60], v[48:49]
	v_fma_f64 v[35:36], -v[39:40], v[59:60], v[113:114]
	v_fma_f64 v[37:38], v[37:38], v[59:60], v[117:118]
	v_fma_f64 v[39:40], -v[43:44], v[59:60], v[111:112]
	v_fma_f64 v[41:42], v[41:42], v[59:60], v[109:110]
	v_fma_f64 v[43:44], -v[55:56], v[59:60], v[115:116]
	v_fma_f64 v[29:30], v[53:54], v[59:60], v[29:30]
	s_waitcnt vmcnt(15)
	v_fma_f64 v[31:32], v[121:122], v[61:62], v[31:32]
	v_fma_f64 v[33:34], v[123:124], v[61:62], v[33:34]
	v_fma_f64 v[35:36], v[125:126], v[61:62], v[35:36]
	v_fma_f64 v[37:38], v[127:128], v[61:62], v[37:38]
	v_fma_f64 v[39:40], v[129:130], v[61:62], v[39:40]
	v_fma_f64 v[41:42], v[131:132], v[61:62], v[41:42]
	v_fma_f64 v[43:44], v[133:134], v[61:62], v[43:44]
	v_fma_f64 v[29:30], v[135:136], v[61:62], v[29:30]
	v_fma_f64 v[31:32], -v[123:124], v[63:64], v[31:32]
	v_fma_f64 v[33:34], v[121:122], v[63:64], v[33:34]
	v_fma_f64 v[35:36], -v[127:128], v[63:64], v[35:36]
	v_fma_f64 v[37:38], v[125:126], v[63:64], v[37:38]
	v_fma_f64 v[39:40], -v[131:132], v[63:64], v[39:40]
	v_fma_f64 v[41:42], v[129:130], v[63:64], v[41:42]
	v_fma_f64 v[43:44], -v[135:136], v[63:64], v[43:44]
	v_fma_f64 v[29:30], v[133:134], v[63:64], v[29:30]
	;; [unrolled: 17-line block ×5, first 2 shown]
	s_and_not1_b32 exec_lo, exec_lo, s10
	s_cbranch_execnz .LBB15_23
; %bb.24:
	s_or_b32 exec_lo, exec_lo, s10
.LBB15_25:
	s_delay_alu instid0(SALU_CYCLE_1)
	s_or_b32 exec_lo, exec_lo, s7
.LBB15_26:
	s_delay_alu instid0(SALU_CYCLE_1)
	s_or_b32 exec_lo, exec_lo, s6
	s_cbranch_execz .LBB15_28
	s_branch .LBB15_39
.LBB15_27:
                                        ; implicit-def: $vgpr33_vgpr34
                                        ; implicit-def: $vgpr37_vgpr38
                                        ; implicit-def: $vgpr31_vgpr32
                                        ; implicit-def: $vgpr29_vgpr30
                                        ; implicit-def: $vgpr39_vgpr40
                                        ; implicit-def: $vgpr41_vgpr42
                                        ; implicit-def: $vgpr43_vgpr44
                                        ; implicit-def: $vgpr35_vgpr36
.LBB15_28:
	v_mov_b32_e32 v33, 0
	v_mov_b32_e32 v34, 0
	s_delay_alu instid0(VALU_DEP_2) | instskip(NEXT) | instid1(VALU_DEP_2)
	v_mov_b32_e32 v31, v33
	v_dual_mov_b32 v29, v33 :: v_dual_mov_b32 v30, v34
	v_dual_mov_b32 v38, v34 :: v_dual_mov_b32 v37, v33
	v_mov_b32_e32 v32, v34
	v_dual_mov_b32 v40, v34 :: v_dual_mov_b32 v39, v33
	v_dual_mov_b32 v42, v34 :: v_dual_mov_b32 v41, v33
	;; [unrolled: 1-line block ×4, first 2 shown]
	s_and_saveexec_b32 s1, s0
	s_cbranch_execz .LBB15_38
; %bb.29:
	v_dual_mov_b32 v35, 0 :: v_dual_add_nc_u32 v0, v52, v50
	v_mov_b32_e32 v36, 0
	v_not_b32_e32 v1, v52
	s_mov_b32 s7, 0
	s_delay_alu instid0(VALU_DEP_3) | instskip(SKIP_2) | instid1(VALU_DEP_2)
	v_subrev_nc_u32_e32 v0, s12, v0
	s_mov_b32 s6, exec_lo
	v_dual_mov_b32 v44, v36 :: v_dual_mov_b32 v43, v35
	v_add_nc_u32_e32 v0, 4, v0
	s_delay_alu instid0(VALU_DEP_1) | instskip(NEXT) | instid1(VALU_DEP_1)
	v_max_i32_e32 v0, v0, v51
	v_add3_u32 v0, v0, s12, v1
	s_delay_alu instid0(VALU_DEP_1) | instskip(NEXT) | instid1(VALU_DEP_1)
	v_sub_nc_u32_e32 v0, v0, v50
	v_lshrrev_b32_e32 v1, 2, v0
	s_delay_alu instid0(VALU_DEP_1) | instskip(SKIP_2) | instid1(VALU_DEP_3)
	v_dual_mov_b32 v42, v36 :: v_dual_add_nc_u32 v1, 1, v1
	v_dual_mov_b32 v41, v35 :: v_dual_mov_b32 v40, v36
	v_mov_b32_e32 v39, v35
	v_and_b32_e32 v1, 3, v1
	v_dual_mov_b32 v29, v35 :: v_dual_mov_b32 v30, v36
	v_dual_mov_b32 v31, v35 :: v_dual_mov_b32 v32, v36
	;; [unrolled: 1-line block ×4, first 2 shown]
	v_cmpx_ne_u32_e32 0, v1
	s_cbranch_execz .LBB15_33
; %bb.30:
	v_mov_b32_e32 v33, 0
	v_dual_mov_b32 v34, 0 :: v_dual_lshlrev_b32 v1, 8, v1
	s_delay_alu instid0(VALU_DEP_2) | instskip(NEXT) | instid1(VALU_DEP_2)
	v_mov_b32_e32 v31, v33
	v_dual_mov_b32 v29, v33 :: v_dual_mov_b32 v30, v34
	v_dual_mov_b32 v38, v34 :: v_dual_mov_b32 v37, v33
	v_mov_b32_e32 v32, v34
	v_dual_mov_b32 v40, v34 :: v_dual_mov_b32 v39, v33
	v_dual_mov_b32 v42, v34 :: v_dual_mov_b32 v41, v33
	;; [unrolled: 1-line block ×4, first 2 shown]
.LBB15_31:                              ; =>This Inner Loop Header: Depth=1
	v_ashrrev_i32_e32 v26, 31, v25
	v_add_nc_u32_e32 v1, 0xffffff00, v1
	s_delay_alu instid0(VALU_DEP_2) | instskip(NEXT) | instid1(VALU_DEP_2)
	v_lshlrev_b64 v[2:3], 2, v[25:26]
	v_cmp_eq_u32_e64 s0, 0, v1
	v_add_nc_u32_e32 v25, 4, v25
	s_delay_alu instid0(VALU_DEP_2) | instskip(NEXT) | instid1(VALU_DEP_3)
	s_or_b32 s7, s0, s7
	v_add_co_u32 v2, vcc_lo, s8, v2
	s_delay_alu instid0(VALU_DEP_4)
	v_add_co_ci_u32_e32 v3, vcc_lo, s9, v3, vcc_lo
	global_load_b32 v14, v[2:3], off
	s_clause 0x3
	global_load_b128 v[2:5], v[27:28], off offset:48
	global_load_b128 v[6:9], v[27:28], off offset:32
	global_load_b128 v[10:13], v[27:28], off offset:16
	global_load_b128 v[45:48], v[27:28], off
	s_waitcnt vmcnt(4)
	v_subrev_nc_u32_e32 v14, s12, v14
	s_delay_alu instid0(VALU_DEP_1) | instskip(NEXT) | instid1(VALU_DEP_1)
	v_lshlrev_b32_e32 v14, 2, v14
	v_ashrrev_i32_e32 v15, 31, v14
	s_delay_alu instid0(VALU_DEP_1) | instskip(SKIP_1) | instid1(VALU_DEP_1)
	v_lshlrev_b64 v[14:15], 4, v[14:15]
	s_waitcnt lgkmcnt(0)
	v_add_co_u32 v14, vcc_lo, s4, v14
	s_delay_alu instid0(VALU_DEP_2)
	v_add_co_ci_u32_e32 v15, vcc_lo, s5, v15, vcc_lo
	s_clause 0x1
	global_load_b128 v[52:55], v[14:15], off
	global_load_b128 v[56:59], v[14:15], off offset:16
	s_clause 0x7
	global_load_b128 v[60:63], v[27:28], off offset:64
	global_load_b128 v[64:67], v[27:28], off offset:80
	;; [unrolled: 1-line block ×8, first 2 shown]
	s_clause 0x1
	global_load_b128 v[92:95], v[14:15], off offset:32
	global_load_b128 v[96:99], v[14:15], off offset:48
	s_clause 0x3
	global_load_b128 v[100:103], v[27:28], off offset:192
	global_load_b128 v[104:107], v[27:28], off offset:208
	;; [unrolled: 1-line block ×4, first 2 shown]
	v_add_co_u32 v27, vcc_lo, 0x400, v27
	v_add_co_ci_u32_e32 v28, vcc_lo, 0, v28, vcc_lo
	s_waitcnt vmcnt(15)
	v_fma_f64 v[14:15], v[45:46], v[52:53], v[37:38]
	v_fma_f64 v[33:34], v[47:48], v[52:53], v[33:34]
	;; [unrolled: 1-line block ×8, first 2 shown]
	v_fma_f64 v[14:15], -v[47:48], v[54:55], v[14:15]
	v_fma_f64 v[33:34], v[45:46], v[54:55], v[33:34]
	v_fma_f64 v[12:13], -v[12:13], v[54:55], v[37:38]
	v_fma_f64 v[10:11], v[10:11], v[54:55], v[35:36]
	;; [unrolled: 2-line block ×4, first 2 shown]
	s_waitcnt vmcnt(13)
	v_fma_f64 v[14:15], v[60:61], v[56:57], v[14:15]
	v_fma_f64 v[29:30], v[62:63], v[56:57], v[33:34]
	s_waitcnt vmcnt(12)
	v_fma_f64 v[12:13], v[64:65], v[56:57], v[12:13]
	v_fma_f64 v[10:11], v[66:67], v[56:57], v[10:11]
	;; [unrolled: 3-line block ×4, first 2 shown]
	v_fma_f64 v[14:15], -v[62:63], v[58:59], v[14:15]
	v_fma_f64 v[29:30], v[60:61], v[58:59], v[29:30]
	v_fma_f64 v[12:13], -v[66:67], v[58:59], v[12:13]
	v_fma_f64 v[10:11], v[64:65], v[58:59], v[10:11]
	;; [unrolled: 2-line block ×4, first 2 shown]
	s_waitcnt vmcnt(5)
	v_fma_f64 v[14:15], v[88:89], v[92:93], v[14:15]
	v_fma_f64 v[29:30], v[90:91], v[92:93], v[29:30]
	;; [unrolled: 1-line block ×8, first 2 shown]
	v_fma_f64 v[14:15], -v[90:91], v[94:95], v[14:15]
	v_fma_f64 v[29:30], v[88:89], v[94:95], v[29:30]
	v_fma_f64 v[12:13], -v[86:87], v[94:95], v[12:13]
	v_fma_f64 v[10:11], v[84:85], v[94:95], v[10:11]
	;; [unrolled: 2-line block ×4, first 2 shown]
	s_waitcnt vmcnt(3)
	v_fma_f64 v[14:15], v[100:101], v[96:97], v[14:15]
	v_fma_f64 v[29:30], v[102:103], v[96:97], v[29:30]
	s_waitcnt vmcnt(2)
	v_fma_f64 v[12:13], v[104:105], v[96:97], v[12:13]
	v_fma_f64 v[10:11], v[106:107], v[96:97], v[10:11]
	;; [unrolled: 3-line block ×4, first 2 shown]
	v_fma_f64 v[37:38], -v[102:103], v[98:99], v[14:15]
	v_fma_f64 v[33:34], v[100:101], v[98:99], v[29:30]
	v_fma_f64 v[43:44], -v[106:107], v[98:99], v[12:13]
	v_fma_f64 v[35:36], v[104:105], v[98:99], v[10:11]
	;; [unrolled: 2-line block ×4, first 2 shown]
	s_and_not1_b32 exec_lo, exec_lo, s7
	s_cbranch_execnz .LBB15_31
; %bb.32:
	s_or_b32 exec_lo, exec_lo, s7
.LBB15_33:
	s_delay_alu instid0(SALU_CYCLE_1) | instskip(NEXT) | instid1(SALU_CYCLE_1)
	s_or_b32 exec_lo, exec_lo, s6
	s_mov_b32 s6, exec_lo
	v_cmpx_lt_u32_e32 11, v0
	s_cbranch_execz .LBB15_37
; %bb.34:
	s_mov_b32 s7, 0
.LBB15_35:                              ; =>This Inner Loop Header: Depth=1
	v_ashrrev_i32_e32 v26, 31, v25
	s_delay_alu instid0(VALU_DEP_1) | instskip(SKIP_1) | instid1(VALU_DEP_2)
	v_lshlrev_b64 v[0:1], 2, v[25:26]
	v_add_nc_u32_e32 v25, 16, v25
	v_add_co_u32 v46, vcc_lo, s8, v0
	s_delay_alu instid0(VALU_DEP_3)
	v_add_co_ci_u32_e32 v47, vcc_lo, s9, v1, vcc_lo
	global_load_b32 v48, v[46:47], off
	s_clause 0x3
	global_load_b128 v[0:3], v[27:28], off offset:48
	global_load_b128 v[4:7], v[27:28], off offset:32
	;; [unrolled: 1-line block ×3, first 2 shown]
	global_load_b128 v[12:15], v[27:28], off
	s_clause 0x2
	global_load_b32 v45, v[46:47], off offset:16
	global_load_b32 v26, v[46:47], off offset:32
	;; [unrolled: 1-line block ×3, first 2 shown]
	s_waitcnt vmcnt(7)
	v_subrev_nc_u32_e32 v46, s12, v48
	s_delay_alu instid0(VALU_DEP_1)
	v_lshlrev_b32_e32 v46, 2, v46
	s_waitcnt vmcnt(2)
	v_subrev_nc_u32_e32 v45, s12, v45
	s_waitcnt vmcnt(1)
	v_subrev_nc_u32_e32 v26, s12, v26
	v_ashrrev_i32_e32 v47, 31, v46
	s_delay_alu instid0(VALU_DEP_3) | instskip(NEXT) | instid1(VALU_DEP_3)
	v_lshlrev_b32_e32 v128, 2, v45
	v_lshlrev_b32_e32 v146, 2, v26
	s_waitcnt vmcnt(0)
	v_subrev_nc_u32_e32 v26, s12, v148
	v_lshlrev_b64 v[46:47], 4, v[46:47]
	v_ashrrev_i32_e32 v129, 31, v128
	v_ashrrev_i32_e32 v147, 31, v146
	s_delay_alu instid0(VALU_DEP_2) | instskip(SKIP_1) | instid1(VALU_DEP_4)
	v_lshlrev_b64 v[128:129], 4, v[128:129]
	s_waitcnt lgkmcnt(0)
	v_add_co_u32 v108, vcc_lo, s4, v46
	v_add_co_ci_u32_e32 v109, vcc_lo, s5, v47, vcc_lo
	global_load_b128 v[46:49], v[108:109], off
	s_clause 0x3
	global_load_b128 v[52:55], v[27:28], off offset:112
	global_load_b128 v[56:59], v[27:28], off offset:96
	global_load_b128 v[60:63], v[27:28], off offset:80
	global_load_b128 v[64:67], v[27:28], off offset:64
	global_load_b128 v[68:71], v[108:109], off offset:16
	s_clause 0x3
	global_load_b128 v[72:75], v[27:28], off offset:176
	global_load_b128 v[76:79], v[27:28], off offset:160
	global_load_b128 v[80:83], v[27:28], off offset:144
	global_load_b128 v[84:87], v[27:28], off offset:128
	global_load_b128 v[88:91], v[108:109], off offset:32
	;; [unrolled: 6-line block ×3, first 2 shown]
	s_clause 0x3
	global_load_b128 v[112:115], v[27:28], off offset:1072
	global_load_b128 v[116:119], v[27:28], off offset:1056
	;; [unrolled: 1-line block ×4, first 2 shown]
	v_add_co_u32 v132, vcc_lo, s4, v128
	v_add_co_ci_u32_e32 v133, vcc_lo, s5, v129, vcc_lo
	global_load_b128 v[128:131], v[132:133], off
	s_waitcnt vmcnt(20)
	v_fma_f64 v[37:38], v[12:13], v[46:47], v[37:38]
	v_fma_f64 v[33:34], v[14:15], v[46:47], v[33:34]
	v_fma_f64 v[43:44], v[8:9], v[46:47], v[43:44]
	v_fma_f64 v[35:36], v[10:11], v[46:47], v[35:36]
	v_fma_f64 v[39:40], v[4:5], v[46:47], v[39:40]
	v_fma_f64 v[41:42], v[6:7], v[46:47], v[41:42]
	v_fma_f64 v[31:32], v[0:1], v[46:47], v[31:32]
	v_fma_f64 v[29:30], v[2:3], v[46:47], v[29:30]
	v_fma_f64 v[37:38], -v[14:15], v[48:49], v[37:38]
	v_fma_f64 v[33:34], v[12:13], v[48:49], v[33:34]
	v_fma_f64 v[43:44], -v[10:11], v[48:49], v[43:44]
	v_fma_f64 v[35:36], v[8:9], v[48:49], v[35:36]
	v_fma_f64 v[39:40], -v[6:7], v[48:49], v[39:40]
	v_fma_f64 v[41:42], v[4:5], v[48:49], v[41:42]
	v_fma_f64 v[45:46], -v[2:3], v[48:49], v[31:32]
	v_fma_f64 v[47:48], v[0:1], v[48:49], v[29:30]
	s_clause 0x3
	global_load_b128 v[0:3], v[27:28], off offset:1136
	global_load_b128 v[4:7], v[27:28], off offset:1120
	global_load_b128 v[8:11], v[27:28], off offset:1104
	global_load_b128 v[12:15], v[27:28], off offset:1088
	global_load_b128 v[29:32], v[132:133], off offset:16
	s_waitcnt vmcnt(20)
	v_fma_f64 v[37:38], v[64:65], v[68:69], v[37:38]
	v_fma_f64 v[33:34], v[66:67], v[68:69], v[33:34]
	v_fma_f64 v[43:44], v[60:61], v[68:69], v[43:44]
	v_fma_f64 v[35:36], v[62:63], v[68:69], v[35:36]
	v_fma_f64 v[39:40], v[56:57], v[68:69], v[39:40]
	v_fma_f64 v[41:42], v[58:59], v[68:69], v[41:42]
	v_fma_f64 v[45:46], v[52:53], v[68:69], v[45:46]
	v_fma_f64 v[47:48], v[54:55], v[68:69], v[47:48]
	v_fma_f64 v[66:67], -v[66:67], v[70:71], v[37:38]
	v_fma_f64 v[64:65], v[64:65], v[70:71], v[33:34]
	v_fma_f64 v[62:63], -v[62:63], v[70:71], v[43:44]
	v_fma_f64 v[60:61], v[60:61], v[70:71], v[35:36]
	v_fma_f64 v[58:59], -v[58:59], v[70:71], v[39:40]
	v_fma_f64 v[56:57], v[56:57], v[70:71], v[41:42]
	v_fma_f64 v[68:69], -v[54:55], v[70:71], v[45:46]
	v_fma_f64 v[70:71], v[52:53], v[70:71], v[47:48]
	s_clause 0x3
	global_load_b128 v[33:36], v[27:28], off offset:1200
	global_load_b128 v[37:40], v[27:28], off offset:1184
	global_load_b128 v[41:44], v[27:28], off offset:1168
	global_load_b128 v[45:48], v[27:28], off offset:1152
	global_load_b128 v[52:55], v[132:133], off offset:32
	;; [unrolled: 23-line block ×3, first 2 shown]
	s_waitcnt vmcnt(20)
	v_fma_f64 v[132:133], v[104:105], v[108:109], v[86:87]
	v_fma_f64 v[134:135], v[106:107], v[108:109], v[84:85]
	;; [unrolled: 1-line block ×8, first 2 shown]
	s_clause 0x3
	global_load_b128 v[76:79], v[27:28], off offset:2096
	global_load_b128 v[80:83], v[27:28], off offset:2080
	;; [unrolled: 1-line block ×4, first 2 shown]
	v_fma_f64 v[106:107], -v[106:107], v[110:111], v[132:133]
	v_fma_f64 v[104:105], v[104:105], v[110:111], v[134:135]
	v_fma_f64 v[102:103], -v[102:103], v[110:111], v[136:137]
	v_fma_f64 v[100:101], v[100:101], v[110:111], v[138:139]
	;; [unrolled: 2-line block ×4, first 2 shown]
	v_lshlrev_b64 v[92:93], 4, v[146:147]
	v_lshlrev_b32_e32 v146, 2, v26
	s_delay_alu instid0(VALU_DEP_2) | instskip(NEXT) | instid1(VALU_DEP_3)
	v_add_co_u32 v134, vcc_lo, s4, v92
	v_add_co_ci_u32_e32 v135, vcc_lo, s5, v93, vcc_lo
	s_delay_alu instid0(VALU_DEP_3)
	v_ashrrev_i32_e32 v147, 31, v146
	global_load_b128 v[92:95], v[134:135], off
	s_waitcnt vmcnt(20)
	v_fma_f64 v[106:107], v[124:125], v[128:129], v[106:107]
	v_fma_f64 v[104:105], v[126:127], v[128:129], v[104:105]
	v_fma_f64 v[102:103], v[120:121], v[128:129], v[102:103]
	v_fma_f64 v[100:101], v[122:123], v[128:129], v[100:101]
	v_fma_f64 v[98:99], v[116:117], v[128:129], v[98:99]
	v_fma_f64 v[96:97], v[118:119], v[128:129], v[96:97]
	v_fma_f64 v[110:111], v[112:113], v[128:129], v[132:133]
	v_fma_f64 v[108:109], v[114:115], v[128:129], v[108:109]
	v_fma_f64 v[126:127], -v[126:127], v[130:131], v[106:107]
	v_fma_f64 v[124:125], v[124:125], v[130:131], v[104:105]
	v_fma_f64 v[122:123], -v[122:123], v[130:131], v[102:103]
	v_fma_f64 v[120:121], v[120:121], v[130:131], v[100:101]
	v_fma_f64 v[118:119], -v[118:119], v[130:131], v[98:99]
	v_fma_f64 v[116:117], v[116:117], v[130:131], v[96:97]
	v_fma_f64 v[128:129], -v[114:115], v[130:131], v[110:111]
	v_fma_f64 v[130:131], v[112:113], v[130:131], v[108:109]
	s_clause 0x3
	global_load_b128 v[96:99], v[27:28], off offset:2160
	global_load_b128 v[100:103], v[27:28], off offset:2144
	global_load_b128 v[104:107], v[27:28], off offset:2128
	global_load_b128 v[108:111], v[27:28], off offset:2112
	global_load_b128 v[112:115], v[134:135], off offset:16
	s_waitcnt vmcnt(20)
	v_fma_f64 v[126:127], v[12:13], v[29:30], v[126:127]
	v_fma_f64 v[124:125], v[14:15], v[29:30], v[124:125]
	v_fma_f64 v[122:123], v[8:9], v[29:30], v[122:123]
	v_fma_f64 v[120:121], v[10:11], v[29:30], v[120:121]
	v_fma_f64 v[118:119], v[4:5], v[29:30], v[118:119]
	v_fma_f64 v[116:117], v[6:7], v[29:30], v[116:117]
	v_fma_f64 v[128:129], v[0:1], v[29:30], v[128:129]
	v_fma_f64 v[29:30], v[2:3], v[29:30], v[130:131]
	v_fma_f64 v[126:127], -v[14:15], v[31:32], v[126:127]
	v_fma_f64 v[124:125], v[12:13], v[31:32], v[124:125]
	v_fma_f64 v[122:123], -v[10:11], v[31:32], v[122:123]
	v_fma_f64 v[120:121], v[8:9], v[31:32], v[120:121]
	v_fma_f64 v[118:119], -v[6:7], v[31:32], v[118:119]
	v_fma_f64 v[116:117], v[4:5], v[31:32], v[116:117]
	v_fma_f64 v[128:129], -v[2:3], v[31:32], v[128:129]
	v_fma_f64 v[130:131], v[0:1], v[31:32], v[29:30]
	s_clause 0x3
	global_load_b128 v[0:3], v[27:28], off offset:2224
	global_load_b128 v[4:7], v[27:28], off offset:2208
	global_load_b128 v[8:11], v[27:28], off offset:2192
	global_load_b128 v[12:15], v[27:28], off offset:2176
	global_load_b128 v[29:32], v[134:135], off offset:32
	;; [unrolled: 23-line block ×3, first 2 shown]
	s_waitcnt vmcnt(20)
	v_fma_f64 v[132:133], v[68:69], v[72:73], v[126:127]
	v_fma_f64 v[134:135], v[70:71], v[72:73], v[124:125]
	;; [unrolled: 1-line block ×8, first 2 shown]
	s_clause 0x3
	global_load_b128 v[116:119], v[27:28], off offset:3120
	global_load_b128 v[120:123], v[27:28], off offset:3104
	;; [unrolled: 1-line block ×4, first 2 shown]
	v_fma_f64 v[70:71], -v[70:71], v[74:75], v[132:133]
	v_fma_f64 v[68:69], v[68:69], v[74:75], v[134:135]
	v_fma_f64 v[66:67], -v[66:67], v[74:75], v[136:137]
	v_fma_f64 v[64:65], v[64:65], v[74:75], v[138:139]
	;; [unrolled: 2-line block ×4, first 2 shown]
	v_lshlrev_b64 v[56:57], 4, v[146:147]
	s_delay_alu instid0(VALU_DEP_1) | instskip(NEXT) | instid1(VALU_DEP_2)
	v_add_co_u32 v138, vcc_lo, s4, v56
	v_add_co_ci_u32_e32 v139, vcc_lo, s5, v57, vcc_lo
	s_clause 0x1
	global_load_b128 v[56:59], v[138:139], off
	global_load_b128 v[60:63], v[138:139], off offset:16
	v_cmp_ge_i32_e32 vcc_lo, v25, v51
	s_or_b32 s7, vcc_lo, s7
	s_waitcnt vmcnt(21)
	v_fma_f64 v[70:71], v[88:89], v[92:93], v[70:71]
	v_fma_f64 v[68:69], v[90:91], v[92:93], v[68:69]
	;; [unrolled: 1-line block ×8, first 2 shown]
	v_fma_f64 v[90:91], -v[90:91], v[94:95], v[70:71]
	v_fma_f64 v[88:89], v[88:89], v[94:95], v[68:69]
	v_fma_f64 v[86:87], -v[86:87], v[94:95], v[66:67]
	v_fma_f64 v[84:85], v[84:85], v[94:95], v[64:65]
	;; [unrolled: 2-line block ×4, first 2 shown]
	s_clause 0x3
	global_load_b128 v[64:67], v[27:28], off offset:3136
	global_load_b128 v[68:71], v[27:28], off offset:3152
	global_load_b128 v[72:75], v[27:28], off offset:3168
	global_load_b128 v[76:79], v[27:28], off offset:3184
	s_waitcnt vmcnt(20)
	v_fma_f64 v[90:91], v[108:109], v[112:113], v[90:91]
	v_fma_f64 v[88:89], v[110:111], v[112:113], v[88:89]
	;; [unrolled: 1-line block ×8, first 2 shown]
	v_fma_f64 v[110:111], -v[110:111], v[114:115], v[90:91]
	v_fma_f64 v[108:109], v[108:109], v[114:115], v[88:89]
	v_fma_f64 v[106:107], -v[106:107], v[114:115], v[86:87]
	v_fma_f64 v[104:105], v[104:105], v[114:115], v[84:85]
	;; [unrolled: 2-line block ×4, first 2 shown]
	s_clause 0x3
	global_load_b128 v[80:83], v[27:28], off offset:3248
	global_load_b128 v[84:87], v[27:28], off offset:3232
	;; [unrolled: 1-line block ×4, first 2 shown]
	s_clause 0x1
	global_load_b128 v[96:99], v[138:139], off offset:32
	global_load_b128 v[100:103], v[138:139], off offset:48
	s_waitcnt vmcnt(21)
	v_fma_f64 v[110:111], v[12:13], v[29:30], v[110:111]
	v_fma_f64 v[108:109], v[14:15], v[29:30], v[108:109]
	;; [unrolled: 1-line block ×8, first 2 shown]
	v_fma_f64 v[110:111], -v[14:15], v[31:32], v[110:111]
	v_fma_f64 v[108:109], v[12:13], v[31:32], v[108:109]
	v_fma_f64 v[106:107], -v[10:11], v[31:32], v[106:107]
	v_fma_f64 v[104:105], v[8:9], v[31:32], v[104:105]
	;; [unrolled: 2-line block ×4, first 2 shown]
	s_clause 0x3
	global_load_b128 v[0:3], v[27:28], off offset:3264
	global_load_b128 v[4:7], v[27:28], off offset:3280
	;; [unrolled: 1-line block ×4, first 2 shown]
	v_add_co_u32 v27, s0, 0x1000, v27
	s_delay_alu instid0(VALU_DEP_1)
	v_add_co_ci_u32_e64 v28, s0, 0, v28, s0
	s_waitcnt vmcnt(20)
	v_fma_f64 v[31:32], v[45:46], v[52:53], v[110:111]
	v_fma_f64 v[108:109], v[47:48], v[52:53], v[108:109]
	;; [unrolled: 1-line block ×8, first 2 shown]
	v_fma_f64 v[31:32], -v[47:48], v[54:55], v[31:32]
	v_fma_f64 v[45:46], v[45:46], v[54:55], v[108:109]
	v_fma_f64 v[43:44], -v[43:44], v[54:55], v[106:107]
	v_fma_f64 v[41:42], v[41:42], v[54:55], v[104:105]
	;; [unrolled: 2-line block ×4, first 2 shown]
	s_waitcnt vmcnt(15)
	v_fma_f64 v[31:32], v[128:129], v[56:57], v[31:32]
	v_fma_f64 v[33:34], v[130:131], v[56:57], v[45:46]
	;; [unrolled: 1-line block ×8, first 2 shown]
	v_fma_f64 v[31:32], -v[130:131], v[58:59], v[31:32]
	v_fma_f64 v[33:34], v[128:129], v[58:59], v[33:34]
	v_fma_f64 v[43:44], -v[126:127], v[58:59], v[43:44]
	v_fma_f64 v[41:42], v[124:125], v[58:59], v[41:42]
	;; [unrolled: 2-line block ×4, first 2 shown]
	s_waitcnt vmcnt(13)
	v_fma_f64 v[31:32], v[64:65], v[60:61], v[31:32]
	v_fma_f64 v[33:34], v[66:67], v[60:61], v[33:34]
	s_waitcnt vmcnt(12)
	v_fma_f64 v[43:44], v[68:69], v[60:61], v[43:44]
	v_fma_f64 v[41:42], v[70:71], v[60:61], v[41:42]
	;; [unrolled: 3-line block ×4, first 2 shown]
	v_fma_f64 v[31:32], -v[66:67], v[62:63], v[31:32]
	v_fma_f64 v[33:34], v[64:65], v[62:63], v[33:34]
	v_fma_f64 v[43:44], -v[70:71], v[62:63], v[43:44]
	v_fma_f64 v[41:42], v[68:69], v[62:63], v[41:42]
	;; [unrolled: 2-line block ×4, first 2 shown]
	s_waitcnt vmcnt(5)
	v_fma_f64 v[31:32], v[92:93], v[96:97], v[31:32]
	v_fma_f64 v[33:34], v[94:95], v[96:97], v[33:34]
	;; [unrolled: 1-line block ×8, first 2 shown]
	v_fma_f64 v[31:32], -v[94:95], v[98:99], v[31:32]
	v_fma_f64 v[33:34], v[92:93], v[98:99], v[33:34]
	v_fma_f64 v[43:44], -v[90:91], v[98:99], v[43:44]
	v_fma_f64 v[41:42], v[88:89], v[98:99], v[41:42]
	;; [unrolled: 2-line block ×4, first 2 shown]
	s_waitcnt vmcnt(3)
	v_fma_f64 v[31:32], v[0:1], v[100:101], v[31:32]
	v_fma_f64 v[33:34], v[2:3], v[100:101], v[33:34]
	s_waitcnt vmcnt(2)
	v_fma_f64 v[43:44], v[4:5], v[100:101], v[43:44]
	v_fma_f64 v[41:42], v[6:7], v[100:101], v[41:42]
	;; [unrolled: 3-line block ×4, first 2 shown]
	v_fma_f64 v[37:38], -v[2:3], v[102:103], v[31:32]
	v_fma_f64 v[33:34], v[0:1], v[102:103], v[33:34]
	v_fma_f64 v[43:44], -v[6:7], v[102:103], v[43:44]
	v_fma_f64 v[35:36], v[4:5], v[102:103], v[41:42]
	;; [unrolled: 2-line block ×4, first 2 shown]
	s_and_not1_b32 exec_lo, exec_lo, s7
	s_cbranch_execnz .LBB15_35
; %bb.36:
	s_or_b32 exec_lo, exec_lo, s7
.LBB15_37:
	s_delay_alu instid0(SALU_CYCLE_1)
	s_or_b32 exec_lo, exec_lo, s6
.LBB15_38:
	s_delay_alu instid0(SALU_CYCLE_1)
	s_or_b32 exec_lo, exec_lo, s1
.LBB15_39:
	v_mbcnt_lo_u32_b32 v45, -1, 0
	s_delay_alu instid0(VALU_DEP_1) | instskip(NEXT) | instid1(VALU_DEP_1)
	v_xor_b32_e32 v0, 2, v45
	v_cmp_gt_i32_e32 vcc_lo, 32, v0
	v_cndmask_b32_e32 v0, v45, v0, vcc_lo
	s_delay_alu instid0(VALU_DEP_1)
	v_lshlrev_b32_e32 v14, 2, v0
	ds_bpermute_b32 v0, v14, v37
	ds_bpermute_b32 v1, v14, v38
	;; [unrolled: 1-line block ×16, first 2 shown]
	s_waitcnt lgkmcnt(0)
	v_add_f64 v[0:1], v[37:38], v[0:1]
	v_add_f64 v[27:28], v[33:34], v[2:3]
	;; [unrolled: 1-line block ×7, first 2 shown]
	v_xor_b32_e32 v12, 1, v45
	v_add_f64 v[8:9], v[29:30], v[25:26]
	s_delay_alu instid0(VALU_DEP_2) | instskip(SKIP_2) | instid1(VALU_DEP_2)
	v_cmp_gt_i32_e32 vcc_lo, 32, v12
	v_cndmask_b32_e32 v12, v45, v12, vcc_lo
	v_cmp_eq_u32_e32 vcc_lo, 3, v50
	v_lshlrev_b32_e32 v34, 2, v12
	ds_bpermute_b32 v12, v34, v0
	ds_bpermute_b32 v13, v34, v1
	;; [unrolled: 1-line block ×16, first 2 shown]
	s_and_b32 exec_lo, exec_lo, vcc_lo
	s_cbranch_execz .LBB15_12
; %bb.40:
	s_waitcnt lgkmcnt(12)
	v_add_f64 v[27:28], v[27:28], v[39:40]
	s_waitcnt lgkmcnt(8)
	v_add_f64 v[14:15], v[14:15], v[37:38]
	s_waitcnt lgkmcnt(4)
	v_add_f64 v[10:11], v[10:11], v[35:36]
	s_waitcnt lgkmcnt(0)
	v_add_f64 v[8:9], v[8:9], v[33:34]
	v_add_f64 v[0:1], v[0:1], v[12:13]
	v_add_f64 v[2:3], v[2:3], v[25:26]
	;; [unrolled: 1-line block ×4, first 2 shown]
	v_cmp_eq_f64_e32 vcc_lo, 0, v[16:17]
	v_cmp_eq_f64_e64 s0, 0, v[18:19]
	s_load_b64 s[2:3], s[2:3], 0x60
	v_mul_f64 v[4:5], v[27:28], -v[22:23]
	v_mul_f64 v[6:7], v[20:21], v[27:28]
	v_mul_f64 v[27:28], v[14:15], -v[22:23]
	v_mul_f64 v[31:32], v[20:21], v[14:15]
	;; [unrolled: 2-line block ×4, first 2 shown]
	s_and_b32 s0, vcc_lo, s0
	v_fma_f64 v[12:13], v[20:21], v[0:1], v[4:5]
	v_fma_f64 v[14:15], v[22:23], v[0:1], v[6:7]
	;; [unrolled: 1-line block ×8, first 2 shown]
	v_lshlrev_b32_e32 v20, 2, v24
	s_and_saveexec_b32 s1, s0
	s_delay_alu instid0(SALU_CYCLE_1)
	s_xor_b32 s0, exec_lo, s1
	s_cbranch_execz .LBB15_42
; %bb.41:
	s_delay_alu instid0(VALU_DEP_1) | instskip(NEXT) | instid1(VALU_DEP_1)
	v_ashrrev_i32_e32 v21, 31, v20
                                        ; implicit-def: $vgpr18_vgpr19
	v_lshlrev_b64 v[16:17], 4, v[20:21]
                                        ; implicit-def: $vgpr20
	s_waitcnt lgkmcnt(0)
	s_delay_alu instid0(VALU_DEP_1) | instskip(NEXT) | instid1(VALU_DEP_2)
	v_add_co_u32 v16, vcc_lo, s2, v16
	v_add_co_ci_u32_e32 v17, vcc_lo, s3, v17, vcc_lo
	s_clause 0x3
	global_store_b128 v[16:17], v[12:15], off
	global_store_b128 v[16:17], v[8:11], off offset:16
	global_store_b128 v[16:17], v[4:7], off offset:32
	;; [unrolled: 1-line block ×3, first 2 shown]
                                        ; implicit-def: $vgpr16_vgpr17
                                        ; implicit-def: $vgpr12_vgpr13
                                        ; implicit-def: $vgpr8_vgpr9
                                        ; implicit-def: $vgpr4_vgpr5
                                        ; implicit-def: $vgpr0_vgpr1
.LBB15_42:
	s_and_not1_saveexec_b32 s0, s0
	s_cbranch_execz .LBB15_12
; %bb.43:
	v_ashrrev_i32_e32 v21, 31, v20
	s_delay_alu instid0(VALU_DEP_1) | instskip(SKIP_1) | instid1(VALU_DEP_1)
	v_lshlrev_b64 v[20:21], 4, v[20:21]
	s_waitcnt lgkmcnt(0)
	v_add_co_u32 v36, vcc_lo, s2, v20
	s_delay_alu instid0(VALU_DEP_2)
	v_add_co_ci_u32_e32 v37, vcc_lo, s3, v21, vcc_lo
	s_clause 0x3
	global_load_b128 v[20:23], v[36:37], off
	global_load_b128 v[24:27], v[36:37], off offset:16
	global_load_b128 v[28:31], v[36:37], off offset:32
	global_load_b128 v[32:35], v[36:37], off offset:48
	s_waitcnt vmcnt(3)
	v_fma_f64 v[12:13], v[16:17], v[20:21], v[12:13]
	v_fma_f64 v[14:15], v[18:19], v[20:21], v[14:15]
	s_waitcnt vmcnt(2)
	v_fma_f64 v[8:9], v[16:17], v[24:25], v[8:9]
	v_fma_f64 v[10:11], v[18:19], v[24:25], v[10:11]
	;; [unrolled: 3-line block ×4, first 2 shown]
	v_fma_f64 v[0:1], -v[18:19], v[22:23], v[12:13]
	v_fma_f64 v[2:3], v[16:17], v[22:23], v[14:15]
	v_fma_f64 v[4:5], -v[18:19], v[26:27], v[8:9]
	v_fma_f64 v[6:7], v[16:17], v[26:27], v[10:11]
	;; [unrolled: 2-line block ×4, first 2 shown]
	s_clause 0x3
	global_store_b128 v[36:37], v[0:3], off
	global_store_b128 v[36:37], v[4:7], off offset:16
	global_store_b128 v[36:37], v[8:11], off offset:32
	;; [unrolled: 1-line block ×3, first 2 shown]
	s_nop 0
	s_sendmsg sendmsg(MSG_DEALLOC_VGPRS)
	s_endpgm
	.section	.rodata,"a",@progbits
	.p2align	6, 0x0
	.amdhsa_kernel _ZN9rocsparseL18bsrxmvn_4x4_kernelILj128ELj4E21rocsparse_complex_numIdEiiS2_S2_S2_EEvT3_20rocsparse_direction_NS_24const_host_device_scalarIT1_EES3_PKS3_PKT2_SC_S9_PKT4_PKT5_S7_PT6_21rocsparse_index_base_b
		.amdhsa_group_segment_fixed_size 2048
		.amdhsa_private_segment_fixed_size 0
		.amdhsa_kernarg_size 112
		.amdhsa_user_sgpr_count 15
		.amdhsa_user_sgpr_dispatch_ptr 1
		.amdhsa_user_sgpr_queue_ptr 0
		.amdhsa_user_sgpr_kernarg_segment_ptr 1
		.amdhsa_user_sgpr_dispatch_id 0
		.amdhsa_user_sgpr_private_segment_size 0
		.amdhsa_wavefront_size32 1
		.amdhsa_uses_dynamic_stack 0
		.amdhsa_enable_private_segment 0
		.amdhsa_system_sgpr_workgroup_id_x 1
		.amdhsa_system_sgpr_workgroup_id_y 0
		.amdhsa_system_sgpr_workgroup_id_z 0
		.amdhsa_system_sgpr_workgroup_info 0
		.amdhsa_system_vgpr_workitem_id 2
		.amdhsa_next_free_vgpr 152
		.amdhsa_next_free_sgpr 18
		.amdhsa_reserve_vcc 1
		.amdhsa_float_round_mode_32 0
		.amdhsa_float_round_mode_16_64 0
		.amdhsa_float_denorm_mode_32 3
		.amdhsa_float_denorm_mode_16_64 3
		.amdhsa_dx10_clamp 1
		.amdhsa_ieee_mode 1
		.amdhsa_fp16_overflow 0
		.amdhsa_workgroup_processor_mode 1
		.amdhsa_memory_ordered 1
		.amdhsa_forward_progress 0
		.amdhsa_shared_vgpr_count 0
		.amdhsa_exception_fp_ieee_invalid_op 0
		.amdhsa_exception_fp_denorm_src 0
		.amdhsa_exception_fp_ieee_div_zero 0
		.amdhsa_exception_fp_ieee_overflow 0
		.amdhsa_exception_fp_ieee_underflow 0
		.amdhsa_exception_fp_ieee_inexact 0
		.amdhsa_exception_int_div_zero 0
	.end_amdhsa_kernel
	.section	.text._ZN9rocsparseL18bsrxmvn_4x4_kernelILj128ELj4E21rocsparse_complex_numIdEiiS2_S2_S2_EEvT3_20rocsparse_direction_NS_24const_host_device_scalarIT1_EES3_PKS3_PKT2_SC_S9_PKT4_PKT5_S7_PT6_21rocsparse_index_base_b,"axG",@progbits,_ZN9rocsparseL18bsrxmvn_4x4_kernelILj128ELj4E21rocsparse_complex_numIdEiiS2_S2_S2_EEvT3_20rocsparse_direction_NS_24const_host_device_scalarIT1_EES3_PKS3_PKT2_SC_S9_PKT4_PKT5_S7_PT6_21rocsparse_index_base_b,comdat
.Lfunc_end15:
	.size	_ZN9rocsparseL18bsrxmvn_4x4_kernelILj128ELj4E21rocsparse_complex_numIdEiiS2_S2_S2_EEvT3_20rocsparse_direction_NS_24const_host_device_scalarIT1_EES3_PKS3_PKT2_SC_S9_PKT4_PKT5_S7_PT6_21rocsparse_index_base_b, .Lfunc_end15-_ZN9rocsparseL18bsrxmvn_4x4_kernelILj128ELj4E21rocsparse_complex_numIdEiiS2_S2_S2_EEvT3_20rocsparse_direction_NS_24const_host_device_scalarIT1_EES3_PKS3_PKT2_SC_S9_PKT4_PKT5_S7_PT6_21rocsparse_index_base_b
                                        ; -- End function
	.section	.AMDGPU.csdata,"",@progbits
; Kernel info:
; codeLenInByte = 10396
; NumSgprs: 20
; NumVgprs: 152
; ScratchSize: 0
; MemoryBound: 1
; FloatMode: 240
; IeeeMode: 1
; LDSByteSize: 2048 bytes/workgroup (compile time only)
; SGPRBlocks: 2
; VGPRBlocks: 18
; NumSGPRsForWavesPerEU: 20
; NumVGPRsForWavesPerEU: 152
; Occupancy: 9
; WaveLimiterHint : 1
; COMPUTE_PGM_RSRC2:SCRATCH_EN: 0
; COMPUTE_PGM_RSRC2:USER_SGPR: 15
; COMPUTE_PGM_RSRC2:TRAP_HANDLER: 0
; COMPUTE_PGM_RSRC2:TGID_X_EN: 1
; COMPUTE_PGM_RSRC2:TGID_Y_EN: 0
; COMPUTE_PGM_RSRC2:TGID_Z_EN: 0
; COMPUTE_PGM_RSRC2:TIDIG_COMP_CNT: 2
	.section	.text._ZN9rocsparseL18bsrxmvn_4x4_kernelILj128ELj8E21rocsparse_complex_numIdEiiS2_S2_S2_EEvT3_20rocsparse_direction_NS_24const_host_device_scalarIT1_EES3_PKS3_PKT2_SC_S9_PKT4_PKT5_S7_PT6_21rocsparse_index_base_b,"axG",@progbits,_ZN9rocsparseL18bsrxmvn_4x4_kernelILj128ELj8E21rocsparse_complex_numIdEiiS2_S2_S2_EEvT3_20rocsparse_direction_NS_24const_host_device_scalarIT1_EES3_PKS3_PKT2_SC_S9_PKT4_PKT5_S7_PT6_21rocsparse_index_base_b,comdat
	.globl	_ZN9rocsparseL18bsrxmvn_4x4_kernelILj128ELj8E21rocsparse_complex_numIdEiiS2_S2_S2_EEvT3_20rocsparse_direction_NS_24const_host_device_scalarIT1_EES3_PKS3_PKT2_SC_S9_PKT4_PKT5_S7_PT6_21rocsparse_index_base_b ; -- Begin function _ZN9rocsparseL18bsrxmvn_4x4_kernelILj128ELj8E21rocsparse_complex_numIdEiiS2_S2_S2_EEvT3_20rocsparse_direction_NS_24const_host_device_scalarIT1_EES3_PKS3_PKT2_SC_S9_PKT4_PKT5_S7_PT6_21rocsparse_index_base_b
	.p2align	8
	.type	_ZN9rocsparseL18bsrxmvn_4x4_kernelILj128ELj8E21rocsparse_complex_numIdEiiS2_S2_S2_EEvT3_20rocsparse_direction_NS_24const_host_device_scalarIT1_EES3_PKS3_PKT2_SC_S9_PKT4_PKT5_S7_PT6_21rocsparse_index_base_b,@function
_ZN9rocsparseL18bsrxmvn_4x4_kernelILj128ELj8E21rocsparse_complex_numIdEiiS2_S2_S2_EEvT3_20rocsparse_direction_NS_24const_host_device_scalarIT1_EES3_PKS3_PKT2_SC_S9_PKT4_PKT5_S7_PT6_21rocsparse_index_base_b: ; @_ZN9rocsparseL18bsrxmvn_4x4_kernelILj128ELj8E21rocsparse_complex_numIdEiiS2_S2_S2_EEvT3_20rocsparse_direction_NS_24const_host_device_scalarIT1_EES3_PKS3_PKT2_SC_S9_PKT4_PKT5_S7_PT6_21rocsparse_index_base_b
; %bb.0:
	s_load_b64 s[12:13], s[2:3], 0x68
	s_load_b64 s[16:17], s[0:1], 0x4
	s_load_b128 s[8:11], s[2:3], 0x8
	v_bfe_u32 v2, v0, 10, 10
	s_mov_b64 s[0:1], src_shared_base
	s_load_b128 s[4:7], s[2:3], 0x50
	v_and_b32_e32 v1, 0x3ff, v0
	v_bfe_u32 v0, v0, 20, 10
	s_waitcnt lgkmcnt(0)
	s_bitcmp1_b32 s13, 0
	v_mul_u32_u24_e32 v2, s17, v2
	s_cselect_b32 s0, -1, 0
	v_mov_b32_e32 v23, s11
	s_and_b32 vcc_lo, s0, exec_lo
	s_cselect_b32 s13, s1, s9
	s_lshr_b32 s14, s16, 16
	v_dual_mov_b32 v4, s4 :: v_dual_mov_b32 v5, s5
	s_mul_i32 s14, s14, s17
	v_dual_mov_b32 v7, s13 :: v_dual_mov_b32 v22, s10
	v_mad_u32_u24 v2, s14, v1, v2
	s_xor_b32 s10, s0, -1
	s_delay_alu instid0(VALU_DEP_1) | instskip(SKIP_1) | instid1(VALU_DEP_2)
	v_add_lshl_u32 v0, v2, v0, 3
	v_dual_mov_b32 v2, s8 :: v_dual_mov_b32 v3, s9
	v_add_nc_u32_e32 v6, 0x400, v0
	ds_store_2addr_stride64_b64 v0, v[4:5], v[2:3] offset1:2
	v_cndmask_b32_e64 v6, s8, v6, s0
	flat_load_b64 v[20:21], v[6:7]
	s_cbranch_vccnz .LBB16_2
; %bb.1:
	v_dual_mov_b32 v2, s8 :: v_dual_mov_b32 v3, s9
	flat_load_b64 v[22:23], v[2:3] offset:8
.LBB16_2:
	s_and_b32 s8, s0, exec_lo
	s_cselect_b32 s1, s1, s5
	v_cndmask_b32_e64 v2, s4, v0, s0
	v_mov_b32_e32 v3, s1
	v_dual_mov_b32 v19, s7 :: v_dual_mov_b32 v18, s6
	s_and_not1_b32 vcc_lo, exec_lo, s10
	flat_load_b64 v[16:17], v[2:3]
	s_cbranch_vccnz .LBB16_4
; %bb.3:
	v_dual_mov_b32 v2, s4 :: v_dual_mov_b32 v3, s5
	flat_load_b64 v[18:19], v[2:3] offset:8
.LBB16_4:
	s_waitcnt vmcnt(1) lgkmcnt(1)
	v_cmp_eq_f64_e32 vcc_lo, 0, v[20:21]
	v_cmp_eq_f64_e64 s0, 0, v[22:23]
	s_delay_alu instid0(VALU_DEP_1)
	s_and_b32 s4, vcc_lo, s0
	s_mov_b32 s0, -1
	s_and_saveexec_b32 s1, s4
	s_cbranch_execz .LBB16_6
; %bb.5:
	s_waitcnt vmcnt(0) lgkmcnt(0)
	v_cmp_neq_f64_e32 vcc_lo, 1.0, v[16:17]
	v_cmp_neq_f64_e64 s0, 0, v[18:19]
	s_delay_alu instid0(VALU_DEP_1) | instskip(NEXT) | instid1(SALU_CYCLE_1)
	s_or_b32 s0, vcc_lo, s0
	s_or_not1_b32 s0, s0, exec_lo
.LBB16_6:
	s_or_b32 exec_lo, exec_lo, s1
	s_and_saveexec_b32 s1, s0
	s_cbranch_execz .LBB16_12
; %bb.7:
	s_clause 0x1
	s_load_b64 s[4:5], s[2:3], 0x20
	s_load_b64 s[0:1], s[2:3], 0x0
	v_lshrrev_b32_e32 v0, 3, v1
	s_delay_alu instid0(VALU_DEP_1)
	v_lshl_or_b32 v24, s15, 4, v0
	s_waitcnt lgkmcnt(0)
	s_cmp_lg_u64 s[4:5], 0
	s_cbranch_scc0 .LBB16_13
; %bb.8:
	s_load_b32 s6, s[2:3], 0x18
	s_mov_b32 s7, 0
                                        ; implicit-def: $vgpr0
	s_waitcnt lgkmcnt(0)
	v_cmp_gt_i32_e32 vcc_lo, s6, v24
	s_mov_b32 s6, 0
	s_and_saveexec_b32 s8, vcc_lo
	s_delay_alu instid0(SALU_CYCLE_1)
	s_xor_b32 s8, exec_lo, s8
	s_cbranch_execz .LBB16_10
; %bb.9:
	v_ashrrev_i32_e32 v25, 31, v24
	s_mov_b32 s6, exec_lo
	s_delay_alu instid0(VALU_DEP_1) | instskip(NEXT) | instid1(VALU_DEP_1)
	v_lshlrev_b64 v[2:3], 2, v[24:25]
	v_add_co_u32 v2, vcc_lo, s4, v2
	s_delay_alu instid0(VALU_DEP_2)
	v_add_co_ci_u32_e32 v3, vcc_lo, s5, v3, vcc_lo
	global_load_b32 v0, v[2:3], off
	s_waitcnt vmcnt(0)
	v_subrev_nc_u32_e32 v0, s12, v0
.LBB16_10:
	s_or_b32 exec_lo, exec_lo, s8
	s_delay_alu instid0(SALU_CYCLE_1)
	s_and_b32 vcc_lo, exec_lo, s7
	s_cbranch_vccz .LBB16_14
.LBB16_11:
	v_cmp_gt_i32_e32 vcc_lo, s0, v24
	s_and_not1_b32 s0, s6, exec_lo
	s_and_b32 s4, vcc_lo, exec_lo
	s_delay_alu instid0(SALU_CYCLE_1) | instskip(NEXT) | instid1(SALU_CYCLE_1)
	s_or_b32 s6, s0, s4
	s_and_b32 exec_lo, exec_lo, s6
	s_cbranch_execnz .LBB16_15
.LBB16_12:
	s_nop 0
	s_sendmsg sendmsg(MSG_DEALLOC_VGPRS)
	s_endpgm
.LBB16_13:
	s_mov_b32 s6, 0
                                        ; implicit-def: $vgpr0
	s_cbranch_execnz .LBB16_11
.LBB16_14:
	s_delay_alu instid0(VALU_DEP_1)
	v_mov_b32_e32 v24, v0
	s_and_b32 exec_lo, exec_lo, s6
	s_cbranch_execz .LBB16_12
.LBB16_15:
	s_load_b256 s[4:11], s[2:3], 0x28
	s_delay_alu instid0(VALU_DEP_1) | instskip(SKIP_1) | instid1(VALU_DEP_2)
	v_ashrrev_i32_e32 v25, 31, v24
	v_and_b32_e32 v50, 7, v1
	v_lshlrev_b64 v[2:3], 2, v[24:25]
	s_waitcnt lgkmcnt(0)
	s_delay_alu instid0(VALU_DEP_1) | instskip(NEXT) | instid1(VALU_DEP_2)
	v_add_co_u32 v4, vcc_lo, s4, v2
	v_add_co_ci_u32_e32 v5, vcc_lo, s5, v3, vcc_lo
	v_add_co_u32 v0, vcc_lo, s6, v2
	v_add_co_ci_u32_e32 v2, vcc_lo, s7, v3, vcc_lo
	global_load_b32 v52, v[4:5], off
	v_add_co_u32 v4, vcc_lo, v4, 4
	v_add_co_ci_u32_e32 v3, vcc_lo, 0, v5, vcc_lo
	s_cmp_eq_u64 s[6:7], 0
	s_load_b64 s[4:5], s[2:3], 0x48
	s_cselect_b32 vcc_lo, -1, 0
	s_cmp_eq_u32 s1, 1
	v_dual_cndmask_b32 v3, v2, v3 :: v_dual_cndmask_b32 v2, v0, v4
	global_load_b32 v2, v[2:3], off
	s_waitcnt vmcnt(1)
	v_subrev_nc_u32_e32 v0, s12, v52
	s_delay_alu instid0(VALU_DEP_1) | instskip(NEXT) | instid1(VALU_DEP_1)
	v_add_nc_u32_e32 v25, v0, v50
	v_ashrrev_i32_e32 v26, 31, v25
	s_waitcnt vmcnt(0)
	v_subrev_nc_u32_e32 v51, s12, v2
	s_delay_alu instid0(VALU_DEP_2) | instskip(NEXT) | instid1(VALU_DEP_2)
	v_lshlrev_b64 v[0:1], 8, v[25:26]
	v_cmp_lt_i32_e64 s0, v25, v51
	s_delay_alu instid0(VALU_DEP_2) | instskip(NEXT) | instid1(VALU_DEP_3)
	v_add_co_u32 v27, vcc_lo, s10, v0
	v_add_co_ci_u32_e32 v28, vcc_lo, s11, v1, vcc_lo
	s_cbranch_scc1 .LBB16_27
; %bb.16:
	v_mov_b32_e32 v33, 0
	v_mov_b32_e32 v34, 0
	s_delay_alu instid0(VALU_DEP_2) | instskip(NEXT) | instid1(VALU_DEP_2)
	v_mov_b32_e32 v31, v33
	v_dual_mov_b32 v29, v33 :: v_dual_mov_b32 v30, v34
	v_dual_mov_b32 v38, v34 :: v_dual_mov_b32 v37, v33
	v_mov_b32_e32 v32, v34
	v_dual_mov_b32 v40, v34 :: v_dual_mov_b32 v39, v33
	v_dual_mov_b32 v42, v34 :: v_dual_mov_b32 v41, v33
	;; [unrolled: 1-line block ×4, first 2 shown]
	s_and_saveexec_b32 s6, s0
	s_cbranch_execz .LBB16_26
; %bb.17:
	v_dual_mov_b32 v35, 0 :: v_dual_add_nc_u32 v0, v52, v50
	v_mov_b32_e32 v46, v28
	v_not_b32_e32 v1, v52
	v_mov_b32_e32 v47, v25
	s_delay_alu instid0(VALU_DEP_4) | instskip(SKIP_2) | instid1(VALU_DEP_1)
	v_subrev_nc_u32_e32 v0, s12, v0
	s_mov_b32 s10, 0
	s_mov_b32 s7, exec_lo
	v_dual_mov_b32 v45, v27 :: v_dual_add_nc_u32 v0, 8, v0
	s_delay_alu instid0(VALU_DEP_1) | instskip(NEXT) | instid1(VALU_DEP_1)
	v_max_i32_e32 v0, v0, v51
	v_add3_u32 v0, v0, s12, v1
	s_delay_alu instid0(VALU_DEP_1) | instskip(NEXT) | instid1(VALU_DEP_1)
	v_sub_nc_u32_e32 v0, v0, v50
	v_lshrrev_b32_e32 v1, 3, v0
	s_delay_alu instid0(VALU_DEP_1) | instskip(NEXT) | instid1(VALU_DEP_1)
	v_dual_mov_b32 v36, 0 :: v_dual_add_nc_u32 v1, 1, v1
	v_mov_b32_e32 v44, v36
	v_mov_b32_e32 v42, v36
	v_dual_mov_b32 v40, v36 :: v_dual_mov_b32 v43, v35
	s_delay_alu instid0(VALU_DEP_4)
	v_and_b32_e32 v1, 3, v1
	v_mov_b32_e32 v41, v35
	v_mov_b32_e32 v39, v35
	v_dual_mov_b32 v29, v35 :: v_dual_mov_b32 v30, v36
	v_dual_mov_b32 v31, v35 :: v_dual_mov_b32 v32, v36
	;; [unrolled: 1-line block ×4, first 2 shown]
	v_cmpx_ne_u32_e32 0, v1
	s_cbranch_execz .LBB16_21
; %bb.18:
	v_dual_mov_b32 v33, 0 :: v_dual_mov_b32 v46, v28
	v_dual_mov_b32 v34, 0 :: v_dual_lshlrev_b32 v1, 8, v1
	s_delay_alu instid0(VALU_DEP_2) | instskip(SKIP_1) | instid1(VALU_DEP_3)
	v_mov_b32_e32 v31, v33
	v_mov_b32_e32 v29, v33
	v_dual_mov_b32 v47, v25 :: v_dual_mov_b32 v38, v34
	v_mov_b32_e32 v40, v34
	v_dual_mov_b32 v42, v34 :: v_dual_mov_b32 v39, v33
	v_dual_mov_b32 v44, v34 :: v_dual_mov_b32 v41, v33
	;; [unrolled: 1-line block ×5, first 2 shown]
	v_mov_b32_e32 v35, v33
.LBB16_19:                              ; =>This Inner Loop Header: Depth=1
	v_ashrrev_i32_e32 v48, 31, v47
	v_add_nc_u32_e32 v1, 0xffffff00, v1
	s_delay_alu instid0(VALU_DEP_2) | instskip(NEXT) | instid1(VALU_DEP_2)
	v_lshlrev_b64 v[2:3], 2, v[47:48]
	v_cmp_eq_u32_e64 s1, 0, v1
	v_add_nc_u32_e32 v47, 8, v47
	s_delay_alu instid0(VALU_DEP_2) | instskip(NEXT) | instid1(VALU_DEP_3)
	s_or_b32 s10, s1, s10
	v_add_co_u32 v2, vcc_lo, s8, v2
	s_delay_alu instid0(VALU_DEP_4)
	v_add_co_ci_u32_e32 v3, vcc_lo, s9, v3, vcc_lo
	global_load_b32 v14, v[2:3], off
	s_clause 0x7
	global_load_b128 v[2:5], v[45:46], off offset:16
	global_load_b128 v[6:9], v[45:46], off
	global_load_b128 v[10:13], v[45:46], off offset:80
	global_load_b128 v[53:56], v[45:46], off offset:64
	;; [unrolled: 1-line block ×6, first 2 shown]
	s_waitcnt vmcnt(8)
	v_subrev_nc_u32_e32 v14, s12, v14
	s_delay_alu instid0(VALU_DEP_1) | instskip(NEXT) | instid1(VALU_DEP_1)
	v_lshlrev_b32_e32 v14, 2, v14
	v_ashrrev_i32_e32 v15, 31, v14
	s_delay_alu instid0(VALU_DEP_1) | instskip(SKIP_1) | instid1(VALU_DEP_1)
	v_lshlrev_b64 v[14:15], 4, v[14:15]
	s_waitcnt lgkmcnt(0)
	v_add_co_u32 v14, vcc_lo, s4, v14
	s_delay_alu instid0(VALU_DEP_2)
	v_add_co_ci_u32_e32 v15, vcc_lo, s5, v15, vcc_lo
	s_clause 0x1
	global_load_b128 v[73:76], v[14:15], off
	global_load_b128 v[77:80], v[14:15], off offset:16
	s_clause 0x7
	global_load_b128 v[81:84], v[45:46], off offset:48
	global_load_b128 v[85:88], v[45:46], off offset:32
	global_load_b128 v[89:92], v[45:46], off offset:112
	global_load_b128 v[93:96], v[45:46], off offset:96
	global_load_b128 v[97:100], v[45:46], off offset:176
	global_load_b128 v[101:104], v[45:46], off offset:160
	global_load_b128 v[105:108], v[45:46], off offset:240
	global_load_b128 v[109:112], v[45:46], off offset:224
	s_clause 0x1
	global_load_b128 v[113:116], v[14:15], off offset:32
	global_load_b128 v[117:120], v[14:15], off offset:48
	v_add_co_u32 v45, vcc_lo, 0x800, v45
	v_add_co_ci_u32_e32 v46, vcc_lo, 0, v46, vcc_lo
	s_waitcnt vmcnt(11)
	v_fma_f64 v[14:15], v[6:7], v[73:74], v[37:38]
	v_fma_f64 v[33:34], v[8:9], v[73:74], v[33:34]
	v_fma_f64 v[37:38], v[53:54], v[73:74], v[43:44]
	v_fma_f64 v[35:36], v[55:56], v[73:74], v[35:36]
	v_fma_f64 v[39:40], v[61:62], v[73:74], v[39:40]
	v_fma_f64 v[41:42], v[63:64], v[73:74], v[41:42]
	v_fma_f64 v[31:32], v[69:70], v[73:74], v[31:32]
	v_fma_f64 v[29:30], v[71:72], v[73:74], v[29:30]
	v_fma_f64 v[8:9], -v[8:9], v[75:76], v[14:15]
	v_fma_f64 v[6:7], v[6:7], v[75:76], v[33:34]
	v_fma_f64 v[14:15], -v[55:56], v[75:76], v[37:38]
	v_fma_f64 v[33:34], v[53:54], v[75:76], v[35:36]
	v_fma_f64 v[35:36], -v[63:64], v[75:76], v[39:40]
	v_fma_f64 v[37:38], v[61:62], v[75:76], v[41:42]
	v_fma_f64 v[31:32], -v[71:72], v[75:76], v[31:32]
	v_fma_f64 v[29:30], v[69:70], v[75:76], v[29:30]
	s_waitcnt vmcnt(10)
	v_fma_f64 v[8:9], v[2:3], v[77:78], v[8:9]
	v_fma_f64 v[6:7], v[4:5], v[77:78], v[6:7]
	v_fma_f64 v[14:15], v[10:11], v[77:78], v[14:15]
	v_fma_f64 v[33:34], v[12:13], v[77:78], v[33:34]
	v_fma_f64 v[35:36], v[57:58], v[77:78], v[35:36]
	v_fma_f64 v[37:38], v[59:60], v[77:78], v[37:38]
	v_fma_f64 v[31:32], v[65:66], v[77:78], v[31:32]
	v_fma_f64 v[29:30], v[67:68], v[77:78], v[29:30]
	v_fma_f64 v[4:5], -v[4:5], v[79:80], v[8:9]
	v_fma_f64 v[2:3], v[2:3], v[79:80], v[6:7]
	v_fma_f64 v[6:7], -v[12:13], v[79:80], v[14:15]
	v_fma_f64 v[8:9], v[10:11], v[79:80], v[33:34]
	v_fma_f64 v[10:11], -v[59:60], v[79:80], v[35:36]
	v_fma_f64 v[12:13], v[57:58], v[79:80], v[37:38]
	v_fma_f64 v[14:15], -v[67:68], v[79:80], v[31:32]
	v_fma_f64 v[29:30], v[65:66], v[79:80], v[29:30]
	s_waitcnt vmcnt(1)
	v_fma_f64 v[4:5], v[85:86], v[113:114], v[4:5]
	v_fma_f64 v[2:3], v[87:88], v[113:114], v[2:3]
	v_fma_f64 v[6:7], v[93:94], v[113:114], v[6:7]
	v_fma_f64 v[8:9], v[95:96], v[113:114], v[8:9]
	v_fma_f64 v[10:11], v[101:102], v[113:114], v[10:11]
	v_fma_f64 v[12:13], v[103:104], v[113:114], v[12:13]
	v_fma_f64 v[14:15], v[109:110], v[113:114], v[14:15]
	v_fma_f64 v[29:30], v[111:112], v[113:114], v[29:30]
	v_fma_f64 v[4:5], -v[87:88], v[115:116], v[4:5]
	v_fma_f64 v[2:3], v[85:86], v[115:116], v[2:3]
	v_fma_f64 v[6:7], -v[95:96], v[115:116], v[6:7]
	v_fma_f64 v[8:9], v[93:94], v[115:116], v[8:9]
	v_fma_f64 v[10:11], -v[103:104], v[115:116], v[10:11]
	v_fma_f64 v[12:13], v[101:102], v[115:116], v[12:13]
	v_fma_f64 v[14:15], -v[111:112], v[115:116], v[14:15]
	v_fma_f64 v[29:30], v[109:110], v[115:116], v[29:30]
	s_waitcnt vmcnt(0)
	v_fma_f64 v[4:5], v[81:82], v[117:118], v[4:5]
	v_fma_f64 v[2:3], v[83:84], v[117:118], v[2:3]
	v_fma_f64 v[6:7], v[89:90], v[117:118], v[6:7]
	v_fma_f64 v[8:9], v[91:92], v[117:118], v[8:9]
	v_fma_f64 v[10:11], v[97:98], v[117:118], v[10:11]
	v_fma_f64 v[12:13], v[99:100], v[117:118], v[12:13]
	v_fma_f64 v[14:15], v[105:106], v[117:118], v[14:15]
	v_fma_f64 v[29:30], v[107:108], v[117:118], v[29:30]
	v_fma_f64 v[37:38], -v[83:84], v[119:120], v[4:5]
	v_fma_f64 v[33:34], v[81:82], v[119:120], v[2:3]
	v_fma_f64 v[43:44], -v[91:92], v[119:120], v[6:7]
	v_fma_f64 v[35:36], v[89:90], v[119:120], v[8:9]
	v_fma_f64 v[39:40], -v[99:100], v[119:120], v[10:11]
	v_fma_f64 v[41:42], v[97:98], v[119:120], v[12:13]
	v_fma_f64 v[31:32], -v[107:108], v[119:120], v[14:15]
	v_fma_f64 v[29:30], v[105:106], v[119:120], v[29:30]
	s_and_not1_b32 exec_lo, exec_lo, s10
	s_cbranch_execnz .LBB16_19
; %bb.20:
	s_or_b32 exec_lo, exec_lo, s10
.LBB16_21:
	s_delay_alu instid0(SALU_CYCLE_1) | instskip(NEXT) | instid1(SALU_CYCLE_1)
	s_or_b32 exec_lo, exec_lo, s7
	s_mov_b32 s7, exec_lo
	v_cmpx_lt_u32_e32 23, v0
	s_cbranch_execz .LBB16_25
; %bb.22:
	s_mov_b32 s10, 0
.LBB16_23:                              ; =>This Inner Loop Header: Depth=1
	v_ashrrev_i32_e32 v48, 31, v47
	s_delay_alu instid0(VALU_DEP_1) | instskip(SKIP_1) | instid1(VALU_DEP_2)
	v_lshlrev_b64 v[0:1], 2, v[47:48]
	v_add_nc_u32_e32 v47, 32, v47
	v_add_co_u32 v48, vcc_lo, s8, v0
	s_delay_alu instid0(VALU_DEP_3)
	v_add_co_ci_u32_e32 v49, vcc_lo, s9, v1, vcc_lo
	global_load_b32 v53, v[48:49], off
	s_clause 0x3
	global_load_b128 v[12:15], v[45:46], off
	global_load_b128 v[8:11], v[45:46], off offset:64
	global_load_b128 v[4:7], v[45:46], off offset:128
	;; [unrolled: 1-line block ×3, first 2 shown]
	s_clause 0x2
	global_load_b32 v26, v[48:49], off offset:32
	global_load_b32 v151, v[48:49], off offset:64
	;; [unrolled: 1-line block ×3, first 2 shown]
	s_waitcnt vmcnt(7)
	v_subrev_nc_u32_e32 v48, s12, v53
	s_delay_alu instid0(VALU_DEP_1) | instskip(SKIP_2) | instid1(VALU_DEP_2)
	v_lshlrev_b32_e32 v48, 2, v48
	s_waitcnt vmcnt(2)
	v_subrev_nc_u32_e32 v26, s12, v26
	v_ashrrev_i32_e32 v49, 31, v48
	s_delay_alu instid0(VALU_DEP_1) | instskip(SKIP_1) | instid1(VALU_DEP_1)
	v_lshlrev_b64 v[48:49], 4, v[48:49]
	s_waitcnt lgkmcnt(0)
	v_add_co_u32 v48, vcc_lo, s4, v48
	s_delay_alu instid0(VALU_DEP_2)
	v_add_co_ci_u32_e32 v49, vcc_lo, s5, v49, vcc_lo
	global_load_b128 v[53:56], v[48:49], off
	s_clause 0x3
	global_load_b128 v[57:60], v[45:46], off offset:16
	global_load_b128 v[61:64], v[45:46], off offset:80
	global_load_b128 v[65:68], v[45:46], off offset:144
	global_load_b128 v[69:72], v[45:46], off offset:208
	global_load_b128 v[73:76], v[48:49], off offset:16
	s_clause 0x3
	global_load_b128 v[77:80], v[45:46], off offset:96
	global_load_b128 v[81:84], v[45:46], off offset:160
	global_load_b128 v[85:88], v[45:46], off offset:224
	global_load_b128 v[89:92], v[45:46], off offset:32
	global_load_b128 v[93:96], v[48:49], off offset:32
	s_clause 0x3
	global_load_b128 v[97:100], v[45:46], off offset:48
	global_load_b128 v[101:104], v[45:46], off offset:112
	global_load_b128 v[105:108], v[45:46], off offset:176
	global_load_b128 v[109:112], v[45:46], off offset:240
	global_load_b128 v[113:116], v[48:49], off offset:48
	s_clause 0x3
	global_load_b128 v[117:120], v[45:46], off offset:2048
	global_load_b128 v[121:124], v[45:46], off offset:2112
	;; [unrolled: 1-line block ×4, first 2 shown]
	v_lshlrev_b32_e32 v48, 2, v26
	s_waitcnt vmcnt(21)
	v_subrev_nc_u32_e32 v26, s12, v151
	s_delay_alu instid0(VALU_DEP_2) | instskip(NEXT) | instid1(VALU_DEP_2)
	v_ashrrev_i32_e32 v49, 31, v48
	v_lshlrev_b32_e32 v151, 2, v26
	s_waitcnt vmcnt(20)
	v_subrev_nc_u32_e32 v26, s12, v153
	s_delay_alu instid0(VALU_DEP_3) | instskip(NEXT) | instid1(VALU_DEP_3)
	v_lshlrev_b64 v[48:49], 4, v[48:49]
	v_ashrrev_i32_e32 v152, 31, v151
	s_delay_alu instid0(VALU_DEP_2) | instskip(NEXT) | instid1(VALU_DEP_3)
	v_add_co_u32 v48, vcc_lo, s4, v48
	v_add_co_ci_u32_e32 v49, vcc_lo, s5, v49, vcc_lo
	v_add_co_u32 v149, vcc_lo, 0x1000, v45
	v_add_co_ci_u32_e32 v150, vcc_lo, 0, v46, vcc_lo
	global_load_b128 v[133:136], v[48:49], off
	s_waitcnt vmcnt(20)
	v_fma_f64 v[37:38], v[12:13], v[53:54], v[37:38]
	v_fma_f64 v[33:34], v[14:15], v[53:54], v[33:34]
	v_fma_f64 v[43:44], v[8:9], v[53:54], v[43:44]
	v_fma_f64 v[35:36], v[10:11], v[53:54], v[35:36]
	v_fma_f64 v[39:40], v[4:5], v[53:54], v[39:40]
	v_fma_f64 v[41:42], v[6:7], v[53:54], v[41:42]
	v_fma_f64 v[31:32], v[0:1], v[53:54], v[31:32]
	v_fma_f64 v[29:30], v[2:3], v[53:54], v[29:30]
	v_fma_f64 v[37:38], -v[14:15], v[55:56], v[37:38]
	v_fma_f64 v[33:34], v[12:13], v[55:56], v[33:34]
	v_fma_f64 v[43:44], -v[10:11], v[55:56], v[43:44]
	v_fma_f64 v[35:36], v[8:9], v[55:56], v[35:36]
	v_fma_f64 v[39:40], -v[6:7], v[55:56], v[39:40]
	v_fma_f64 v[41:42], v[4:5], v[55:56], v[41:42]
	v_fma_f64 v[53:54], -v[2:3], v[55:56], v[31:32]
	v_fma_f64 v[55:56], v[0:1], v[55:56], v[29:30]
	s_clause 0x3
	global_load_b128 v[0:3], v[45:46], off offset:2064
	global_load_b128 v[4:7], v[45:46], off offset:2128
	global_load_b128 v[8:11], v[45:46], off offset:2192
	global_load_b128 v[12:15], v[45:46], off offset:2256
	global_load_b128 v[29:32], v[48:49], off offset:16
	s_waitcnt vmcnt(20)
	v_fma_f64 v[37:38], v[57:58], v[73:74], v[37:38]
	v_fma_f64 v[33:34], v[59:60], v[73:74], v[33:34]
	v_fma_f64 v[43:44], v[61:62], v[73:74], v[43:44]
	v_fma_f64 v[35:36], v[63:64], v[73:74], v[35:36]
	v_fma_f64 v[39:40], v[65:66], v[73:74], v[39:40]
	v_fma_f64 v[41:42], v[67:68], v[73:74], v[41:42]
	v_fma_f64 v[53:54], v[69:70], v[73:74], v[53:54]
	v_fma_f64 v[55:56], v[71:72], v[73:74], v[55:56]
	v_fma_f64 v[73:74], -v[59:60], v[75:76], v[37:38]
	v_fma_f64 v[137:138], v[57:58], v[75:76], v[33:34]
	v_fma_f64 v[63:64], -v[63:64], v[75:76], v[43:44]
	v_fma_f64 v[61:62], v[61:62], v[75:76], v[35:36]
	v_fma_f64 v[67:68], -v[67:68], v[75:76], v[39:40]
	v_fma_f64 v[65:66], v[65:66], v[75:76], v[41:42]
	v_fma_f64 v[71:72], -v[71:72], v[75:76], v[53:54]
	v_fma_f64 v[69:70], v[69:70], v[75:76], v[55:56]
	s_clause 0x3
	global_load_b128 v[33:36], v[45:46], off offset:2144
	global_load_b128 v[37:40], v[45:46], off offset:2208
	global_load_b128 v[41:44], v[45:46], off offset:2272
	global_load_b128 v[53:56], v[45:46], off offset:2080
	global_load_b128 v[57:60], v[48:49], off offset:32
	;; [unrolled: 23-line block ×3, first 2 shown]
	v_add_co_u32 v45, s1, 0x2000, v45
	s_delay_alu instid0(VALU_DEP_1)
	v_add_co_ci_u32_e64 v46, s1, 0, v46, s1
	s_waitcnt vmcnt(20)
	v_fma_f64 v[48:49], v[97:98], v[113:114], v[91:92]
	v_fma_f64 v[139:140], v[99:100], v[113:114], v[89:90]
	;; [unrolled: 1-line block ×8, first 2 shown]
	s_clause 0x3
	global_load_b128 v[81:84], v[149:150], off
	global_load_b128 v[85:88], v[149:150], off offset:64
	global_load_b128 v[89:92], v[149:150], off offset:128
	global_load_b128 v[93:96], v[149:150], off offset:192
	v_fma_f64 v[48:49], -v[99:100], v[115:116], v[48:49]
	v_fma_f64 v[139:140], v[97:98], v[115:116], v[139:140]
	v_fma_f64 v[103:104], -v[103:104], v[115:116], v[141:142]
	v_fma_f64 v[101:102], v[101:102], v[115:116], v[137:138]
	;; [unrolled: 2-line block ×4, first 2 shown]
	v_lshlrev_b64 v[97:98], 4, v[151:152]
	v_lshlrev_b32_e32 v151, 2, v26
	s_delay_alu instid0(VALU_DEP_2) | instskip(NEXT) | instid1(VALU_DEP_3)
	v_add_co_u32 v137, vcc_lo, s4, v97
	v_add_co_ci_u32_e32 v138, vcc_lo, s5, v98, vcc_lo
	s_delay_alu instid0(VALU_DEP_3)
	v_ashrrev_i32_e32 v152, 31, v151
	global_load_b128 v[97:100], v[137:138], off
	s_waitcnt vmcnt(20)
	v_fma_f64 v[48:49], v[117:118], v[133:134], v[48:49]
	v_fma_f64 v[113:114], v[119:120], v[133:134], v[139:140]
	v_fma_f64 v[103:104], v[121:122], v[133:134], v[103:104]
	v_fma_f64 v[101:102], v[123:124], v[133:134], v[101:102]
	v_fma_f64 v[107:108], v[125:126], v[133:134], v[107:108]
	v_fma_f64 v[105:106], v[127:128], v[133:134], v[105:106]
	v_fma_f64 v[111:112], v[129:130], v[133:134], v[111:112]
	v_fma_f64 v[109:110], v[131:132], v[133:134], v[109:110]
	v_fma_f64 v[48:49], -v[119:120], v[135:136], v[48:49]
	v_fma_f64 v[133:134], v[117:118], v[135:136], v[113:114]
	v_fma_f64 v[123:124], -v[123:124], v[135:136], v[103:104]
	v_fma_f64 v[121:122], v[121:122], v[135:136], v[101:102]
	v_fma_f64 v[127:128], -v[127:128], v[135:136], v[107:108]
	v_fma_f64 v[125:126], v[125:126], v[135:136], v[105:106]
	v_fma_f64 v[131:132], -v[131:132], v[135:136], v[111:112]
	v_fma_f64 v[129:130], v[129:130], v[135:136], v[109:110]
	s_clause 0x3
	global_load_b128 v[101:104], v[149:150], off offset:16
	global_load_b128 v[105:108], v[149:150], off offset:80
	global_load_b128 v[109:112], v[149:150], off offset:144
	global_load_b128 v[113:116], v[149:150], off offset:208
	global_load_b128 v[117:120], v[137:138], off offset:16
	s_waitcnt vmcnt(20)
	v_fma_f64 v[48:49], v[0:1], v[29:30], v[48:49]
	v_fma_f64 v[133:134], v[2:3], v[29:30], v[133:134]
	v_fma_f64 v[123:124], v[4:5], v[29:30], v[123:124]
	v_fma_f64 v[121:122], v[6:7], v[29:30], v[121:122]
	v_fma_f64 v[127:128], v[8:9], v[29:30], v[127:128]
	v_fma_f64 v[125:126], v[10:11], v[29:30], v[125:126]
	v_fma_f64 v[131:132], v[12:13], v[29:30], v[131:132]
	v_fma_f64 v[29:30], v[14:15], v[29:30], v[129:130]
	v_fma_f64 v[48:49], -v[2:3], v[31:32], v[48:49]
	v_fma_f64 v[129:130], v[0:1], v[31:32], v[133:134]
	v_fma_f64 v[123:124], -v[6:7], v[31:32], v[123:124]
	v_fma_f64 v[121:122], v[4:5], v[31:32], v[121:122]
	v_fma_f64 v[127:128], -v[10:11], v[31:32], v[127:128]
	v_fma_f64 v[125:126], v[8:9], v[31:32], v[125:126]
	v_fma_f64 v[131:132], -v[14:15], v[31:32], v[131:132]
	v_fma_f64 v[133:134], v[12:13], v[31:32], v[29:30]
	s_clause 0x3
	global_load_b128 v[0:3], v[149:150], off offset:96
	global_load_b128 v[4:7], v[149:150], off offset:160
	global_load_b128 v[8:11], v[149:150], off offset:224
	global_load_b128 v[12:15], v[149:150], off offset:32
	global_load_b128 v[29:32], v[137:138], off offset:32
	;; [unrolled: 23-line block ×3, first 2 shown]
	s_waitcnt vmcnt(20)
	v_fma_f64 v[48:49], v[61:62], v[77:78], v[48:49]
	v_fma_f64 v[137:138], v[63:64], v[77:78], v[129:130]
	v_fma_f64 v[139:140], v[65:66], v[77:78], v[123:124]
	v_fma_f64 v[141:142], v[67:68], v[77:78], v[121:122]
	v_fma_f64 v[143:144], v[69:70], v[77:78], v[127:128]
	v_fma_f64 v[145:146], v[71:72], v[77:78], v[125:126]
	v_fma_f64 v[147:148], v[73:74], v[77:78], v[131:132]
	v_fma_f64 v[77:78], v[75:76], v[77:78], v[133:134]
	s_clause 0x3
	global_load_b128 v[121:124], v[149:150], off offset:2048
	global_load_b128 v[125:128], v[149:150], off offset:2112
	;; [unrolled: 1-line block ×4, first 2 shown]
	v_fma_f64 v[48:49], -v[63:64], v[79:80], v[48:49]
	v_fma_f64 v[137:138], v[61:62], v[79:80], v[137:138]
	v_fma_f64 v[67:68], -v[67:68], v[79:80], v[139:140]
	v_fma_f64 v[65:66], v[65:66], v[79:80], v[141:142]
	;; [unrolled: 2-line block ×4, first 2 shown]
	v_lshlrev_b64 v[61:62], 4, v[151:152]
	s_delay_alu instid0(VALU_DEP_1) | instskip(NEXT) | instid1(VALU_DEP_2)
	v_add_co_u32 v139, vcc_lo, s4, v61
	v_add_co_ci_u32_e32 v140, vcc_lo, s5, v62, vcc_lo
	v_cmp_ge_i32_e32 vcc_lo, v47, v51
	global_load_b128 v[61:64], v[139:140], off
	s_or_b32 s10, vcc_lo, s10
	s_waitcnt vmcnt(20)
	v_fma_f64 v[48:49], v[81:82], v[97:98], v[48:49]
	v_fma_f64 v[77:78], v[83:84], v[97:98], v[137:138]
	v_fma_f64 v[67:68], v[85:86], v[97:98], v[67:68]
	v_fma_f64 v[65:66], v[87:88], v[97:98], v[65:66]
	v_fma_f64 v[71:72], v[89:90], v[97:98], v[71:72]
	v_fma_f64 v[69:70], v[91:92], v[97:98], v[69:70]
	v_fma_f64 v[75:76], v[93:94], v[97:98], v[75:76]
	v_fma_f64 v[73:74], v[95:96], v[97:98], v[73:74]
	v_fma_f64 v[48:49], -v[83:84], v[99:100], v[48:49]
	v_fma_f64 v[97:98], v[81:82], v[99:100], v[77:78]
	v_fma_f64 v[87:88], -v[87:88], v[99:100], v[67:68]
	v_fma_f64 v[85:86], v[85:86], v[99:100], v[65:66]
	v_fma_f64 v[91:92], -v[91:92], v[99:100], v[71:72]
	v_fma_f64 v[89:90], v[89:90], v[99:100], v[69:70]
	v_fma_f64 v[95:96], -v[95:96], v[99:100], v[75:76]
	v_fma_f64 v[93:94], v[93:94], v[99:100], v[73:74]
	s_clause 0x3
	global_load_b128 v[65:68], v[149:150], off offset:2064
	global_load_b128 v[69:72], v[149:150], off offset:2128
	global_load_b128 v[73:76], v[149:150], off offset:2192
	global_load_b128 v[77:80], v[149:150], off offset:2256
	global_load_b128 v[81:84], v[139:140], off offset:16
	s_waitcnt vmcnt(20)
	v_fma_f64 v[48:49], v[101:102], v[117:118], v[48:49]
	v_fma_f64 v[97:98], v[103:104], v[117:118], v[97:98]
	v_fma_f64 v[87:88], v[105:106], v[117:118], v[87:88]
	v_fma_f64 v[85:86], v[107:108], v[117:118], v[85:86]
	v_fma_f64 v[91:92], v[109:110], v[117:118], v[91:92]
	v_fma_f64 v[89:90], v[111:112], v[117:118], v[89:90]
	v_fma_f64 v[95:96], v[113:114], v[117:118], v[95:96]
	v_fma_f64 v[93:94], v[115:116], v[117:118], v[93:94]
	v_fma_f64 v[48:49], -v[103:104], v[119:120], v[48:49]
	v_fma_f64 v[117:118], v[101:102], v[119:120], v[97:98]
	v_fma_f64 v[107:108], -v[107:108], v[119:120], v[87:88]
	v_fma_f64 v[105:106], v[105:106], v[119:120], v[85:86]
	v_fma_f64 v[111:112], -v[111:112], v[119:120], v[91:92]
	v_fma_f64 v[109:110], v[109:110], v[119:120], v[89:90]
	v_fma_f64 v[115:116], -v[115:116], v[119:120], v[95:96]
	v_fma_f64 v[113:114], v[113:114], v[119:120], v[93:94]
	s_clause 0x3
	global_load_b128 v[85:88], v[149:150], off offset:2144
	global_load_b128 v[89:92], v[149:150], off offset:2208
	global_load_b128 v[93:96], v[149:150], off offset:2272
	global_load_b128 v[97:100], v[149:150], off offset:2080
	global_load_b128 v[101:104], v[139:140], off offset:32
	;; [unrolled: 23-line block ×3, first 2 shown]
	s_waitcnt vmcnt(20)
	v_fma_f64 v[31:32], v[33:34], v[57:58], v[48:49]
	v_fma_f64 v[48:49], v[35:36], v[57:58], v[113:114]
	v_fma_f64 v[113:114], v[37:38], v[57:58], v[117:118]
	v_fma_f64 v[117:118], v[39:40], v[57:58], v[119:120]
	v_fma_f64 v[111:112], v[41:42], v[57:58], v[111:112]
	v_fma_f64 v[109:110], v[43:44], v[57:58], v[109:110]
	v_fma_f64 v[115:116], v[53:54], v[57:58], v[115:116]
	v_fma_f64 v[29:30], v[55:56], v[57:58], v[29:30]
	v_fma_f64 v[31:32], -v[35:36], v[59:60], v[31:32]
	v_fma_f64 v[33:34], v[33:34], v[59:60], v[48:49]
	v_fma_f64 v[35:36], -v[39:40], v[59:60], v[113:114]
	v_fma_f64 v[37:38], v[37:38], v[59:60], v[117:118]
	v_fma_f64 v[39:40], -v[43:44], v[59:60], v[111:112]
	v_fma_f64 v[41:42], v[41:42], v[59:60], v[109:110]
	v_fma_f64 v[43:44], -v[55:56], v[59:60], v[115:116]
	v_fma_f64 v[29:30], v[53:54], v[59:60], v[29:30]
	s_waitcnt vmcnt(15)
	v_fma_f64 v[31:32], v[121:122], v[61:62], v[31:32]
	v_fma_f64 v[33:34], v[123:124], v[61:62], v[33:34]
	v_fma_f64 v[35:36], v[125:126], v[61:62], v[35:36]
	v_fma_f64 v[37:38], v[127:128], v[61:62], v[37:38]
	v_fma_f64 v[39:40], v[129:130], v[61:62], v[39:40]
	v_fma_f64 v[41:42], v[131:132], v[61:62], v[41:42]
	v_fma_f64 v[43:44], v[133:134], v[61:62], v[43:44]
	v_fma_f64 v[29:30], v[135:136], v[61:62], v[29:30]
	v_fma_f64 v[31:32], -v[123:124], v[63:64], v[31:32]
	v_fma_f64 v[33:34], v[121:122], v[63:64], v[33:34]
	v_fma_f64 v[35:36], -v[127:128], v[63:64], v[35:36]
	v_fma_f64 v[37:38], v[125:126], v[63:64], v[37:38]
	v_fma_f64 v[39:40], -v[131:132], v[63:64], v[39:40]
	v_fma_f64 v[41:42], v[129:130], v[63:64], v[41:42]
	v_fma_f64 v[43:44], -v[135:136], v[63:64], v[43:44]
	v_fma_f64 v[29:30], v[133:134], v[63:64], v[29:30]
	;; [unrolled: 17-line block ×5, first 2 shown]
	s_and_not1_b32 exec_lo, exec_lo, s10
	s_cbranch_execnz .LBB16_23
; %bb.24:
	s_or_b32 exec_lo, exec_lo, s10
.LBB16_25:
	s_delay_alu instid0(SALU_CYCLE_1)
	s_or_b32 exec_lo, exec_lo, s7
.LBB16_26:
	s_delay_alu instid0(SALU_CYCLE_1)
	s_or_b32 exec_lo, exec_lo, s6
	s_cbranch_execz .LBB16_28
	s_branch .LBB16_39
.LBB16_27:
                                        ; implicit-def: $vgpr33_vgpr34
                                        ; implicit-def: $vgpr37_vgpr38
                                        ; implicit-def: $vgpr31_vgpr32
                                        ; implicit-def: $vgpr29_vgpr30
                                        ; implicit-def: $vgpr39_vgpr40
                                        ; implicit-def: $vgpr41_vgpr42
                                        ; implicit-def: $vgpr43_vgpr44
                                        ; implicit-def: $vgpr35_vgpr36
.LBB16_28:
	v_mov_b32_e32 v33, 0
	v_mov_b32_e32 v34, 0
	s_delay_alu instid0(VALU_DEP_2) | instskip(NEXT) | instid1(VALU_DEP_2)
	v_mov_b32_e32 v31, v33
	v_dual_mov_b32 v29, v33 :: v_dual_mov_b32 v30, v34
	v_dual_mov_b32 v38, v34 :: v_dual_mov_b32 v37, v33
	v_mov_b32_e32 v32, v34
	v_dual_mov_b32 v40, v34 :: v_dual_mov_b32 v39, v33
	v_dual_mov_b32 v42, v34 :: v_dual_mov_b32 v41, v33
	;; [unrolled: 1-line block ×4, first 2 shown]
	s_and_saveexec_b32 s1, s0
	s_cbranch_execz .LBB16_38
; %bb.29:
	v_dual_mov_b32 v35, 0 :: v_dual_add_nc_u32 v0, v52, v50
	v_mov_b32_e32 v36, 0
	v_not_b32_e32 v1, v52
	s_mov_b32 s7, 0
	s_delay_alu instid0(VALU_DEP_3) | instskip(SKIP_2) | instid1(VALU_DEP_2)
	v_subrev_nc_u32_e32 v0, s12, v0
	s_mov_b32 s6, exec_lo
	v_dual_mov_b32 v44, v36 :: v_dual_mov_b32 v43, v35
	v_add_nc_u32_e32 v0, 8, v0
	s_delay_alu instid0(VALU_DEP_1) | instskip(NEXT) | instid1(VALU_DEP_1)
	v_max_i32_e32 v0, v0, v51
	v_add3_u32 v0, v0, s12, v1
	s_delay_alu instid0(VALU_DEP_1) | instskip(NEXT) | instid1(VALU_DEP_1)
	v_sub_nc_u32_e32 v0, v0, v50
	v_lshrrev_b32_e32 v1, 3, v0
	s_delay_alu instid0(VALU_DEP_1) | instskip(SKIP_2) | instid1(VALU_DEP_3)
	v_dual_mov_b32 v42, v36 :: v_dual_add_nc_u32 v1, 1, v1
	v_dual_mov_b32 v41, v35 :: v_dual_mov_b32 v40, v36
	v_mov_b32_e32 v39, v35
	v_and_b32_e32 v1, 3, v1
	v_dual_mov_b32 v29, v35 :: v_dual_mov_b32 v30, v36
	v_dual_mov_b32 v31, v35 :: v_dual_mov_b32 v32, v36
	;; [unrolled: 1-line block ×4, first 2 shown]
	v_cmpx_ne_u32_e32 0, v1
	s_cbranch_execz .LBB16_33
; %bb.30:
	v_mov_b32_e32 v33, 0
	v_dual_mov_b32 v34, 0 :: v_dual_lshlrev_b32 v1, 8, v1
	s_delay_alu instid0(VALU_DEP_2) | instskip(NEXT) | instid1(VALU_DEP_2)
	v_mov_b32_e32 v31, v33
	v_dual_mov_b32 v29, v33 :: v_dual_mov_b32 v30, v34
	v_dual_mov_b32 v38, v34 :: v_dual_mov_b32 v37, v33
	v_mov_b32_e32 v32, v34
	v_dual_mov_b32 v40, v34 :: v_dual_mov_b32 v39, v33
	v_dual_mov_b32 v42, v34 :: v_dual_mov_b32 v41, v33
	;; [unrolled: 1-line block ×4, first 2 shown]
.LBB16_31:                              ; =>This Inner Loop Header: Depth=1
	v_ashrrev_i32_e32 v26, 31, v25
	v_add_nc_u32_e32 v1, 0xffffff00, v1
	s_delay_alu instid0(VALU_DEP_2) | instskip(NEXT) | instid1(VALU_DEP_2)
	v_lshlrev_b64 v[2:3], 2, v[25:26]
	v_cmp_eq_u32_e64 s0, 0, v1
	v_add_nc_u32_e32 v25, 8, v25
	s_delay_alu instid0(VALU_DEP_2) | instskip(NEXT) | instid1(VALU_DEP_3)
	s_or_b32 s7, s0, s7
	v_add_co_u32 v2, vcc_lo, s8, v2
	s_delay_alu instid0(VALU_DEP_4)
	v_add_co_ci_u32_e32 v3, vcc_lo, s9, v3, vcc_lo
	global_load_b32 v14, v[2:3], off
	s_clause 0x3
	global_load_b128 v[2:5], v[27:28], off offset:48
	global_load_b128 v[6:9], v[27:28], off offset:32
	;; [unrolled: 1-line block ×3, first 2 shown]
	global_load_b128 v[45:48], v[27:28], off
	s_waitcnt vmcnt(4)
	v_subrev_nc_u32_e32 v14, s12, v14
	s_delay_alu instid0(VALU_DEP_1) | instskip(NEXT) | instid1(VALU_DEP_1)
	v_lshlrev_b32_e32 v14, 2, v14
	v_ashrrev_i32_e32 v15, 31, v14
	s_delay_alu instid0(VALU_DEP_1) | instskip(SKIP_1) | instid1(VALU_DEP_1)
	v_lshlrev_b64 v[14:15], 4, v[14:15]
	s_waitcnt lgkmcnt(0)
	v_add_co_u32 v14, vcc_lo, s4, v14
	s_delay_alu instid0(VALU_DEP_2)
	v_add_co_ci_u32_e32 v15, vcc_lo, s5, v15, vcc_lo
	s_clause 0x1
	global_load_b128 v[52:55], v[14:15], off
	global_load_b128 v[56:59], v[14:15], off offset:16
	s_clause 0x7
	global_load_b128 v[60:63], v[27:28], off offset:64
	global_load_b128 v[64:67], v[27:28], off offset:80
	;; [unrolled: 1-line block ×8, first 2 shown]
	s_clause 0x1
	global_load_b128 v[92:95], v[14:15], off offset:32
	global_load_b128 v[96:99], v[14:15], off offset:48
	s_clause 0x3
	global_load_b128 v[100:103], v[27:28], off offset:192
	global_load_b128 v[104:107], v[27:28], off offset:208
	;; [unrolled: 1-line block ×4, first 2 shown]
	v_add_co_u32 v27, vcc_lo, 0x800, v27
	v_add_co_ci_u32_e32 v28, vcc_lo, 0, v28, vcc_lo
	s_waitcnt vmcnt(15)
	v_fma_f64 v[14:15], v[45:46], v[52:53], v[37:38]
	v_fma_f64 v[33:34], v[47:48], v[52:53], v[33:34]
	;; [unrolled: 1-line block ×8, first 2 shown]
	v_fma_f64 v[14:15], -v[47:48], v[54:55], v[14:15]
	v_fma_f64 v[33:34], v[45:46], v[54:55], v[33:34]
	v_fma_f64 v[12:13], -v[12:13], v[54:55], v[37:38]
	v_fma_f64 v[10:11], v[10:11], v[54:55], v[35:36]
	;; [unrolled: 2-line block ×4, first 2 shown]
	s_waitcnt vmcnt(13)
	v_fma_f64 v[14:15], v[60:61], v[56:57], v[14:15]
	v_fma_f64 v[29:30], v[62:63], v[56:57], v[33:34]
	s_waitcnt vmcnt(12)
	v_fma_f64 v[12:13], v[64:65], v[56:57], v[12:13]
	v_fma_f64 v[10:11], v[66:67], v[56:57], v[10:11]
	;; [unrolled: 3-line block ×4, first 2 shown]
	v_fma_f64 v[14:15], -v[62:63], v[58:59], v[14:15]
	v_fma_f64 v[29:30], v[60:61], v[58:59], v[29:30]
	v_fma_f64 v[12:13], -v[66:67], v[58:59], v[12:13]
	v_fma_f64 v[10:11], v[64:65], v[58:59], v[10:11]
	;; [unrolled: 2-line block ×4, first 2 shown]
	s_waitcnt vmcnt(5)
	v_fma_f64 v[14:15], v[88:89], v[92:93], v[14:15]
	v_fma_f64 v[29:30], v[90:91], v[92:93], v[29:30]
	;; [unrolled: 1-line block ×8, first 2 shown]
	v_fma_f64 v[14:15], -v[90:91], v[94:95], v[14:15]
	v_fma_f64 v[29:30], v[88:89], v[94:95], v[29:30]
	v_fma_f64 v[12:13], -v[86:87], v[94:95], v[12:13]
	v_fma_f64 v[10:11], v[84:85], v[94:95], v[10:11]
	;; [unrolled: 2-line block ×4, first 2 shown]
	s_waitcnt vmcnt(3)
	v_fma_f64 v[14:15], v[100:101], v[96:97], v[14:15]
	v_fma_f64 v[29:30], v[102:103], v[96:97], v[29:30]
	s_waitcnt vmcnt(2)
	v_fma_f64 v[12:13], v[104:105], v[96:97], v[12:13]
	v_fma_f64 v[10:11], v[106:107], v[96:97], v[10:11]
	;; [unrolled: 3-line block ×4, first 2 shown]
	v_fma_f64 v[37:38], -v[102:103], v[98:99], v[14:15]
	v_fma_f64 v[33:34], v[100:101], v[98:99], v[29:30]
	v_fma_f64 v[43:44], -v[106:107], v[98:99], v[12:13]
	v_fma_f64 v[35:36], v[104:105], v[98:99], v[10:11]
	;; [unrolled: 2-line block ×4, first 2 shown]
	s_and_not1_b32 exec_lo, exec_lo, s7
	s_cbranch_execnz .LBB16_31
; %bb.32:
	s_or_b32 exec_lo, exec_lo, s7
.LBB16_33:
	s_delay_alu instid0(SALU_CYCLE_1) | instskip(NEXT) | instid1(SALU_CYCLE_1)
	s_or_b32 exec_lo, exec_lo, s6
	s_mov_b32 s6, exec_lo
	v_cmpx_lt_u32_e32 23, v0
	s_cbranch_execz .LBB16_37
; %bb.34:
	s_mov_b32 s7, 0
.LBB16_35:                              ; =>This Inner Loop Header: Depth=1
	v_ashrrev_i32_e32 v26, 31, v25
	s_delay_alu instid0(VALU_DEP_1) | instskip(SKIP_1) | instid1(VALU_DEP_2)
	v_lshlrev_b64 v[0:1], 2, v[25:26]
	v_add_nc_u32_e32 v25, 32, v25
	v_add_co_u32 v47, vcc_lo, s8, v0
	s_delay_alu instid0(VALU_DEP_3)
	v_add_co_ci_u32_e32 v48, vcc_lo, s9, v1, vcc_lo
	global_load_b32 v49, v[47:48], off
	s_clause 0x3
	global_load_b128 v[0:3], v[27:28], off offset:48
	global_load_b128 v[4:7], v[27:28], off offset:32
	;; [unrolled: 1-line block ×3, first 2 shown]
	global_load_b128 v[12:15], v[27:28], off
	s_clause 0x2
	global_load_b32 v46, v[47:48], off offset:32
	global_load_b32 v26, v[47:48], off offset:64
	;; [unrolled: 1-line block ×3, first 2 shown]
	s_waitcnt vmcnt(7)
	v_subrev_nc_u32_e32 v47, s12, v49
	s_delay_alu instid0(VALU_DEP_1)
	v_lshlrev_b32_e32 v47, 2, v47
	s_waitcnt vmcnt(2)
	v_subrev_nc_u32_e32 v46, s12, v46
	s_waitcnt vmcnt(1)
	v_subrev_nc_u32_e32 v26, s12, v26
	v_ashrrev_i32_e32 v48, 31, v47
	s_delay_alu instid0(VALU_DEP_3) | instskip(NEXT) | instid1(VALU_DEP_3)
	v_lshlrev_b32_e32 v46, 2, v46
	v_lshlrev_b32_e32 v148, 2, v26
	s_waitcnt vmcnt(0)
	v_subrev_nc_u32_e32 v26, s12, v45
	v_lshlrev_b64 v[47:48], 4, v[47:48]
	s_delay_alu instid0(VALU_DEP_3) | instskip(SKIP_1) | instid1(VALU_DEP_2)
	v_ashrrev_i32_e32 v149, 31, v148
	s_waitcnt lgkmcnt(0)
	v_add_co_u32 v47, vcc_lo, s4, v47
	s_delay_alu instid0(VALU_DEP_3)
	v_add_co_ci_u32_e32 v48, vcc_lo, s5, v48, vcc_lo
	global_load_b128 v[52:55], v[47:48], off
	s_clause 0x3
	global_load_b128 v[56:59], v[27:28], off offset:112
	global_load_b128 v[60:63], v[27:28], off offset:96
	global_load_b128 v[64:67], v[27:28], off offset:80
	global_load_b128 v[68:71], v[27:28], off offset:64
	global_load_b128 v[72:75], v[47:48], off offset:16
	s_clause 0x3
	global_load_b128 v[76:79], v[27:28], off offset:176
	global_load_b128 v[80:83], v[27:28], off offset:160
	global_load_b128 v[84:87], v[27:28], off offset:144
	global_load_b128 v[88:91], v[27:28], off offset:128
	global_load_b128 v[92:95], v[47:48], off offset:32
	;; [unrolled: 6-line block ×3, first 2 shown]
	s_clause 0x3
	global_load_b128 v[116:119], v[27:28], off offset:2096
	global_load_b128 v[120:123], v[27:28], off offset:2080
	;; [unrolled: 1-line block ×4, first 2 shown]
	v_ashrrev_i32_e32 v47, 31, v46
	s_delay_alu instid0(VALU_DEP_1) | instskip(NEXT) | instid1(VALU_DEP_1)
	v_lshlrev_b64 v[46:47], 4, v[46:47]
	v_add_co_u32 v132, vcc_lo, s4, v46
	s_delay_alu instid0(VALU_DEP_2)
	v_add_co_ci_u32_e32 v133, vcc_lo, s5, v47, vcc_lo
	v_add_co_u32 v146, vcc_lo, 0x1000, v27
	v_add_co_ci_u32_e32 v147, vcc_lo, 0, v28, vcc_lo
	global_load_b128 v[46:49], v[132:133], off
	s_waitcnt vmcnt(20)
	v_fma_f64 v[37:38], v[12:13], v[52:53], v[37:38]
	v_fma_f64 v[33:34], v[14:15], v[52:53], v[33:34]
	v_fma_f64 v[43:44], v[8:9], v[52:53], v[43:44]
	v_fma_f64 v[35:36], v[10:11], v[52:53], v[35:36]
	v_fma_f64 v[39:40], v[4:5], v[52:53], v[39:40]
	v_fma_f64 v[41:42], v[6:7], v[52:53], v[41:42]
	v_fma_f64 v[31:32], v[0:1], v[52:53], v[31:32]
	v_fma_f64 v[29:30], v[2:3], v[52:53], v[29:30]
	v_fma_f64 v[37:38], -v[14:15], v[54:55], v[37:38]
	v_fma_f64 v[33:34], v[12:13], v[54:55], v[33:34]
	v_fma_f64 v[43:44], -v[10:11], v[54:55], v[43:44]
	v_fma_f64 v[35:36], v[8:9], v[54:55], v[35:36]
	v_fma_f64 v[39:40], -v[6:7], v[54:55], v[39:40]
	v_fma_f64 v[41:42], v[4:5], v[54:55], v[41:42]
	v_fma_f64 v[52:53], -v[2:3], v[54:55], v[31:32]
	v_fma_f64 v[54:55], v[0:1], v[54:55], v[29:30]
	s_clause 0x3
	global_load_b128 v[0:3], v[27:28], off offset:2160
	global_load_b128 v[4:7], v[27:28], off offset:2144
	global_load_b128 v[8:11], v[27:28], off offset:2128
	global_load_b128 v[12:15], v[27:28], off offset:2112
	global_load_b128 v[29:32], v[132:133], off offset:16
	s_waitcnt vmcnt(20)
	v_fma_f64 v[37:38], v[68:69], v[72:73], v[37:38]
	v_fma_f64 v[33:34], v[70:71], v[72:73], v[33:34]
	v_fma_f64 v[43:44], v[64:65], v[72:73], v[43:44]
	v_fma_f64 v[35:36], v[66:67], v[72:73], v[35:36]
	v_fma_f64 v[39:40], v[60:61], v[72:73], v[39:40]
	v_fma_f64 v[41:42], v[62:63], v[72:73], v[41:42]
	v_fma_f64 v[52:53], v[56:57], v[72:73], v[52:53]
	v_fma_f64 v[54:55], v[58:59], v[72:73], v[54:55]
	v_fma_f64 v[70:71], -v[70:71], v[74:75], v[37:38]
	v_fma_f64 v[68:69], v[68:69], v[74:75], v[33:34]
	v_fma_f64 v[66:67], -v[66:67], v[74:75], v[43:44]
	v_fma_f64 v[64:65], v[64:65], v[74:75], v[35:36]
	v_fma_f64 v[62:63], -v[62:63], v[74:75], v[39:40]
	v_fma_f64 v[60:61], v[60:61], v[74:75], v[41:42]
	v_fma_f64 v[72:73], -v[58:59], v[74:75], v[52:53]
	v_fma_f64 v[74:75], v[56:57], v[74:75], v[54:55]
	s_clause 0x3
	global_load_b128 v[33:36], v[27:28], off offset:2224
	global_load_b128 v[37:40], v[27:28], off offset:2208
	global_load_b128 v[41:44], v[27:28], off offset:2192
	global_load_b128 v[52:55], v[27:28], off offset:2176
	global_load_b128 v[56:59], v[132:133], off offset:32
	;; [unrolled: 23-line block ×3, first 2 shown]
	v_add_co_u32 v27, s0, 0x2000, v27
	s_delay_alu instid0(VALU_DEP_1)
	v_add_co_ci_u32_e64 v28, s0, 0, v28, s0
	s_waitcnt vmcnt(20)
	v_fma_f64 v[132:133], v[108:109], v[112:113], v[90:91]
	v_fma_f64 v[134:135], v[110:111], v[112:113], v[88:89]
	;; [unrolled: 1-line block ×8, first 2 shown]
	s_clause 0x3
	global_load_b128 v[80:83], v[146:147], off offset:48
	global_load_b128 v[84:87], v[146:147], off offset:32
	global_load_b128 v[88:91], v[146:147], off
	global_load_b128 v[92:95], v[146:147], off offset:16
	v_fma_f64 v[110:111], -v[110:111], v[114:115], v[132:133]
	v_fma_f64 v[108:109], v[108:109], v[114:115], v[134:135]
	v_fma_f64 v[106:107], -v[106:107], v[114:115], v[136:137]
	v_fma_f64 v[104:105], v[104:105], v[114:115], v[138:139]
	;; [unrolled: 2-line block ×4, first 2 shown]
	v_lshlrev_b64 v[96:97], 4, v[148:149]
	v_lshlrev_b32_e32 v148, 2, v26
	s_delay_alu instid0(VALU_DEP_2) | instskip(NEXT) | instid1(VALU_DEP_3)
	v_add_co_u32 v134, vcc_lo, s4, v96
	v_add_co_ci_u32_e32 v135, vcc_lo, s5, v97, vcc_lo
	s_delay_alu instid0(VALU_DEP_3)
	v_ashrrev_i32_e32 v149, 31, v148
	global_load_b128 v[96:99], v[134:135], off
	s_waitcnt vmcnt(20)
	v_fma_f64 v[110:111], v[128:129], v[46:47], v[110:111]
	v_fma_f64 v[108:109], v[130:131], v[46:47], v[108:109]
	v_fma_f64 v[106:107], v[124:125], v[46:47], v[106:107]
	v_fma_f64 v[104:105], v[126:127], v[46:47], v[104:105]
	v_fma_f64 v[102:103], v[120:121], v[46:47], v[102:103]
	v_fma_f64 v[100:101], v[122:123], v[46:47], v[100:101]
	v_fma_f64 v[114:115], v[116:117], v[46:47], v[132:133]
	v_fma_f64 v[46:47], v[118:119], v[46:47], v[112:113]
	v_fma_f64 v[130:131], -v[130:131], v[48:49], v[110:111]
	v_fma_f64 v[128:129], v[128:129], v[48:49], v[108:109]
	v_fma_f64 v[126:127], -v[126:127], v[48:49], v[106:107]
	v_fma_f64 v[124:125], v[124:125], v[48:49], v[104:105]
	v_fma_f64 v[122:123], -v[122:123], v[48:49], v[102:103]
	v_fma_f64 v[120:121], v[120:121], v[48:49], v[100:101]
	v_fma_f64 v[118:119], -v[118:119], v[48:49], v[114:115]
	v_fma_f64 v[116:117], v[116:117], v[48:49], v[46:47]
	s_clause 0x3
	global_load_b128 v[46:49], v[146:147], off offset:112
	global_load_b128 v[100:103], v[146:147], off offset:96
	global_load_b128 v[104:107], v[146:147], off offset:80
	global_load_b128 v[108:111], v[146:147], off offset:64
	global_load_b128 v[112:115], v[134:135], off offset:16
	s_waitcnt vmcnt(20)
	v_fma_f64 v[130:131], v[12:13], v[29:30], v[130:131]
	v_fma_f64 v[128:129], v[14:15], v[29:30], v[128:129]
	v_fma_f64 v[126:127], v[8:9], v[29:30], v[126:127]
	v_fma_f64 v[124:125], v[10:11], v[29:30], v[124:125]
	v_fma_f64 v[122:123], v[4:5], v[29:30], v[122:123]
	v_fma_f64 v[120:121], v[6:7], v[29:30], v[120:121]
	v_fma_f64 v[118:119], v[0:1], v[29:30], v[118:119]
	v_fma_f64 v[29:30], v[2:3], v[29:30], v[116:117]
	v_fma_f64 v[116:117], -v[14:15], v[31:32], v[130:131]
	v_fma_f64 v[128:129], v[12:13], v[31:32], v[128:129]
	v_fma_f64 v[126:127], -v[10:11], v[31:32], v[126:127]
	v_fma_f64 v[124:125], v[8:9], v[31:32], v[124:125]
	v_fma_f64 v[122:123], -v[6:7], v[31:32], v[122:123]
	v_fma_f64 v[120:121], v[4:5], v[31:32], v[120:121]
	v_fma_f64 v[118:119], -v[2:3], v[31:32], v[118:119]
	v_fma_f64 v[130:131], v[0:1], v[31:32], v[29:30]
	s_clause 0x3
	global_load_b128 v[0:3], v[146:147], off offset:176
	global_load_b128 v[4:7], v[146:147], off offset:160
	global_load_b128 v[8:11], v[146:147], off offset:144
	global_load_b128 v[12:15], v[146:147], off offset:128
	global_load_b128 v[29:32], v[134:135], off offset:32
	;; [unrolled: 23-line block ×3, first 2 shown]
	s_waitcnt vmcnt(20)
	v_fma_f64 v[132:133], v[72:73], v[76:77], v[116:117]
	v_fma_f64 v[134:135], v[74:75], v[76:77], v[128:129]
	;; [unrolled: 1-line block ×8, first 2 shown]
	s_clause 0x3
	global_load_b128 v[116:119], v[146:147], off offset:2096
	global_load_b128 v[120:123], v[146:147], off offset:2080
	;; [unrolled: 1-line block ×4, first 2 shown]
	v_fma_f64 v[74:75], -v[74:75], v[78:79], v[132:133]
	v_fma_f64 v[72:73], v[72:73], v[78:79], v[134:135]
	v_fma_f64 v[70:71], -v[70:71], v[78:79], v[136:137]
	v_fma_f64 v[68:69], v[68:69], v[78:79], v[138:139]
	v_fma_f64 v[132:133], -v[66:67], v[78:79], v[140:141]
	v_fma_f64 v[134:135], v[64:65], v[78:79], v[142:143]
	v_fma_f64 v[136:137], -v[62:63], v[78:79], v[144:145]
	v_fma_f64 v[76:77], v[60:61], v[78:79], v[76:77]
	v_lshlrev_b64 v[60:61], 4, v[148:149]
	s_delay_alu instid0(VALU_DEP_1) | instskip(NEXT) | instid1(VALU_DEP_2)
	v_add_co_u32 v138, vcc_lo, s4, v60
	v_add_co_ci_u32_e32 v139, vcc_lo, s5, v61, vcc_lo
	s_clause 0x1
	global_load_b128 v[60:63], v[138:139], off
	global_load_b128 v[64:67], v[138:139], off offset:16
	v_cmp_ge_i32_e32 vcc_lo, v25, v51
	s_or_b32 s7, vcc_lo, s7
	s_waitcnt vmcnt(21)
	v_fma_f64 v[74:75], v[88:89], v[96:97], v[74:75]
	v_fma_f64 v[72:73], v[90:91], v[96:97], v[72:73]
	;; [unrolled: 1-line block ×8, first 2 shown]
	v_fma_f64 v[90:91], -v[90:91], v[98:99], v[74:75]
	v_fma_f64 v[88:89], v[88:89], v[98:99], v[72:73]
	v_fma_f64 v[94:95], -v[94:95], v[98:99], v[70:71]
	v_fma_f64 v[92:93], v[92:93], v[98:99], v[68:69]
	;; [unrolled: 2-line block ×4, first 2 shown]
	s_clause 0x3
	global_load_b128 v[68:71], v[146:147], off offset:2112
	global_load_b128 v[72:75], v[146:147], off offset:2128
	;; [unrolled: 1-line block ×4, first 2 shown]
	s_waitcnt vmcnt(20)
	v_fma_f64 v[90:91], v[108:109], v[112:113], v[90:91]
	v_fma_f64 v[88:89], v[110:111], v[112:113], v[88:89]
	;; [unrolled: 1-line block ×8, first 2 shown]
	v_fma_f64 v[110:111], -v[110:111], v[114:115], v[90:91]
	v_fma_f64 v[108:109], v[108:109], v[114:115], v[88:89]
	v_fma_f64 v[106:107], -v[106:107], v[114:115], v[94:95]
	v_fma_f64 v[104:105], v[104:105], v[114:115], v[92:93]
	;; [unrolled: 2-line block ×4, first 2 shown]
	s_clause 0x3
	global_load_b128 v[45:48], v[146:147], off offset:2224
	global_load_b128 v[84:87], v[146:147], off offset:2208
	;; [unrolled: 1-line block ×4, first 2 shown]
	s_clause 0x1
	global_load_b128 v[96:99], v[138:139], off offset:32
	global_load_b128 v[100:103], v[138:139], off offset:48
	s_waitcnt vmcnt(21)
	v_fma_f64 v[110:111], v[12:13], v[29:30], v[110:111]
	v_fma_f64 v[108:109], v[14:15], v[29:30], v[108:109]
	;; [unrolled: 1-line block ×8, first 2 shown]
	v_fma_f64 v[110:111], -v[14:15], v[31:32], v[110:111]
	v_fma_f64 v[108:109], v[12:13], v[31:32], v[108:109]
	v_fma_f64 v[106:107], -v[10:11], v[31:32], v[106:107]
	v_fma_f64 v[104:105], v[8:9], v[31:32], v[104:105]
	;; [unrolled: 2-line block ×4, first 2 shown]
	s_clause 0x3
	global_load_b128 v[0:3], v[146:147], off offset:2240
	global_load_b128 v[4:7], v[146:147], off offset:2256
	;; [unrolled: 1-line block ×4, first 2 shown]
	s_waitcnt vmcnt(20)
	v_fma_f64 v[31:32], v[52:53], v[56:57], v[110:111]
	v_fma_f64 v[108:109], v[54:55], v[56:57], v[108:109]
	;; [unrolled: 1-line block ×8, first 2 shown]
	v_fma_f64 v[31:32], -v[54:55], v[58:59], v[31:32]
	v_fma_f64 v[52:53], v[52:53], v[58:59], v[108:109]
	v_fma_f64 v[43:44], -v[43:44], v[58:59], v[106:107]
	v_fma_f64 v[41:42], v[41:42], v[58:59], v[104:105]
	;; [unrolled: 2-line block ×4, first 2 shown]
	s_waitcnt vmcnt(15)
	v_fma_f64 v[31:32], v[128:129], v[60:61], v[31:32]
	v_fma_f64 v[33:34], v[130:131], v[60:61], v[52:53]
	;; [unrolled: 1-line block ×8, first 2 shown]
	v_fma_f64 v[31:32], -v[130:131], v[62:63], v[31:32]
	v_fma_f64 v[33:34], v[128:129], v[62:63], v[33:34]
	v_fma_f64 v[43:44], -v[126:127], v[62:63], v[43:44]
	v_fma_f64 v[41:42], v[124:125], v[62:63], v[41:42]
	;; [unrolled: 2-line block ×4, first 2 shown]
	s_waitcnt vmcnt(13)
	v_fma_f64 v[31:32], v[68:69], v[64:65], v[31:32]
	v_fma_f64 v[33:34], v[70:71], v[64:65], v[33:34]
	s_waitcnt vmcnt(12)
	v_fma_f64 v[43:44], v[72:73], v[64:65], v[43:44]
	v_fma_f64 v[41:42], v[74:75], v[64:65], v[41:42]
	;; [unrolled: 3-line block ×4, first 2 shown]
	v_fma_f64 v[31:32], -v[70:71], v[66:67], v[31:32]
	v_fma_f64 v[33:34], v[68:69], v[66:67], v[33:34]
	v_fma_f64 v[43:44], -v[74:75], v[66:67], v[43:44]
	v_fma_f64 v[41:42], v[72:73], v[66:67], v[41:42]
	;; [unrolled: 2-line block ×4, first 2 shown]
	s_waitcnt vmcnt(5)
	v_fma_f64 v[31:32], v[92:93], v[96:97], v[31:32]
	v_fma_f64 v[33:34], v[94:95], v[96:97], v[33:34]
	;; [unrolled: 1-line block ×8, first 2 shown]
	v_fma_f64 v[31:32], -v[94:95], v[98:99], v[31:32]
	v_fma_f64 v[33:34], v[92:93], v[98:99], v[33:34]
	v_fma_f64 v[43:44], -v[90:91], v[98:99], v[43:44]
	v_fma_f64 v[41:42], v[88:89], v[98:99], v[41:42]
	;; [unrolled: 2-line block ×4, first 2 shown]
	s_waitcnt vmcnt(3)
	v_fma_f64 v[31:32], v[0:1], v[100:101], v[31:32]
	v_fma_f64 v[33:34], v[2:3], v[100:101], v[33:34]
	s_waitcnt vmcnt(2)
	v_fma_f64 v[43:44], v[4:5], v[100:101], v[43:44]
	v_fma_f64 v[41:42], v[6:7], v[100:101], v[41:42]
	;; [unrolled: 3-line block ×4, first 2 shown]
	v_fma_f64 v[37:38], -v[2:3], v[102:103], v[31:32]
	v_fma_f64 v[33:34], v[0:1], v[102:103], v[33:34]
	v_fma_f64 v[43:44], -v[6:7], v[102:103], v[43:44]
	v_fma_f64 v[35:36], v[4:5], v[102:103], v[41:42]
	;; [unrolled: 2-line block ×4, first 2 shown]
	s_and_not1_b32 exec_lo, exec_lo, s7
	s_cbranch_execnz .LBB16_35
; %bb.36:
	s_or_b32 exec_lo, exec_lo, s7
.LBB16_37:
	s_delay_alu instid0(SALU_CYCLE_1)
	s_or_b32 exec_lo, exec_lo, s6
.LBB16_38:
	s_delay_alu instid0(SALU_CYCLE_1)
	s_or_b32 exec_lo, exec_lo, s1
.LBB16_39:
	v_mbcnt_lo_u32_b32 v45, -1, 0
	s_delay_alu instid0(VALU_DEP_1) | instskip(NEXT) | instid1(VALU_DEP_1)
	v_xor_b32_e32 v0, 4, v45
	v_cmp_gt_i32_e32 vcc_lo, 32, v0
	v_cndmask_b32_e32 v0, v45, v0, vcc_lo
	s_delay_alu instid0(VALU_DEP_1)
	v_lshlrev_b32_e32 v15, 2, v0
	ds_bpermute_b32 v0, v15, v37
	ds_bpermute_b32 v1, v15, v38
	;; [unrolled: 1-line block ×16, first 2 shown]
	s_waitcnt lgkmcnt(0)
	v_add_f64 v[0:1], v[37:38], v[0:1]
	v_add_f64 v[2:3], v[33:34], v[2:3]
	;; [unrolled: 1-line block ×8, first 2 shown]
	v_xor_b32_e32 v14, 2, v45
	s_delay_alu instid0(VALU_DEP_1) | instskip(SKIP_1) | instid1(VALU_DEP_1)
	v_cmp_gt_i32_e32 vcc_lo, 32, v14
	v_cndmask_b32_e32 v14, v45, v14, vcc_lo
	v_lshlrev_b32_e32 v40, 2, v14
	ds_bpermute_b32 v14, v40, v0
	ds_bpermute_b32 v15, v40, v1
	ds_bpermute_b32 v27, v40, v2
	ds_bpermute_b32 v28, v40, v3
	ds_bpermute_b32 v29, v40, v4
	ds_bpermute_b32 v30, v40, v5
	ds_bpermute_b32 v31, v40, v6
	ds_bpermute_b32 v32, v40, v7
	ds_bpermute_b32 v33, v40, v8
	ds_bpermute_b32 v34, v40, v9
	ds_bpermute_b32 v35, v40, v10
	ds_bpermute_b32 v36, v40, v11
	ds_bpermute_b32 v37, v40, v12
	ds_bpermute_b32 v38, v40, v13
	ds_bpermute_b32 v39, v40, v25
	ds_bpermute_b32 v40, v40, v26
	s_waitcnt lgkmcnt(14)
	v_add_f64 v[0:1], v[0:1], v[14:15]
	s_waitcnt lgkmcnt(12)
	v_add_f64 v[27:28], v[2:3], v[27:28]
	;; [unrolled: 2-line block ×7, first 2 shown]
	v_xor_b32_e32 v12, 1, v45
	s_waitcnt lgkmcnt(0)
	v_add_f64 v[8:9], v[25:26], v[39:40]
	s_delay_alu instid0(VALU_DEP_2) | instskip(SKIP_2) | instid1(VALU_DEP_2)
	v_cmp_gt_i32_e32 vcc_lo, 32, v12
	v_cndmask_b32_e32 v12, v45, v12, vcc_lo
	v_cmp_eq_u32_e32 vcc_lo, 7, v50
	v_lshlrev_b32_e32 v34, 2, v12
	ds_bpermute_b32 v12, v34, v0
	ds_bpermute_b32 v13, v34, v1
	;; [unrolled: 1-line block ×16, first 2 shown]
	s_and_b32 exec_lo, exec_lo, vcc_lo
	s_cbranch_execz .LBB16_12
; %bb.40:
	s_waitcnt lgkmcnt(12)
	v_add_f64 v[27:28], v[27:28], v[39:40]
	s_waitcnt lgkmcnt(8)
	v_add_f64 v[14:15], v[14:15], v[37:38]
	;; [unrolled: 2-line block ×4, first 2 shown]
	v_add_f64 v[0:1], v[0:1], v[12:13]
	v_add_f64 v[2:3], v[2:3], v[25:26]
	;; [unrolled: 1-line block ×4, first 2 shown]
	v_cmp_eq_f64_e32 vcc_lo, 0, v[16:17]
	v_cmp_eq_f64_e64 s0, 0, v[18:19]
	s_load_b64 s[2:3], s[2:3], 0x60
	v_mul_f64 v[4:5], v[27:28], -v[22:23]
	v_mul_f64 v[6:7], v[20:21], v[27:28]
	v_mul_f64 v[27:28], v[14:15], -v[22:23]
	v_mul_f64 v[31:32], v[20:21], v[14:15]
	;; [unrolled: 2-line block ×4, first 2 shown]
	s_and_b32 s0, vcc_lo, s0
	v_fma_f64 v[12:13], v[20:21], v[0:1], v[4:5]
	v_fma_f64 v[14:15], v[22:23], v[0:1], v[6:7]
	v_fma_f64 v[8:9], v[20:21], v[2:3], v[27:28]
	v_fma_f64 v[10:11], v[22:23], v[2:3], v[31:32]
	v_fma_f64 v[4:5], v[20:21], v[25:26], v[33:34]
	v_fma_f64 v[6:7], v[22:23], v[25:26], v[35:36]
	v_fma_f64 v[0:1], v[20:21], v[29:30], v[37:38]
	v_fma_f64 v[2:3], v[22:23], v[29:30], v[39:40]
	v_lshlrev_b32_e32 v20, 2, v24
	s_and_saveexec_b32 s1, s0
	s_delay_alu instid0(SALU_CYCLE_1)
	s_xor_b32 s0, exec_lo, s1
	s_cbranch_execz .LBB16_42
; %bb.41:
	s_delay_alu instid0(VALU_DEP_1) | instskip(NEXT) | instid1(VALU_DEP_1)
	v_ashrrev_i32_e32 v21, 31, v20
                                        ; implicit-def: $vgpr18_vgpr19
	v_lshlrev_b64 v[16:17], 4, v[20:21]
                                        ; implicit-def: $vgpr20
	s_waitcnt lgkmcnt(0)
	s_delay_alu instid0(VALU_DEP_1) | instskip(NEXT) | instid1(VALU_DEP_2)
	v_add_co_u32 v16, vcc_lo, s2, v16
	v_add_co_ci_u32_e32 v17, vcc_lo, s3, v17, vcc_lo
	s_clause 0x3
	global_store_b128 v[16:17], v[12:15], off
	global_store_b128 v[16:17], v[8:11], off offset:16
	global_store_b128 v[16:17], v[4:7], off offset:32
	;; [unrolled: 1-line block ×3, first 2 shown]
                                        ; implicit-def: $vgpr16_vgpr17
                                        ; implicit-def: $vgpr12_vgpr13
                                        ; implicit-def: $vgpr8_vgpr9
                                        ; implicit-def: $vgpr4_vgpr5
                                        ; implicit-def: $vgpr0_vgpr1
.LBB16_42:
	s_and_not1_saveexec_b32 s0, s0
	s_cbranch_execz .LBB16_12
; %bb.43:
	v_ashrrev_i32_e32 v21, 31, v20
	s_delay_alu instid0(VALU_DEP_1) | instskip(SKIP_1) | instid1(VALU_DEP_1)
	v_lshlrev_b64 v[20:21], 4, v[20:21]
	s_waitcnt lgkmcnt(0)
	v_add_co_u32 v36, vcc_lo, s2, v20
	s_delay_alu instid0(VALU_DEP_2)
	v_add_co_ci_u32_e32 v37, vcc_lo, s3, v21, vcc_lo
	s_clause 0x3
	global_load_b128 v[20:23], v[36:37], off
	global_load_b128 v[24:27], v[36:37], off offset:16
	global_load_b128 v[28:31], v[36:37], off offset:32
	;; [unrolled: 1-line block ×3, first 2 shown]
	s_waitcnt vmcnt(3)
	v_fma_f64 v[12:13], v[16:17], v[20:21], v[12:13]
	v_fma_f64 v[14:15], v[18:19], v[20:21], v[14:15]
	s_waitcnt vmcnt(2)
	v_fma_f64 v[8:9], v[16:17], v[24:25], v[8:9]
	v_fma_f64 v[10:11], v[18:19], v[24:25], v[10:11]
	;; [unrolled: 3-line block ×4, first 2 shown]
	v_fma_f64 v[0:1], -v[18:19], v[22:23], v[12:13]
	v_fma_f64 v[2:3], v[16:17], v[22:23], v[14:15]
	v_fma_f64 v[4:5], -v[18:19], v[26:27], v[8:9]
	v_fma_f64 v[6:7], v[16:17], v[26:27], v[10:11]
	v_fma_f64 v[8:9], -v[18:19], v[30:31], v[20:21]
	v_fma_f64 v[10:11], v[16:17], v[30:31], v[24:25]
	v_fma_f64 v[12:13], -v[18:19], v[34:35], v[28:29]
	v_fma_f64 v[14:15], v[16:17], v[34:35], v[32:33]
	s_clause 0x3
	global_store_b128 v[36:37], v[0:3], off
	global_store_b128 v[36:37], v[4:7], off offset:16
	global_store_b128 v[36:37], v[8:11], off offset:32
	;; [unrolled: 1-line block ×3, first 2 shown]
	s_nop 0
	s_sendmsg sendmsg(MSG_DEALLOC_VGPRS)
	s_endpgm
	.section	.rodata,"a",@progbits
	.p2align	6, 0x0
	.amdhsa_kernel _ZN9rocsparseL18bsrxmvn_4x4_kernelILj128ELj8E21rocsparse_complex_numIdEiiS2_S2_S2_EEvT3_20rocsparse_direction_NS_24const_host_device_scalarIT1_EES3_PKS3_PKT2_SC_S9_PKT4_PKT5_S7_PT6_21rocsparse_index_base_b
		.amdhsa_group_segment_fixed_size 2048
		.amdhsa_private_segment_fixed_size 0
		.amdhsa_kernarg_size 112
		.amdhsa_user_sgpr_count 15
		.amdhsa_user_sgpr_dispatch_ptr 1
		.amdhsa_user_sgpr_queue_ptr 0
		.amdhsa_user_sgpr_kernarg_segment_ptr 1
		.amdhsa_user_sgpr_dispatch_id 0
		.amdhsa_user_sgpr_private_segment_size 0
		.amdhsa_wavefront_size32 1
		.amdhsa_uses_dynamic_stack 0
		.amdhsa_enable_private_segment 0
		.amdhsa_system_sgpr_workgroup_id_x 1
		.amdhsa_system_sgpr_workgroup_id_y 0
		.amdhsa_system_sgpr_workgroup_id_z 0
		.amdhsa_system_sgpr_workgroup_info 0
		.amdhsa_system_vgpr_workitem_id 2
		.amdhsa_next_free_vgpr 154
		.amdhsa_next_free_sgpr 18
		.amdhsa_reserve_vcc 1
		.amdhsa_float_round_mode_32 0
		.amdhsa_float_round_mode_16_64 0
		.amdhsa_float_denorm_mode_32 3
		.amdhsa_float_denorm_mode_16_64 3
		.amdhsa_dx10_clamp 1
		.amdhsa_ieee_mode 1
		.amdhsa_fp16_overflow 0
		.amdhsa_workgroup_processor_mode 1
		.amdhsa_memory_ordered 1
		.amdhsa_forward_progress 0
		.amdhsa_shared_vgpr_count 0
		.amdhsa_exception_fp_ieee_invalid_op 0
		.amdhsa_exception_fp_denorm_src 0
		.amdhsa_exception_fp_ieee_div_zero 0
		.amdhsa_exception_fp_ieee_overflow 0
		.amdhsa_exception_fp_ieee_underflow 0
		.amdhsa_exception_fp_ieee_inexact 0
		.amdhsa_exception_int_div_zero 0
	.end_amdhsa_kernel
	.section	.text._ZN9rocsparseL18bsrxmvn_4x4_kernelILj128ELj8E21rocsparse_complex_numIdEiiS2_S2_S2_EEvT3_20rocsparse_direction_NS_24const_host_device_scalarIT1_EES3_PKS3_PKT2_SC_S9_PKT4_PKT5_S7_PT6_21rocsparse_index_base_b,"axG",@progbits,_ZN9rocsparseL18bsrxmvn_4x4_kernelILj128ELj8E21rocsparse_complex_numIdEiiS2_S2_S2_EEvT3_20rocsparse_direction_NS_24const_host_device_scalarIT1_EES3_PKS3_PKT2_SC_S9_PKT4_PKT5_S7_PT6_21rocsparse_index_base_b,comdat
.Lfunc_end16:
	.size	_ZN9rocsparseL18bsrxmvn_4x4_kernelILj128ELj8E21rocsparse_complex_numIdEiiS2_S2_S2_EEvT3_20rocsparse_direction_NS_24const_host_device_scalarIT1_EES3_PKS3_PKT2_SC_S9_PKT4_PKT5_S7_PT6_21rocsparse_index_base_b, .Lfunc_end16-_ZN9rocsparseL18bsrxmvn_4x4_kernelILj128ELj8E21rocsparse_complex_numIdEiiS2_S2_S2_EEvT3_20rocsparse_direction_NS_24const_host_device_scalarIT1_EES3_PKS3_PKT2_SC_S9_PKT4_PKT5_S7_PT6_21rocsparse_index_base_b
                                        ; -- End function
	.section	.AMDGPU.csdata,"",@progbits
; Kernel info:
; codeLenInByte = 10684
; NumSgprs: 20
; NumVgprs: 154
; ScratchSize: 0
; MemoryBound: 1
; FloatMode: 240
; IeeeMode: 1
; LDSByteSize: 2048 bytes/workgroup (compile time only)
; SGPRBlocks: 2
; VGPRBlocks: 19
; NumSGPRsForWavesPerEU: 20
; NumVGPRsForWavesPerEU: 154
; Occupancy: 9
; WaveLimiterHint : 1
; COMPUTE_PGM_RSRC2:SCRATCH_EN: 0
; COMPUTE_PGM_RSRC2:USER_SGPR: 15
; COMPUTE_PGM_RSRC2:TRAP_HANDLER: 0
; COMPUTE_PGM_RSRC2:TGID_X_EN: 1
; COMPUTE_PGM_RSRC2:TGID_Y_EN: 0
; COMPUTE_PGM_RSRC2:TGID_Z_EN: 0
; COMPUTE_PGM_RSRC2:TIDIG_COMP_CNT: 2
	.section	.text._ZN9rocsparseL18bsrxmvn_4x4_kernelILj128ELj16E21rocsparse_complex_numIdEiiS2_S2_S2_EEvT3_20rocsparse_direction_NS_24const_host_device_scalarIT1_EES3_PKS3_PKT2_SC_S9_PKT4_PKT5_S7_PT6_21rocsparse_index_base_b,"axG",@progbits,_ZN9rocsparseL18bsrxmvn_4x4_kernelILj128ELj16E21rocsparse_complex_numIdEiiS2_S2_S2_EEvT3_20rocsparse_direction_NS_24const_host_device_scalarIT1_EES3_PKS3_PKT2_SC_S9_PKT4_PKT5_S7_PT6_21rocsparse_index_base_b,comdat
	.globl	_ZN9rocsparseL18bsrxmvn_4x4_kernelILj128ELj16E21rocsparse_complex_numIdEiiS2_S2_S2_EEvT3_20rocsparse_direction_NS_24const_host_device_scalarIT1_EES3_PKS3_PKT2_SC_S9_PKT4_PKT5_S7_PT6_21rocsparse_index_base_b ; -- Begin function _ZN9rocsparseL18bsrxmvn_4x4_kernelILj128ELj16E21rocsparse_complex_numIdEiiS2_S2_S2_EEvT3_20rocsparse_direction_NS_24const_host_device_scalarIT1_EES3_PKS3_PKT2_SC_S9_PKT4_PKT5_S7_PT6_21rocsparse_index_base_b
	.p2align	8
	.type	_ZN9rocsparseL18bsrxmvn_4x4_kernelILj128ELj16E21rocsparse_complex_numIdEiiS2_S2_S2_EEvT3_20rocsparse_direction_NS_24const_host_device_scalarIT1_EES3_PKS3_PKT2_SC_S9_PKT4_PKT5_S7_PT6_21rocsparse_index_base_b,@function
_ZN9rocsparseL18bsrxmvn_4x4_kernelILj128ELj16E21rocsparse_complex_numIdEiiS2_S2_S2_EEvT3_20rocsparse_direction_NS_24const_host_device_scalarIT1_EES3_PKS3_PKT2_SC_S9_PKT4_PKT5_S7_PT6_21rocsparse_index_base_b: ; @_ZN9rocsparseL18bsrxmvn_4x4_kernelILj128ELj16E21rocsparse_complex_numIdEiiS2_S2_S2_EEvT3_20rocsparse_direction_NS_24const_host_device_scalarIT1_EES3_PKS3_PKT2_SC_S9_PKT4_PKT5_S7_PT6_21rocsparse_index_base_b
; %bb.0:
	s_load_b64 s[12:13], s[2:3], 0x68
	s_load_b64 s[16:17], s[0:1], 0x4
	s_load_b128 s[8:11], s[2:3], 0x8
	v_bfe_u32 v1, v0, 10, 10
	s_mov_b64 s[0:1], src_shared_base
	s_load_b128 s[4:7], s[2:3], 0x50
	v_and_b32_e32 v4, 0x3ff, v0
	v_bfe_u32 v0, v0, 20, 10
	s_waitcnt lgkmcnt(0)
	s_bitcmp1_b32 s13, 0
	v_mul_u32_u24_e32 v1, s17, v1
	s_cselect_b32 s0, -1, 0
	s_delay_alu instid0(SALU_CYCLE_1)
	s_and_b32 vcc_lo, s0, exec_lo
	s_cselect_b32 s13, s1, s9
	s_lshr_b32 s14, s16, 16
	v_mov_b32_e32 v2, s4
	s_mul_i32 s14, s14, s17
	v_mov_b32_e32 v7, s13
	v_mad_u32_u24 v1, s14, v4, v1
	v_mov_b32_e32 v3, s5
	s_delay_alu instid0(VALU_DEP_2) | instskip(SKIP_1) | instid1(VALU_DEP_2)
	v_add_lshl_u32 v5, v1, v0, 3
	v_dual_mov_b32 v0, s8 :: v_dual_mov_b32 v1, s9
	v_add_nc_u32_e32 v6, 0x400, v5
	ds_store_2addr_stride64_b64 v5, v[2:3], v[0:1] offset1:2
	v_dual_mov_b32 v2, s10 :: v_dual_mov_b32 v3, s11
	v_cndmask_b32_e64 v6, s8, v6, s0
	s_xor_b32 s10, s0, -1
	flat_load_b64 v[0:1], v[6:7]
	s_cbranch_vccnz .LBB17_2
; %bb.1:
	v_dual_mov_b32 v2, s8 :: v_dual_mov_b32 v3, s9
	flat_load_b64 v[2:3], v[2:3] offset:8
.LBB17_2:
	s_and_b32 s8, s0, exec_lo
	s_cselect_b32 s1, s1, s5
	v_cndmask_b32_e64 v5, s4, v5, s0
	v_dual_mov_b32 v6, s1 :: v_dual_mov_b32 v19, s7
	v_mov_b32_e32 v18, s6
	s_and_not1_b32 vcc_lo, exec_lo, s10
	flat_load_b64 v[16:17], v[5:6]
	s_cbranch_vccnz .LBB17_4
; %bb.3:
	v_dual_mov_b32 v6, s5 :: v_dual_mov_b32 v5, s4
	flat_load_b64 v[18:19], v[5:6] offset:8
.LBB17_4:
	s_waitcnt vmcnt(1) lgkmcnt(1)
	v_cmp_eq_f64_e32 vcc_lo, 0, v[0:1]
	v_cmp_eq_f64_e64 s0, 0, v[2:3]
	s_delay_alu instid0(VALU_DEP_1)
	s_and_b32 s4, vcc_lo, s0
	s_mov_b32 s0, -1
	s_and_saveexec_b32 s1, s4
	s_cbranch_execz .LBB17_6
; %bb.5:
	s_waitcnt vmcnt(0) lgkmcnt(0)
	v_cmp_neq_f64_e32 vcc_lo, 1.0, v[16:17]
	v_cmp_neq_f64_e64 s0, 0, v[18:19]
	s_delay_alu instid0(VALU_DEP_1) | instskip(NEXT) | instid1(SALU_CYCLE_1)
	s_or_b32 s0, vcc_lo, s0
	s_or_not1_b32 s0, s0, exec_lo
.LBB17_6:
	s_or_b32 exec_lo, exec_lo, s1
	s_and_saveexec_b32 s1, s0
	s_cbranch_execz .LBB17_12
; %bb.7:
	s_clause 0x1
	s_load_b64 s[4:5], s[2:3], 0x20
	s_load_b64 s[0:1], s[2:3], 0x0
	v_lshrrev_b32_e32 v5, 4, v4
	s_delay_alu instid0(VALU_DEP_1)
	v_lshl_or_b32 v20, s15, 3, v5
	s_waitcnt lgkmcnt(0)
	s_cmp_lg_u64 s[4:5], 0
	s_cbranch_scc0 .LBB17_13
; %bb.8:
	s_load_b32 s6, s[2:3], 0x18
	s_mov_b32 s7, 0
                                        ; implicit-def: $vgpr5
	s_waitcnt lgkmcnt(0)
	v_cmp_gt_i32_e32 vcc_lo, s6, v20
	s_mov_b32 s6, 0
	s_and_saveexec_b32 s8, vcc_lo
	s_delay_alu instid0(SALU_CYCLE_1)
	s_xor_b32 s8, exec_lo, s8
	s_cbranch_execz .LBB17_10
; %bb.9:
	v_ashrrev_i32_e32 v21, 31, v20
	s_mov_b32 s6, exec_lo
	s_delay_alu instid0(VALU_DEP_1) | instskip(NEXT) | instid1(VALU_DEP_1)
	v_lshlrev_b64 v[5:6], 2, v[20:21]
	v_add_co_u32 v5, vcc_lo, s4, v5
	s_delay_alu instid0(VALU_DEP_2)
	v_add_co_ci_u32_e32 v6, vcc_lo, s5, v6, vcc_lo
	global_load_b32 v5, v[5:6], off
	s_waitcnt vmcnt(0)
	v_subrev_nc_u32_e32 v5, s12, v5
.LBB17_10:
	s_or_b32 exec_lo, exec_lo, s8
	s_delay_alu instid0(SALU_CYCLE_1)
	s_and_b32 vcc_lo, exec_lo, s7
	s_cbranch_vccz .LBB17_14
.LBB17_11:
	v_cmp_gt_i32_e32 vcc_lo, s0, v20
	s_and_not1_b32 s0, s6, exec_lo
	s_and_b32 s4, vcc_lo, exec_lo
	s_delay_alu instid0(SALU_CYCLE_1) | instskip(NEXT) | instid1(SALU_CYCLE_1)
	s_or_b32 s6, s0, s4
	s_and_b32 exec_lo, exec_lo, s6
	s_cbranch_execnz .LBB17_15
.LBB17_12:
	s_nop 0
	s_sendmsg sendmsg(MSG_DEALLOC_VGPRS)
	s_endpgm
.LBB17_13:
	s_mov_b32 s6, 0
                                        ; implicit-def: $vgpr5
	s_cbranch_execnz .LBB17_11
.LBB17_14:
	s_delay_alu instid0(VALU_DEP_1)
	v_mov_b32_e32 v20, v5
	s_and_b32 exec_lo, exec_lo, s6
	s_cbranch_execz .LBB17_12
.LBB17_15:
	s_load_b256 s[4:11], s[2:3], 0x28
	s_delay_alu instid0(VALU_DEP_1) | instskip(SKIP_1) | instid1(VALU_DEP_2)
	v_ashrrev_i32_e32 v21, 31, v20
	v_and_b32_e32 v41, 15, v4
	v_lshlrev_b64 v[5:6], 2, v[20:21]
	s_waitcnt lgkmcnt(0)
	s_delay_alu instid0(VALU_DEP_1) | instskip(NEXT) | instid1(VALU_DEP_2)
	v_add_co_u32 v7, vcc_lo, s4, v5
	v_add_co_ci_u32_e32 v8, vcc_lo, s5, v6, vcc_lo
	v_add_co_u32 v5, vcc_lo, s6, v5
	v_add_co_ci_u32_e32 v6, vcc_lo, s7, v6, vcc_lo
	global_load_b32 v34, v[7:8], off
	v_add_co_u32 v7, vcc_lo, v7, 4
	v_add_co_ci_u32_e32 v8, vcc_lo, 0, v8, vcc_lo
	s_cmp_eq_u64 s[6:7], 0
	s_load_b64 s[4:5], s[2:3], 0x48
	s_cselect_b32 vcc_lo, -1, 0
	s_cmp_eq_u32 s1, 1
	v_dual_cndmask_b32 v6, v6, v8 :: v_dual_cndmask_b32 v5, v5, v7
	global_load_b32 v8, v[5:6], off
	s_waitcnt vmcnt(1)
	v_subrev_nc_u32_e32 v4, s12, v34
	s_delay_alu instid0(VALU_DEP_1) | instskip(NEXT) | instid1(VALU_DEP_1)
	v_add_nc_u32_e32 v4, v4, v41
	v_ashrrev_i32_e32 v5, 31, v4
	s_waitcnt vmcnt(0)
	v_subrev_nc_u32_e32 v33, s12, v8
	s_delay_alu instid0(VALU_DEP_2) | instskip(NEXT) | instid1(VALU_DEP_2)
	v_lshlrev_b64 v[6:7], 8, v[4:5]
	v_cmp_lt_i32_e64 s0, v4, v33
	s_delay_alu instid0(VALU_DEP_2) | instskip(NEXT) | instid1(VALU_DEP_3)
	v_add_co_u32 v6, vcc_lo, s10, v6
	v_add_co_ci_u32_e32 v7, vcc_lo, s11, v7, vcc_lo
	s_cbranch_scc1 .LBB17_27
; %bb.16:
	v_mov_b32_e32 v12, 0
	v_mov_b32_e32 v13, 0
	s_delay_alu instid0(VALU_DEP_2) | instskip(NEXT) | instid1(VALU_DEP_2)
	v_mov_b32_e32 v10, v12
	v_dual_mov_b32 v8, v12 :: v_dual_mov_b32 v9, v13
	v_dual_mov_b32 v22, v13 :: v_dual_mov_b32 v21, v12
	v_mov_b32_e32 v11, v13
	v_dual_mov_b32 v24, v13 :: v_dual_mov_b32 v23, v12
	v_dual_mov_b32 v26, v13 :: v_dual_mov_b32 v25, v12
	;; [unrolled: 1-line block ×4, first 2 shown]
	s_and_saveexec_b32 s6, s0
	s_cbranch_execz .LBB17_26
; %bb.17:
	v_dual_mov_b32 v14, 0 :: v_dual_add_nc_u32 v5, v34, v41
	v_not_b32_e32 v8, v34
	v_mov_b32_e32 v31, v4
	s_mov_b32 s10, 0
	s_delay_alu instid0(VALU_DEP_3) | instskip(SKIP_1) | instid1(VALU_DEP_1)
	v_subrev_nc_u32_e32 v5, s12, v5
	s_mov_b32 s7, exec_lo
	v_dual_mov_b32 v30, v7 :: v_dual_add_nc_u32 v5, 16, v5
	s_delay_alu instid0(VALU_DEP_1) | instskip(NEXT) | instid1(VALU_DEP_1)
	v_max_i32_e32 v5, v5, v33
	v_add3_u32 v5, v5, s12, v8
	s_delay_alu instid0(VALU_DEP_1) | instskip(NEXT) | instid1(VALU_DEP_1)
	v_sub_nc_u32_e32 v5, v5, v41
	v_lshrrev_b32_e32 v8, 4, v5
	s_delay_alu instid0(VALU_DEP_1) | instskip(NEXT) | instid1(VALU_DEP_1)
	v_dual_mov_b32 v15, 0 :: v_dual_add_nc_u32 v8, 1, v8
	v_dual_mov_b32 v29, v6 :: v_dual_mov_b32 v28, v15
	v_dual_mov_b32 v27, v14 :: v_dual_mov_b32 v26, v15
	;; [unrolled: 1-line block ×3, first 2 shown]
	s_delay_alu instid0(VALU_DEP_4)
	v_dual_mov_b32 v23, v14 :: v_dual_and_b32 v32, 3, v8
	v_dual_mov_b32 v8, v14 :: v_dual_mov_b32 v9, v15
	v_dual_mov_b32 v10, v14 :: v_dual_mov_b32 v11, v15
	;; [unrolled: 1-line block ×4, first 2 shown]
	v_cmpx_ne_u32_e32 0, v32
	s_cbranch_execz .LBB17_21
; %bb.18:
	v_dual_mov_b32 v12, 0 :: v_dual_lshlrev_b32 v35, 8, v32
	v_dual_mov_b32 v13, 0 :: v_dual_mov_b32 v30, v7
	v_mov_b32_e32 v31, v4
	s_delay_alu instid0(VALU_DEP_3) | instskip(NEXT) | instid1(VALU_DEP_3)
	v_dual_mov_b32 v29, v6 :: v_dual_mov_b32 v10, v12
	v_dual_mov_b32 v22, v13 :: v_dual_mov_b32 v21, v12
	;; [unrolled: 1-line block ×3, first 2 shown]
	v_mov_b32_e32 v26, v13
	v_dual_mov_b32 v11, v13 :: v_dual_mov_b32 v8, v12
	v_dual_mov_b32 v25, v12 :: v_dual_mov_b32 v28, v13
	v_mov_b32_e32 v15, v13
	v_dual_mov_b32 v9, v13 :: v_dual_mov_b32 v14, v12
	v_mov_b32_e32 v27, v12
.LBB17_19:                              ; =>This Inner Loop Header: Depth=1
	v_ashrrev_i32_e32 v32, 31, v31
	v_add_nc_u32_e32 v35, 0xffffff00, v35
	s_delay_alu instid0(VALU_DEP_2) | instskip(NEXT) | instid1(VALU_DEP_2)
	v_lshlrev_b64 v[36:37], 2, v[31:32]
	v_cmp_eq_u32_e64 s1, 0, v35
	v_add_nc_u32_e32 v31, 16, v31
	s_delay_alu instid0(VALU_DEP_2) | instskip(NEXT) | instid1(VALU_DEP_3)
	s_or_b32 s10, s1, s10
	v_add_co_u32 v36, vcc_lo, s8, v36
	s_delay_alu instid0(VALU_DEP_4)
	v_add_co_ci_u32_e32 v37, vcc_lo, s9, v37, vcc_lo
	global_load_b32 v32, v[36:37], off
	s_clause 0x7
	global_load_b128 v[36:39], v[29:30], off offset:16
	global_load_b128 v[42:45], v[29:30], off
	global_load_b128 v[46:49], v[29:30], off offset:80
	global_load_b128 v[50:53], v[29:30], off offset:64
	;; [unrolled: 1-line block ×6, first 2 shown]
	s_waitcnt vmcnt(8)
	v_subrev_nc_u32_e32 v32, s12, v32
	s_delay_alu instid0(VALU_DEP_1) | instskip(NEXT) | instid1(VALU_DEP_1)
	v_lshlrev_b32_e32 v70, 2, v32
	v_ashrrev_i32_e32 v71, 31, v70
	s_delay_alu instid0(VALU_DEP_1) | instskip(SKIP_1) | instid1(VALU_DEP_1)
	v_lshlrev_b64 v[70:71], 4, v[70:71]
	s_waitcnt lgkmcnt(0)
	v_add_co_u32 v114, vcc_lo, s4, v70
	s_delay_alu instid0(VALU_DEP_2)
	v_add_co_ci_u32_e32 v115, vcc_lo, s5, v71, vcc_lo
	s_clause 0x1
	global_load_b128 v[70:73], v[114:115], off
	global_load_b128 v[74:77], v[114:115], off offset:16
	s_clause 0x7
	global_load_b128 v[78:81], v[29:30], off offset:48
	global_load_b128 v[82:85], v[29:30], off offset:32
	;; [unrolled: 1-line block ×8, first 2 shown]
	s_clause 0x1
	global_load_b128 v[110:113], v[114:115], off offset:32
	global_load_b128 v[114:117], v[114:115], off offset:48
	v_add_co_u32 v29, vcc_lo, 0x1000, v29
	v_add_co_ci_u32_e32 v30, vcc_lo, 0, v30, vcc_lo
	s_waitcnt vmcnt(11)
	v_fma_f64 v[21:22], v[42:43], v[70:71], v[21:22]
	v_fma_f64 v[12:13], v[44:45], v[70:71], v[12:13]
	v_fma_f64 v[27:28], v[50:51], v[70:71], v[27:28]
	v_fma_f64 v[14:15], v[52:53], v[70:71], v[14:15]
	v_fma_f64 v[23:24], v[58:59], v[70:71], v[23:24]
	v_fma_f64 v[25:26], v[60:61], v[70:71], v[25:26]
	v_fma_f64 v[10:11], v[66:67], v[70:71], v[10:11]
	v_fma_f64 v[8:9], v[68:69], v[70:71], v[8:9]
	v_fma_f64 v[21:22], -v[44:45], v[72:73], v[21:22]
	v_fma_f64 v[12:13], v[42:43], v[72:73], v[12:13]
	v_fma_f64 v[27:28], -v[52:53], v[72:73], v[27:28]
	v_fma_f64 v[14:15], v[50:51], v[72:73], v[14:15]
	v_fma_f64 v[23:24], -v[60:61], v[72:73], v[23:24]
	v_fma_f64 v[25:26], v[58:59], v[72:73], v[25:26]
	v_fma_f64 v[10:11], -v[68:69], v[72:73], v[10:11]
	v_fma_f64 v[8:9], v[66:67], v[72:73], v[8:9]
	s_waitcnt vmcnt(10)
	v_fma_f64 v[21:22], v[36:37], v[74:75], v[21:22]
	v_fma_f64 v[12:13], v[38:39], v[74:75], v[12:13]
	v_fma_f64 v[27:28], v[46:47], v[74:75], v[27:28]
	v_fma_f64 v[14:15], v[48:49], v[74:75], v[14:15]
	v_fma_f64 v[23:24], v[54:55], v[74:75], v[23:24]
	v_fma_f64 v[25:26], v[56:57], v[74:75], v[25:26]
	v_fma_f64 v[10:11], v[62:63], v[74:75], v[10:11]
	v_fma_f64 v[8:9], v[64:65], v[74:75], v[8:9]
	v_fma_f64 v[21:22], -v[38:39], v[76:77], v[21:22]
	v_fma_f64 v[12:13], v[36:37], v[76:77], v[12:13]
	v_fma_f64 v[27:28], -v[48:49], v[76:77], v[27:28]
	v_fma_f64 v[14:15], v[46:47], v[76:77], v[14:15]
	v_fma_f64 v[23:24], -v[56:57], v[76:77], v[23:24]
	v_fma_f64 v[25:26], v[54:55], v[76:77], v[25:26]
	v_fma_f64 v[10:11], -v[64:65], v[76:77], v[10:11]
	v_fma_f64 v[8:9], v[62:63], v[76:77], v[8:9]
	;; [unrolled: 17-line block ×4, first 2 shown]
	s_and_not1_b32 exec_lo, exec_lo, s10
	s_cbranch_execnz .LBB17_19
; %bb.20:
	s_or_b32 exec_lo, exec_lo, s10
.LBB17_21:
	s_delay_alu instid0(SALU_CYCLE_1) | instskip(NEXT) | instid1(SALU_CYCLE_1)
	s_or_b32 exec_lo, exec_lo, s7
	s_mov_b32 s7, exec_lo
	v_cmpx_lt_u32_e32 47, v5
	s_cbranch_execz .LBB17_25
; %bb.22:
	s_mov_b32 s10, 0
.LBB17_23:                              ; =>This Inner Loop Header: Depth=1
	v_ashrrev_i32_e32 v32, 31, v31
	s_delay_alu instid0(VALU_DEP_1) | instskip(SKIP_1) | instid1(VALU_DEP_2)
	v_lshlrev_b64 v[35:36], 2, v[31:32]
	v_add_nc_u32_e32 v31, 64, v31
	v_add_co_u32 v39, vcc_lo, s8, v35
	s_delay_alu instid0(VALU_DEP_3)
	v_add_co_ci_u32_e32 v40, vcc_lo, s9, v36, vcc_lo
	global_load_b32 v5, v[39:40], off
	s_clause 0x3
	global_load_b128 v[35:38], v[29:30], off
	global_load_b128 v[42:45], v[29:30], off offset:64
	global_load_b128 v[46:49], v[29:30], off offset:128
	;; [unrolled: 1-line block ×3, first 2 shown]
	s_clause 0x2
	global_load_b32 v32, v[39:40], off offset:64
	global_load_b32 v154, v[39:40], off offset:128
	;; [unrolled: 1-line block ×3, first 2 shown]
	s_waitcnt vmcnt(7)
	v_subrev_nc_u32_e32 v5, s12, v5
	s_delay_alu instid0(VALU_DEP_1) | instskip(SKIP_2) | instid1(VALU_DEP_2)
	v_lshlrev_b32_e32 v39, 2, v5
	s_waitcnt vmcnt(2)
	v_subrev_nc_u32_e32 v5, s12, v32
	v_ashrrev_i32_e32 v40, 31, v39
	s_delay_alu instid0(VALU_DEP_2) | instskip(SKIP_2) | instid1(VALU_DEP_3)
	v_lshlrev_b32_e32 v134, 2, v5
	s_waitcnt vmcnt(1)
	v_subrev_nc_u32_e32 v5, s12, v154
	v_lshlrev_b64 v[39:40], 4, v[39:40]
	s_delay_alu instid0(VALU_DEP_3) | instskip(NEXT) | instid1(VALU_DEP_1)
	v_ashrrev_i32_e32 v135, 31, v134
	v_lshlrev_b64 v[134:135], 4, v[134:135]
	s_waitcnt lgkmcnt(0)
	s_delay_alu instid0(VALU_DEP_3) | instskip(NEXT) | instid1(VALU_DEP_4)
	v_add_co_u32 v39, vcc_lo, s4, v39
	v_add_co_ci_u32_e32 v40, vcc_lo, s5, v40, vcc_lo
	global_load_b128 v[54:57], v[39:40], off
	s_clause 0x3
	global_load_b128 v[58:61], v[29:30], off offset:16
	global_load_b128 v[62:65], v[29:30], off offset:80
	global_load_b128 v[66:69], v[29:30], off offset:144
	global_load_b128 v[70:73], v[29:30], off offset:208
	global_load_b128 v[74:77], v[39:40], off offset:16
	s_clause 0x3
	global_load_b128 v[78:81], v[29:30], off offset:96
	global_load_b128 v[82:85], v[29:30], off offset:160
	global_load_b128 v[86:89], v[29:30], off offset:224
	global_load_b128 v[90:93], v[29:30], off offset:32
	global_load_b128 v[94:97], v[39:40], off offset:32
	;; [unrolled: 6-line block ×3, first 2 shown]
	v_add_co_u32 v39, vcc_lo, 0x1000, v29
	v_add_co_ci_u32_e32 v40, vcc_lo, 0, v30, vcc_lo
	v_add_co_u32 v138, vcc_lo, v29, 0x2000
	v_add_co_ci_u32_e32 v139, vcc_lo, 0, v30, vcc_lo
	;; [unrolled: 2-line block ×3, first 2 shown]
	s_clause 0x3
	global_load_b128 v[118:121], v[39:40], off offset:64
	global_load_b128 v[122:125], v[39:40], off offset:128
	;; [unrolled: 1-line block ×3, first 2 shown]
	global_load_b128 v[130:133], v[138:139], off offset:-4096
	v_add_co_u32 v152, vcc_lo, 0x2000, v29
	global_load_b128 v[134:137], v[140:141], off
	v_add_co_ci_u32_e32 v153, vcc_lo, 0, v30, vcc_lo
	s_waitcnt vmcnt(20)
	v_fma_f64 v[21:22], v[35:36], v[54:55], v[21:22]
	v_fma_f64 v[12:13], v[37:38], v[54:55], v[12:13]
	v_fma_f64 v[27:28], v[42:43], v[54:55], v[27:28]
	v_fma_f64 v[14:15], v[44:45], v[54:55], v[14:15]
	v_fma_f64 v[23:24], v[46:47], v[54:55], v[23:24]
	v_fma_f64 v[25:26], v[48:49], v[54:55], v[25:26]
	v_fma_f64 v[10:11], v[50:51], v[54:55], v[10:11]
	v_fma_f64 v[8:9], v[52:53], v[54:55], v[8:9]
	v_fma_f64 v[54:55], -v[37:38], v[56:57], v[21:22]
	v_fma_f64 v[142:143], v[35:36], v[56:57], v[12:13]
	v_fma_f64 v[44:45], -v[44:45], v[56:57], v[27:28]
	v_fma_f64 v[42:43], v[42:43], v[56:57], v[14:15]
	v_fma_f64 v[48:49], -v[48:49], v[56:57], v[23:24]
	v_fma_f64 v[46:47], v[46:47], v[56:57], v[25:26]
	v_fma_f64 v[52:53], -v[52:53], v[56:57], v[10:11]
	v_fma_f64 v[50:51], v[50:51], v[56:57], v[8:9]
	s_clause 0x3
	global_load_b128 v[8:11], v[39:40], off offset:16
	global_load_b128 v[12:15], v[39:40], off offset:80
	global_load_b128 v[21:24], v[39:40], off offset:144
	global_load_b128 v[25:28], v[39:40], off offset:208
	global_load_b128 v[35:38], v[140:141], off offset:16
	s_waitcnt vmcnt(20)
	v_fma_f64 v[54:55], v[58:59], v[74:75], v[54:55]
	v_fma_f64 v[56:57], v[60:61], v[74:75], v[142:143]
	v_fma_f64 v[44:45], v[62:63], v[74:75], v[44:45]
	v_fma_f64 v[42:43], v[64:65], v[74:75], v[42:43]
	v_fma_f64 v[48:49], v[66:67], v[74:75], v[48:49]
	v_fma_f64 v[46:47], v[68:69], v[74:75], v[46:47]
	v_fma_f64 v[52:53], v[70:71], v[74:75], v[52:53]
	v_fma_f64 v[50:51], v[72:73], v[74:75], v[50:51]
	v_fma_f64 v[74:75], -v[60:61], v[76:77], v[54:55]
	v_fma_f64 v[142:143], v[58:59], v[76:77], v[56:57]
	v_fma_f64 v[64:65], -v[64:65], v[76:77], v[44:45]
	v_fma_f64 v[62:63], v[62:63], v[76:77], v[42:43]
	v_fma_f64 v[68:69], -v[68:69], v[76:77], v[48:49]
	v_fma_f64 v[66:67], v[66:67], v[76:77], v[46:47]
	v_fma_f64 v[72:73], -v[72:73], v[76:77], v[52:53]
	v_fma_f64 v[70:71], v[70:71], v[76:77], v[50:51]
	s_clause 0x3
	global_load_b128 v[42:45], v[39:40], off offset:32
	global_load_b128 v[46:49], v[39:40], off offset:96
	global_load_b128 v[50:53], v[39:40], off offset:160
	global_load_b128 v[54:57], v[39:40], off offset:224
	global_load_b128 v[58:61], v[140:141], off offset:32
	;; [unrolled: 23-line block ×3, first 2 shown]
	s_waitcnt vmcnt(20)
	v_fma_f64 v[39:40], v[98:99], v[114:115], v[92:93]
	v_fma_f64 v[140:141], v[100:101], v[114:115], v[90:91]
	;; [unrolled: 1-line block ×8, first 2 shown]
	s_clause 0x3
	global_load_b128 v[82:85], v[138:139], off
	global_load_b128 v[86:89], v[152:153], off offset:64
	global_load_b128 v[90:93], v[152:153], off offset:128
	;; [unrolled: 1-line block ×3, first 2 shown]
	v_lshlrev_b32_e32 v138, 2, v5
	v_subrev_nc_u32_e32 v5, s12, v155
	s_delay_alu instid0(VALU_DEP_2)
	v_ashrrev_i32_e32 v139, 31, v138
	v_fma_f64 v[39:40], -v[100:101], v[116:117], v[39:40]
	v_fma_f64 v[140:141], v[98:99], v[116:117], v[140:141]
	v_fma_f64 v[104:105], -v[104:105], v[116:117], v[144:145]
	v_fma_f64 v[102:103], v[102:103], v[116:117], v[142:143]
	;; [unrolled: 2-line block ×4, first 2 shown]
	v_lshlrev_b64 v[98:99], 4, v[138:139]
	s_delay_alu instid0(VALU_DEP_1) | instskip(NEXT) | instid1(VALU_DEP_2)
	v_add_co_u32 v138, vcc_lo, s4, v98
	v_add_co_ci_u32_e32 v139, vcc_lo, s5, v99, vcc_lo
	v_add_co_u32 v150, vcc_lo, 0x3000, v29
	v_add_co_ci_u32_e32 v151, vcc_lo, 0, v30, vcc_lo
	global_load_b128 v[98:101], v[138:139], off
	v_add_co_u32 v29, s1, 0x4000, v29
	s_delay_alu instid0(VALU_DEP_1)
	v_add_co_ci_u32_e64 v30, s1, 0, v30, s1
	s_waitcnt vmcnt(20)
	v_fma_f64 v[39:40], v[130:131], v[134:135], v[39:40]
	v_fma_f64 v[114:115], v[132:133], v[134:135], v[140:141]
	v_fma_f64 v[104:105], v[118:119], v[134:135], v[104:105]
	v_fma_f64 v[102:103], v[120:121], v[134:135], v[102:103]
	v_fma_f64 v[108:109], v[122:123], v[134:135], v[108:109]
	v_fma_f64 v[106:107], v[124:125], v[134:135], v[106:107]
	v_fma_f64 v[112:113], v[126:127], v[134:135], v[112:113]
	v_fma_f64 v[110:111], v[128:129], v[134:135], v[110:111]
	v_fma_f64 v[39:40], -v[132:133], v[136:137], v[39:40]
	v_fma_f64 v[130:131], v[130:131], v[136:137], v[114:115]
	v_fma_f64 v[132:133], -v[120:121], v[136:137], v[104:105]
	v_fma_f64 v[134:135], v[118:119], v[136:137], v[102:103]
	v_fma_f64 v[124:125], -v[124:125], v[136:137], v[108:109]
	v_fma_f64 v[122:123], v[122:123], v[136:137], v[106:107]
	v_fma_f64 v[128:129], -v[128:129], v[136:137], v[112:113]
	v_fma_f64 v[126:127], v[126:127], v[136:137], v[110:111]
	s_clause 0x3
	global_load_b128 v[102:105], v[152:153], off offset:16
	global_load_b128 v[106:109], v[152:153], off offset:80
	global_load_b128 v[110:113], v[152:153], off offset:144
	global_load_b128 v[114:117], v[152:153], off offset:208
	global_load_b128 v[118:121], v[138:139], off offset:16
	s_waitcnt vmcnt(20)
	v_fma_f64 v[39:40], v[8:9], v[35:36], v[39:40]
	v_fma_f64 v[130:131], v[10:11], v[35:36], v[130:131]
	v_fma_f64 v[132:133], v[12:13], v[35:36], v[132:133]
	v_fma_f64 v[134:135], v[14:15], v[35:36], v[134:135]
	v_fma_f64 v[124:125], v[21:22], v[35:36], v[124:125]
	v_fma_f64 v[122:123], v[23:24], v[35:36], v[122:123]
	v_fma_f64 v[128:129], v[25:26], v[35:36], v[128:129]
	v_fma_f64 v[35:36], v[27:28], v[35:36], v[126:127]
	v_fma_f64 v[39:40], -v[10:11], v[37:38], v[39:40]
	v_fma_f64 v[126:127], v[8:9], v[37:38], v[130:131]
	v_fma_f64 v[130:131], -v[14:15], v[37:38], v[132:133]
	v_fma_f64 v[132:133], v[12:13], v[37:38], v[134:135]
	v_fma_f64 v[124:125], -v[23:24], v[37:38], v[124:125]
	v_fma_f64 v[122:123], v[21:22], v[37:38], v[122:123]
	v_fma_f64 v[128:129], -v[27:28], v[37:38], v[128:129]
	v_fma_f64 v[134:135], v[25:26], v[37:38], v[35:36]
	s_clause 0x3
	global_load_b128 v[8:11], v[152:153], off offset:32
	global_load_b128 v[12:15], v[152:153], off offset:96
	global_load_b128 v[21:24], v[152:153], off offset:160
	global_load_b128 v[25:28], v[152:153], off offset:224
	global_load_b128 v[35:38], v[138:139], off offset:32
	;; [unrolled: 23-line block ×3, first 2 shown]
	v_lshlrev_b32_e32 v152, 2, v5
	s_delay_alu instid0(VALU_DEP_1)
	v_ashrrev_i32_e32 v153, 31, v152
	s_waitcnt vmcnt(20)
	v_fma_f64 v[39:40], v[66:67], v[78:79], v[39:40]
	v_fma_f64 v[138:139], v[68:69], v[78:79], v[126:127]
	v_fma_f64 v[140:141], v[62:63], v[78:79], v[130:131]
	v_fma_f64 v[142:143], v[64:65], v[78:79], v[132:133]
	v_fma_f64 v[144:145], v[74:75], v[78:79], v[124:125]
	v_fma_f64 v[146:147], v[76:77], v[78:79], v[122:123]
	v_fma_f64 v[148:149], v[70:71], v[78:79], v[128:129]
	v_fma_f64 v[78:79], v[72:73], v[78:79], v[134:135]
	s_clause 0x3
	global_load_b128 v[122:125], v[150:151], off
	global_load_b128 v[126:129], v[150:151], off offset:64
	global_load_b128 v[130:133], v[150:151], off offset:128
	;; [unrolled: 1-line block ×3, first 2 shown]
	v_fma_f64 v[39:40], -v[68:69], v[80:81], v[39:40]
	v_fma_f64 v[66:67], v[66:67], v[80:81], v[138:139]
	v_fma_f64 v[68:69], -v[64:65], v[80:81], v[140:141]
	v_fma_f64 v[138:139], v[62:63], v[80:81], v[142:143]
	;; [unrolled: 2-line block ×4, first 2 shown]
	v_lshlrev_b64 v[62:63], 4, v[152:153]
	s_delay_alu instid0(VALU_DEP_1) | instskip(NEXT) | instid1(VALU_DEP_2)
	v_add_co_u32 v140, vcc_lo, s4, v62
	v_add_co_ci_u32_e32 v141, vcc_lo, s5, v63, vcc_lo
	v_cmp_ge_i32_e32 vcc_lo, v31, v33
	global_load_b128 v[62:65], v[140:141], off
	s_or_b32 s10, vcc_lo, s10
	s_waitcnt vmcnt(20)
	v_fma_f64 v[39:40], v[82:83], v[98:99], v[39:40]
	v_fma_f64 v[66:67], v[84:85], v[98:99], v[66:67]
	v_fma_f64 v[68:69], v[86:87], v[98:99], v[68:69]
	v_fma_f64 v[78:79], v[88:89], v[98:99], v[138:139]
	v_fma_f64 v[76:77], v[90:91], v[98:99], v[76:77]
	v_fma_f64 v[74:75], v[92:93], v[98:99], v[74:75]
	v_fma_f64 v[72:73], v[94:95], v[98:99], v[72:73]
	v_fma_f64 v[70:71], v[96:97], v[98:99], v[70:71]
	v_fma_f64 v[39:40], -v[84:85], v[100:101], v[39:40]
	v_fma_f64 v[98:99], v[82:83], v[100:101], v[66:67]
	v_fma_f64 v[88:89], -v[88:89], v[100:101], v[68:69]
	v_fma_f64 v[86:87], v[86:87], v[100:101], v[78:79]
	v_fma_f64 v[92:93], -v[92:93], v[100:101], v[76:77]
	v_fma_f64 v[90:91], v[90:91], v[100:101], v[74:75]
	v_fma_f64 v[96:97], -v[96:97], v[100:101], v[72:73]
	v_fma_f64 v[94:95], v[94:95], v[100:101], v[70:71]
	s_clause 0x3
	global_load_b128 v[66:69], v[150:151], off offset:80
	global_load_b128 v[70:73], v[150:151], off offset:144
	global_load_b128 v[74:77], v[150:151], off offset:208
	global_load_b128 v[78:81], v[150:151], off offset:16
	global_load_b128 v[82:85], v[140:141], off offset:16
	s_waitcnt vmcnt(20)
	v_fma_f64 v[39:40], v[102:103], v[118:119], v[39:40]
	v_fma_f64 v[98:99], v[104:105], v[118:119], v[98:99]
	v_fma_f64 v[88:89], v[106:107], v[118:119], v[88:89]
	v_fma_f64 v[86:87], v[108:109], v[118:119], v[86:87]
	v_fma_f64 v[92:93], v[110:111], v[118:119], v[92:93]
	v_fma_f64 v[90:91], v[112:113], v[118:119], v[90:91]
	v_fma_f64 v[96:97], v[114:115], v[118:119], v[96:97]
	v_fma_f64 v[94:95], v[116:117], v[118:119], v[94:95]
	v_fma_f64 v[39:40], -v[104:105], v[120:121], v[39:40]
	v_fma_f64 v[118:119], v[102:103], v[120:121], v[98:99]
	v_fma_f64 v[108:109], -v[108:109], v[120:121], v[88:89]
	v_fma_f64 v[106:107], v[106:107], v[120:121], v[86:87]
	v_fma_f64 v[112:113], -v[112:113], v[120:121], v[92:93]
	v_fma_f64 v[110:111], v[110:111], v[120:121], v[90:91]
	v_fma_f64 v[116:117], -v[116:117], v[120:121], v[96:97]
	v_fma_f64 v[114:115], v[114:115], v[120:121], v[94:95]
	s_clause 0x3
	global_load_b128 v[86:89], v[150:151], off offset:96
	global_load_b128 v[90:93], v[150:151], off offset:160
	global_load_b128 v[94:97], v[150:151], off offset:224
	global_load_b128 v[98:101], v[150:151], off offset:32
	global_load_b128 v[102:105], v[140:141], off offset:32
	;; [unrolled: 23-line block ×3, first 2 shown]
	s_waitcnt vmcnt(20)
	v_fma_f64 v[39:40], v[46:47], v[58:59], v[39:40]
	v_fma_f64 v[114:115], v[48:49], v[58:59], v[114:115]
	v_fma_f64 v[14:15], v[42:43], v[58:59], v[14:15]
	v_fma_f64 v[12:13], v[44:45], v[58:59], v[12:13]
	v_fma_f64 v[118:119], v[54:55], v[58:59], v[118:119]
	v_fma_f64 v[21:22], v[56:57], v[58:59], v[21:22]
	v_fma_f64 v[27:28], v[50:51], v[58:59], v[27:28]
	v_fma_f64 v[58:59], v[52:53], v[58:59], v[116:117]
	v_fma_f64 v[39:40], -v[48:49], v[60:61], v[39:40]
	v_fma_f64 v[46:47], v[46:47], v[60:61], v[114:115]
	v_fma_f64 v[14:15], -v[44:45], v[60:61], v[14:15]
	v_fma_f64 v[12:13], v[42:43], v[60:61], v[12:13]
	v_fma_f64 v[42:43], -v[56:57], v[60:61], v[118:119]
	v_fma_f64 v[21:22], v[54:55], v[60:61], v[21:22]
	v_fma_f64 v[27:28], -v[52:53], v[60:61], v[27:28]
	v_fma_f64 v[44:45], v[50:51], v[60:61], v[58:59]
	s_waitcnt vmcnt(15)
	v_fma_f64 v[39:40], v[122:123], v[62:63], v[39:40]
	v_fma_f64 v[46:47], v[124:125], v[62:63], v[46:47]
	v_fma_f64 v[14:15], v[126:127], v[62:63], v[14:15]
	v_fma_f64 v[12:13], v[128:129], v[62:63], v[12:13]
	v_fma_f64 v[42:43], v[130:131], v[62:63], v[42:43]
	v_fma_f64 v[21:22], v[132:133], v[62:63], v[21:22]
	v_fma_f64 v[27:28], v[134:135], v[62:63], v[27:28]
	v_fma_f64 v[44:45], v[136:137], v[62:63], v[44:45]
	v_fma_f64 v[39:40], -v[124:125], v[64:65], v[39:40]
	v_fma_f64 v[46:47], v[122:123], v[64:65], v[46:47]
	v_fma_f64 v[14:15], -v[128:129], v[64:65], v[14:15]
	v_fma_f64 v[12:13], v[126:127], v[64:65], v[12:13]
	v_fma_f64 v[42:43], -v[132:133], v[64:65], v[42:43]
	v_fma_f64 v[21:22], v[130:131], v[64:65], v[21:22]
	v_fma_f64 v[27:28], -v[136:137], v[64:65], v[27:28]
	v_fma_f64 v[44:45], v[134:135], v[64:65], v[44:45]
	;; [unrolled: 17-line block ×5, first 2 shown]
	s_and_not1_b32 exec_lo, exec_lo, s10
	s_cbranch_execnz .LBB17_23
; %bb.24:
	s_or_b32 exec_lo, exec_lo, s10
.LBB17_25:
	s_delay_alu instid0(SALU_CYCLE_1)
	s_or_b32 exec_lo, exec_lo, s7
.LBB17_26:
	s_delay_alu instid0(SALU_CYCLE_1)
	s_or_b32 exec_lo, exec_lo, s6
	s_cbranch_execz .LBB17_28
	s_branch .LBB17_39
.LBB17_27:
                                        ; implicit-def: $vgpr12_vgpr13
                                        ; implicit-def: $vgpr21_vgpr22
                                        ; implicit-def: $vgpr10_vgpr11
                                        ; implicit-def: $vgpr8_vgpr9
                                        ; implicit-def: $vgpr23_vgpr24
                                        ; implicit-def: $vgpr25_vgpr26
                                        ; implicit-def: $vgpr27_vgpr28
                                        ; implicit-def: $vgpr14_vgpr15
.LBB17_28:
	v_mov_b32_e32 v12, 0
	v_mov_b32_e32 v13, 0
	s_delay_alu instid0(VALU_DEP_2) | instskip(NEXT) | instid1(VALU_DEP_2)
	v_mov_b32_e32 v10, v12
	v_dual_mov_b32 v8, v12 :: v_dual_mov_b32 v9, v13
	v_dual_mov_b32 v22, v13 :: v_dual_mov_b32 v21, v12
	v_mov_b32_e32 v11, v13
	v_dual_mov_b32 v24, v13 :: v_dual_mov_b32 v23, v12
	v_dual_mov_b32 v26, v13 :: v_dual_mov_b32 v25, v12
	;; [unrolled: 1-line block ×4, first 2 shown]
	s_and_saveexec_b32 s1, s0
	s_cbranch_execz .LBB17_38
; %bb.29:
	v_dual_mov_b32 v14, 0 :: v_dual_add_nc_u32 v5, v34, v41
	v_mov_b32_e32 v15, 0
	v_not_b32_e32 v8, v34
	s_mov_b32 s7, 0
	s_delay_alu instid0(VALU_DEP_3) | instskip(SKIP_2) | instid1(VALU_DEP_2)
	v_subrev_nc_u32_e32 v5, s12, v5
	s_mov_b32 s6, exec_lo
	v_dual_mov_b32 v28, v15 :: v_dual_mov_b32 v27, v14
	v_dual_mov_b32 v24, v15 :: v_dual_add_nc_u32 v5, 16, v5
	v_dual_mov_b32 v23, v14 :: v_dual_mov_b32 v26, v15
	v_dual_mov_b32 v25, v14 :: v_dual_mov_b32 v22, v15
	s_delay_alu instid0(VALU_DEP_3) | instskip(SKIP_3) | instid1(VALU_DEP_4)
	v_max_i32_e32 v5, v5, v33
	v_mov_b32_e32 v21, v14
	v_dual_mov_b32 v10, v14 :: v_dual_mov_b32 v11, v15
	v_mov_b32_e32 v12, v14
	v_add3_u32 v5, v5, s12, v8
	v_dual_mov_b32 v8, v14 :: v_dual_mov_b32 v9, v15
	v_mov_b32_e32 v13, v15
	s_delay_alu instid0(VALU_DEP_3) | instskip(NEXT) | instid1(VALU_DEP_1)
	v_sub_nc_u32_e32 v29, v5, v41
	v_lshrrev_b32_e32 v5, 4, v29
	s_delay_alu instid0(VALU_DEP_1) | instskip(NEXT) | instid1(VALU_DEP_1)
	v_add_nc_u32_e32 v5, 1, v5
	v_and_b32_e32 v5, 3, v5
	s_delay_alu instid0(VALU_DEP_1)
	v_cmpx_ne_u32_e32 0, v5
	s_cbranch_execz .LBB17_33
; %bb.30:
	v_mov_b32_e32 v12, 0
	v_dual_mov_b32 v13, 0 :: v_dual_lshlrev_b32 v30, 8, v5
	s_delay_alu instid0(VALU_DEP_2) | instskip(NEXT) | instid1(VALU_DEP_2)
	v_mov_b32_e32 v10, v12
	v_dual_mov_b32 v8, v12 :: v_dual_mov_b32 v9, v13
	v_dual_mov_b32 v22, v13 :: v_dual_mov_b32 v21, v12
	v_mov_b32_e32 v11, v13
	v_dual_mov_b32 v24, v13 :: v_dual_mov_b32 v23, v12
	v_dual_mov_b32 v26, v13 :: v_dual_mov_b32 v25, v12
	;; [unrolled: 1-line block ×4, first 2 shown]
.LBB17_31:                              ; =>This Inner Loop Header: Depth=1
	v_ashrrev_i32_e32 v5, 31, v4
	v_add_nc_u32_e32 v30, 0xffffff00, v30
	s_delay_alu instid0(VALU_DEP_2) | instskip(NEXT) | instid1(VALU_DEP_2)
	v_lshlrev_b64 v[31:32], 2, v[4:5]
	v_cmp_eq_u32_e64 s0, 0, v30
	v_add_nc_u32_e32 v4, 16, v4
	s_delay_alu instid0(VALU_DEP_2) | instskip(NEXT) | instid1(VALU_DEP_3)
	s_or_b32 s7, s0, s7
	v_add_co_u32 v31, vcc_lo, s8, v31
	s_delay_alu instid0(VALU_DEP_4)
	v_add_co_ci_u32_e32 v32, vcc_lo, s9, v32, vcc_lo
	global_load_b32 v5, v[31:32], off
	s_clause 0x3
	global_load_b128 v[34:37], v[6:7], off offset:48
	global_load_b128 v[42:45], v[6:7], off offset:32
	;; [unrolled: 1-line block ×3, first 2 shown]
	global_load_b128 v[50:53], v[6:7], off
	s_waitcnt vmcnt(4)
	v_subrev_nc_u32_e32 v5, s12, v5
	s_delay_alu instid0(VALU_DEP_1) | instskip(NEXT) | instid1(VALU_DEP_1)
	v_lshlrev_b32_e32 v31, 2, v5
	v_ashrrev_i32_e32 v32, 31, v31
	s_delay_alu instid0(VALU_DEP_1) | instskip(SKIP_1) | instid1(VALU_DEP_1)
	v_lshlrev_b64 v[31:32], 4, v[31:32]
	s_waitcnt lgkmcnt(0)
	v_add_co_u32 v31, vcc_lo, s4, v31
	s_delay_alu instid0(VALU_DEP_2)
	v_add_co_ci_u32_e32 v32, vcc_lo, s5, v32, vcc_lo
	s_clause 0x1
	global_load_b128 v[54:57], v[31:32], off
	global_load_b128 v[58:61], v[31:32], off offset:16
	s_clause 0x7
	global_load_b128 v[62:65], v[6:7], off offset:64
	global_load_b128 v[66:69], v[6:7], off offset:80
	;; [unrolled: 1-line block ×8, first 2 shown]
	s_clause 0x1
	global_load_b128 v[94:97], v[31:32], off offset:32
	global_load_b128 v[98:101], v[31:32], off offset:48
	s_clause 0x3
	global_load_b128 v[102:105], v[6:7], off offset:192
	global_load_b128 v[106:109], v[6:7], off offset:208
	;; [unrolled: 1-line block ×4, first 2 shown]
	v_add_co_u32 v6, vcc_lo, 0x1000, v6
	v_add_co_ci_u32_e32 v7, vcc_lo, 0, v7, vcc_lo
	s_waitcnt vmcnt(15)
	v_fma_f64 v[21:22], v[50:51], v[54:55], v[21:22]
	v_fma_f64 v[12:13], v[52:53], v[54:55], v[12:13]
	;; [unrolled: 1-line block ×8, first 2 shown]
	v_fma_f64 v[21:22], -v[52:53], v[56:57], v[21:22]
	v_fma_f64 v[12:13], v[50:51], v[56:57], v[12:13]
	v_fma_f64 v[27:28], -v[48:49], v[56:57], v[27:28]
	v_fma_f64 v[14:15], v[46:47], v[56:57], v[14:15]
	;; [unrolled: 2-line block ×4, first 2 shown]
	s_waitcnt vmcnt(13)
	v_fma_f64 v[21:22], v[62:63], v[58:59], v[21:22]
	v_fma_f64 v[12:13], v[64:65], v[58:59], v[12:13]
	s_waitcnt vmcnt(12)
	v_fma_f64 v[27:28], v[66:67], v[58:59], v[27:28]
	v_fma_f64 v[14:15], v[68:69], v[58:59], v[14:15]
	s_waitcnt vmcnt(11)
	v_fma_f64 v[23:24], v[70:71], v[58:59], v[23:24]
	v_fma_f64 v[25:26], v[72:73], v[58:59], v[25:26]
	s_waitcnt vmcnt(10)
	v_fma_f64 v[10:11], v[74:75], v[58:59], v[10:11]
	v_fma_f64 v[8:9], v[76:77], v[58:59], v[8:9]
	v_fma_f64 v[21:22], -v[64:65], v[60:61], v[21:22]
	v_fma_f64 v[12:13], v[62:63], v[60:61], v[12:13]
	v_fma_f64 v[27:28], -v[68:69], v[60:61], v[27:28]
	v_fma_f64 v[14:15], v[66:67], v[60:61], v[14:15]
	;; [unrolled: 2-line block ×4, first 2 shown]
	s_waitcnt vmcnt(5)
	v_fma_f64 v[21:22], v[90:91], v[94:95], v[21:22]
	v_fma_f64 v[12:13], v[92:93], v[94:95], v[12:13]
	;; [unrolled: 1-line block ×8, first 2 shown]
	v_fma_f64 v[21:22], -v[92:93], v[96:97], v[21:22]
	v_fma_f64 v[12:13], v[90:91], v[96:97], v[12:13]
	v_fma_f64 v[27:28], -v[88:89], v[96:97], v[27:28]
	v_fma_f64 v[14:15], v[86:87], v[96:97], v[14:15]
	v_fma_f64 v[23:24], -v[84:85], v[96:97], v[23:24]
	v_fma_f64 v[25:26], v[82:83], v[96:97], v[25:26]
	v_fma_f64 v[10:11], -v[80:81], v[96:97], v[10:11]
	v_fma_f64 v[8:9], v[78:79], v[96:97], v[8:9]
	s_waitcnt vmcnt(3)
	v_fma_f64 v[21:22], v[102:103], v[98:99], v[21:22]
	v_fma_f64 v[12:13], v[104:105], v[98:99], v[12:13]
	s_waitcnt vmcnt(2)
	v_fma_f64 v[27:28], v[106:107], v[98:99], v[27:28]
	v_fma_f64 v[14:15], v[108:109], v[98:99], v[14:15]
	;; [unrolled: 3-line block ×4, first 2 shown]
	v_fma_f64 v[21:22], -v[104:105], v[100:101], v[21:22]
	v_fma_f64 v[12:13], v[102:103], v[100:101], v[12:13]
	v_fma_f64 v[27:28], -v[108:109], v[100:101], v[27:28]
	v_fma_f64 v[14:15], v[106:107], v[100:101], v[14:15]
	;; [unrolled: 2-line block ×4, first 2 shown]
	s_and_not1_b32 exec_lo, exec_lo, s7
	s_cbranch_execnz .LBB17_31
; %bb.32:
	s_or_b32 exec_lo, exec_lo, s7
.LBB17_33:
	s_delay_alu instid0(SALU_CYCLE_1) | instskip(NEXT) | instid1(SALU_CYCLE_1)
	s_or_b32 exec_lo, exec_lo, s6
	s_mov_b32 s6, exec_lo
	v_cmpx_lt_u32_e32 47, v29
	s_cbranch_execz .LBB17_37
; %bb.34:
	s_mov_b32 s7, 0
.LBB17_35:                              ; =>This Inner Loop Header: Depth=1
	v_ashrrev_i32_e32 v5, 31, v4
	s_delay_alu instid0(VALU_DEP_1) | instskip(SKIP_1) | instid1(VALU_DEP_2)
	v_lshlrev_b64 v[29:30], 2, v[4:5]
	v_add_nc_u32_e32 v4, 64, v4
	v_add_co_u32 v38, vcc_lo, s8, v29
	s_delay_alu instid0(VALU_DEP_3)
	v_add_co_ci_u32_e32 v39, vcc_lo, s9, v30, vcc_lo
	global_load_b32 v40, v[38:39], off
	s_clause 0x3
	global_load_b128 v[29:32], v[6:7], off offset:48
	global_load_b128 v[34:37], v[6:7], off offset:32
	;; [unrolled: 1-line block ×3, first 2 shown]
	global_load_b128 v[46:49], v[6:7], off
	s_clause 0x2
	global_load_b32 v130, v[38:39], off offset:64
	global_load_b32 v150, v[38:39], off offset:128
	;; [unrolled: 1-line block ×3, first 2 shown]
	s_waitcnt vmcnt(7)
	v_subrev_nc_u32_e32 v38, s12, v40
	s_delay_alu instid0(VALU_DEP_1)
	v_lshlrev_b32_e32 v38, 2, v38
	s_waitcnt vmcnt(2)
	v_subrev_nc_u32_e32 v40, s12, v130
	s_waitcnt vmcnt(0)
	v_subrev_nc_u32_e32 v5, s12, v5
	v_ashrrev_i32_e32 v39, 31, v38
	s_delay_alu instid0(VALU_DEP_3) | instskip(SKIP_1) | instid1(VALU_DEP_3)
	v_lshlrev_b32_e32 v130, 2, v40
	v_subrev_nc_u32_e32 v40, s12, v150
	v_lshlrev_b64 v[38:39], 4, v[38:39]
	s_delay_alu instid0(VALU_DEP_3) | instskip(NEXT) | instid1(VALU_DEP_1)
	v_ashrrev_i32_e32 v131, 31, v130
	v_lshlrev_b64 v[130:131], 4, v[130:131]
	s_waitcnt lgkmcnt(0)
	s_delay_alu instid0(VALU_DEP_3) | instskip(NEXT) | instid1(VALU_DEP_4)
	v_add_co_u32 v38, vcc_lo, s4, v38
	v_add_co_ci_u32_e32 v39, vcc_lo, s5, v39, vcc_lo
	global_load_b128 v[50:53], v[38:39], off
	s_clause 0x3
	global_load_b128 v[54:57], v[6:7], off offset:112
	global_load_b128 v[58:61], v[6:7], off offset:96
	global_load_b128 v[62:65], v[6:7], off offset:80
	global_load_b128 v[66:69], v[6:7], off offset:64
	global_load_b128 v[70:73], v[38:39], off offset:16
	s_clause 0x3
	global_load_b128 v[74:77], v[6:7], off offset:176
	global_load_b128 v[78:81], v[6:7], off offset:160
	global_load_b128 v[82:85], v[6:7], off offset:144
	global_load_b128 v[86:89], v[6:7], off offset:128
	global_load_b128 v[90:93], v[38:39], off offset:32
	;; [unrolled: 6-line block ×3, first 2 shown]
	v_add_co_u32 v38, vcc_lo, 0x1000, v6
	v_add_co_ci_u32_e32 v39, vcc_lo, 0, v7, vcc_lo
	v_add_co_u32 v134, vcc_lo, v6, 0x2000
	v_add_co_ci_u32_e32 v135, vcc_lo, 0, v7, vcc_lo
	;; [unrolled: 2-line block ×3, first 2 shown]
	s_clause 0x3
	global_load_b128 v[114:117], v[38:39], off offset:32
	global_load_b128 v[118:121], v[38:39], off offset:16
	global_load_b128 v[122:125], v[38:39], off offset:48
	global_load_b128 v[126:129], v[134:135], off offset:-4096
	v_add_co_u32 v148, vcc_lo, 0x2000, v6
	global_load_b128 v[130:133], v[136:137], off
	v_add_co_ci_u32_e32 v149, vcc_lo, 0, v7, vcc_lo
	s_waitcnt vmcnt(20)
	v_fma_f64 v[21:22], v[46:47], v[50:51], v[21:22]
	v_fma_f64 v[12:13], v[48:49], v[50:51], v[12:13]
	v_fma_f64 v[27:28], v[42:43], v[50:51], v[27:28]
	v_fma_f64 v[14:15], v[44:45], v[50:51], v[14:15]
	v_fma_f64 v[23:24], v[34:35], v[50:51], v[23:24]
	v_fma_f64 v[25:26], v[36:37], v[50:51], v[25:26]
	v_fma_f64 v[10:11], v[29:30], v[50:51], v[10:11]
	v_fma_f64 v[8:9], v[31:32], v[50:51], v[8:9]
	v_fma_f64 v[48:49], -v[48:49], v[52:53], v[21:22]
	v_fma_f64 v[46:47], v[46:47], v[52:53], v[12:13]
	v_fma_f64 v[44:45], -v[44:45], v[52:53], v[27:28]
	v_fma_f64 v[42:43], v[42:43], v[52:53], v[14:15]
	v_fma_f64 v[36:37], -v[36:37], v[52:53], v[23:24]
	v_fma_f64 v[34:35], v[34:35], v[52:53], v[25:26]
	v_fma_f64 v[50:51], -v[31:32], v[52:53], v[10:11]
	v_fma_f64 v[52:53], v[29:30], v[52:53], v[8:9]
	s_clause 0x3
	global_load_b128 v[8:11], v[38:39], off offset:96
	global_load_b128 v[12:15], v[38:39], off offset:80
	global_load_b128 v[21:24], v[38:39], off offset:64
	global_load_b128 v[25:28], v[38:39], off offset:112
	global_load_b128 v[29:32], v[136:137], off offset:16
	s_waitcnt vmcnt(20)
	v_fma_f64 v[48:49], v[66:67], v[70:71], v[48:49]
	v_fma_f64 v[46:47], v[68:69], v[70:71], v[46:47]
	v_fma_f64 v[44:45], v[62:63], v[70:71], v[44:45]
	v_fma_f64 v[42:43], v[64:65], v[70:71], v[42:43]
	v_fma_f64 v[36:37], v[58:59], v[70:71], v[36:37]
	v_fma_f64 v[34:35], v[60:61], v[70:71], v[34:35]
	v_fma_f64 v[50:51], v[54:55], v[70:71], v[50:51]
	v_fma_f64 v[52:53], v[56:57], v[70:71], v[52:53]
	v_fma_f64 v[68:69], -v[68:69], v[72:73], v[48:49]
	v_fma_f64 v[66:67], v[66:67], v[72:73], v[46:47]
	v_fma_f64 v[64:65], -v[64:65], v[72:73], v[44:45]
	v_fma_f64 v[62:63], v[62:63], v[72:73], v[42:43]
	v_fma_f64 v[60:61], -v[60:61], v[72:73], v[36:37]
	v_fma_f64 v[58:59], v[58:59], v[72:73], v[34:35]
	v_fma_f64 v[70:71], -v[56:57], v[72:73], v[50:51]
	v_fma_f64 v[72:73], v[54:55], v[72:73], v[52:53]
	s_clause 0x3
	global_load_b128 v[34:37], v[38:39], off offset:160
	global_load_b128 v[42:45], v[38:39], off offset:144
	global_load_b128 v[46:49], v[38:39], off offset:128
	global_load_b128 v[50:53], v[38:39], off offset:176
	global_load_b128 v[54:57], v[136:137], off offset:32
	;; [unrolled: 23-line block ×3, first 2 shown]
	s_waitcnt vmcnt(20)
	v_fma_f64 v[38:39], v[106:107], v[110:111], v[88:89]
	v_fma_f64 v[136:137], v[108:109], v[110:111], v[86:87]
	;; [unrolled: 1-line block ×8, first 2 shown]
	s_clause 0x3
	global_load_b128 v[78:81], v[134:135], off
	global_load_b128 v[82:85], v[148:149], off offset:32
	global_load_b128 v[86:89], v[148:149], off offset:16
	;; [unrolled: 1-line block ×3, first 2 shown]
	v_lshlrev_b32_e32 v134, 2, v40
	s_delay_alu instid0(VALU_DEP_1)
	v_ashrrev_i32_e32 v135, 31, v134
	v_fma_f64 v[38:39], -v[108:109], v[112:113], v[38:39]
	v_fma_f64 v[106:107], v[106:107], v[112:113], v[136:137]
	v_fma_f64 v[104:105], -v[104:105], v[112:113], v[138:139]
	v_fma_f64 v[102:103], v[102:103], v[112:113], v[140:141]
	;; [unrolled: 2-line block ×4, first 2 shown]
	v_lshlrev_b64 v[94:95], 4, v[134:135]
	s_delay_alu instid0(VALU_DEP_1) | instskip(NEXT) | instid1(VALU_DEP_2)
	v_add_co_u32 v134, vcc_lo, s4, v94
	v_add_co_ci_u32_e32 v135, vcc_lo, s5, v95, vcc_lo
	v_add_co_u32 v146, vcc_lo, 0x3000, v6
	v_add_co_ci_u32_e32 v147, vcc_lo, 0, v7, vcc_lo
	global_load_b128 v[94:97], v[134:135], off
	v_add_co_u32 v6, s0, 0x4000, v6
	s_delay_alu instid0(VALU_DEP_1)
	v_add_co_ci_u32_e64 v7, s0, 0, v7, s0
	s_waitcnt vmcnt(20)
	v_fma_f64 v[38:39], v[126:127], v[130:131], v[38:39]
	v_fma_f64 v[106:107], v[128:129], v[130:131], v[106:107]
	v_fma_f64 v[104:105], v[118:119], v[130:131], v[104:105]
	v_fma_f64 v[102:103], v[120:121], v[130:131], v[102:103]
	v_fma_f64 v[100:101], v[114:115], v[130:131], v[100:101]
	v_fma_f64 v[98:99], v[116:117], v[130:131], v[98:99]
	v_fma_f64 v[108:109], v[122:123], v[130:131], v[108:109]
	v_fma_f64 v[110:111], v[124:125], v[130:131], v[110:111]
	v_fma_f64 v[38:39], -v[128:129], v[132:133], v[38:39]
	v_fma_f64 v[126:127], v[126:127], v[132:133], v[106:107]
	v_fma_f64 v[120:121], -v[120:121], v[132:133], v[104:105]
	v_fma_f64 v[118:119], v[118:119], v[132:133], v[102:103]
	v_fma_f64 v[128:129], -v[116:117], v[132:133], v[100:101]
	v_fma_f64 v[130:131], v[114:115], v[132:133], v[98:99]
	v_fma_f64 v[124:125], -v[124:125], v[132:133], v[108:109]
	v_fma_f64 v[122:123], v[122:123], v[132:133], v[110:111]
	s_clause 0x3
	global_load_b128 v[98:101], v[148:149], off offset:96
	global_load_b128 v[102:105], v[148:149], off offset:80
	global_load_b128 v[106:109], v[148:149], off offset:64
	global_load_b128 v[110:113], v[148:149], off offset:112
	global_load_b128 v[114:117], v[134:135], off offset:16
	s_waitcnt vmcnt(20)
	v_fma_f64 v[38:39], v[21:22], v[29:30], v[38:39]
	v_fma_f64 v[126:127], v[23:24], v[29:30], v[126:127]
	v_fma_f64 v[120:121], v[12:13], v[29:30], v[120:121]
	v_fma_f64 v[118:119], v[14:15], v[29:30], v[118:119]
	v_fma_f64 v[128:129], v[8:9], v[29:30], v[128:129]
	v_fma_f64 v[130:131], v[10:11], v[29:30], v[130:131]
	v_fma_f64 v[124:125], v[25:26], v[29:30], v[124:125]
	v_fma_f64 v[29:30], v[27:28], v[29:30], v[122:123]
	v_fma_f64 v[38:39], -v[23:24], v[31:32], v[38:39]
	v_fma_f64 v[122:123], v[21:22], v[31:32], v[126:127]
	v_fma_f64 v[120:121], -v[14:15], v[31:32], v[120:121]
	v_fma_f64 v[118:119], v[12:13], v[31:32], v[118:119]
	v_fma_f64 v[126:127], -v[10:11], v[31:32], v[128:129]
	v_fma_f64 v[128:129], v[8:9], v[31:32], v[130:131]
	v_fma_f64 v[124:125], -v[27:28], v[31:32], v[124:125]
	v_fma_f64 v[130:131], v[25:26], v[31:32], v[29:30]
	s_clause 0x3
	global_load_b128 v[8:11], v[148:149], off offset:160
	global_load_b128 v[12:15], v[148:149], off offset:144
	global_load_b128 v[21:24], v[148:149], off offset:128
	global_load_b128 v[25:28], v[148:149], off offset:176
	global_load_b128 v[29:32], v[134:135], off offset:32
	;; [unrolled: 23-line block ×3, first 2 shown]
	v_lshlrev_b32_e32 v148, 2, v5
	s_delay_alu instid0(VALU_DEP_1)
	v_ashrrev_i32_e32 v149, 31, v148
	s_waitcnt vmcnt(20)
	v_fma_f64 v[38:39], v[70:71], v[74:75], v[38:39]
	v_fma_f64 v[134:135], v[72:73], v[74:75], v[122:123]
	;; [unrolled: 1-line block ×8, first 2 shown]
	s_clause 0x3
	global_load_b128 v[118:121], v[146:147], off offset:48
	global_load_b128 v[122:125], v[146:147], off offset:32
	global_load_b128 v[126:129], v[146:147], off
	global_load_b128 v[130:133], v[146:147], off offset:16
	v_fma_f64 v[38:39], -v[72:73], v[76:77], v[38:39]
	v_fma_f64 v[70:71], v[70:71], v[76:77], v[134:135]
	v_fma_f64 v[68:69], -v[68:69], v[76:77], v[136:137]
	v_fma_f64 v[66:67], v[66:67], v[76:77], v[138:139]
	;; [unrolled: 2-line block ×4, first 2 shown]
	v_lshlrev_b64 v[58:59], 4, v[148:149]
	s_delay_alu instid0(VALU_DEP_1) | instskip(NEXT) | instid1(VALU_DEP_2)
	v_add_co_u32 v138, vcc_lo, s4, v58
	v_add_co_ci_u32_e32 v139, vcc_lo, s5, v59, vcc_lo
	s_clause 0x1
	global_load_b128 v[58:61], v[138:139], off
	global_load_b128 v[62:65], v[138:139], off offset:16
	v_cmp_ge_i32_e32 vcc_lo, v4, v33
	s_or_b32 s7, vcc_lo, s7
	s_waitcnt vmcnt(21)
	v_fma_f64 v[38:39], v[78:79], v[94:95], v[38:39]
	v_fma_f64 v[70:71], v[80:81], v[94:95], v[70:71]
	;; [unrolled: 1-line block ×8, first 2 shown]
	v_fma_f64 v[38:39], -v[80:81], v[96:97], v[38:39]
	v_fma_f64 v[94:95], v[78:79], v[96:97], v[70:71]
	v_fma_f64 v[88:89], -v[88:89], v[96:97], v[68:69]
	v_fma_f64 v[86:87], v[86:87], v[96:97], v[66:67]
	;; [unrolled: 2-line block ×4, first 2 shown]
	s_clause 0x3
	global_load_b128 v[66:69], v[146:147], off offset:64
	global_load_b128 v[70:73], v[146:147], off offset:80
	;; [unrolled: 1-line block ×4, first 2 shown]
	s_waitcnt vmcnt(20)
	v_fma_f64 v[38:39], v[106:107], v[114:115], v[38:39]
	v_fma_f64 v[94:95], v[108:109], v[114:115], v[94:95]
	;; [unrolled: 1-line block ×8, first 2 shown]
	v_fma_f64 v[38:39], -v[108:109], v[116:117], v[38:39]
	v_fma_f64 v[106:107], v[106:107], v[116:117], v[94:95]
	v_fma_f64 v[108:109], -v[104:105], v[116:117], v[88:89]
	v_fma_f64 v[114:115], v[102:103], v[116:117], v[86:87]
	;; [unrolled: 2-line block ×4, first 2 shown]
	s_clause 0x3
	global_load_b128 v[82:85], v[146:147], off offset:176
	global_load_b128 v[86:89], v[146:147], off offset:160
	;; [unrolled: 1-line block ×4, first 2 shown]
	s_clause 0x1
	global_load_b128 v[98:101], v[138:139], off offset:32
	global_load_b128 v[102:105], v[138:139], off offset:48
	s_waitcnt vmcnt(21)
	v_fma_f64 v[38:39], v[21:22], v[29:30], v[38:39]
	v_fma_f64 v[106:107], v[23:24], v[29:30], v[106:107]
	;; [unrolled: 1-line block ×8, first 2 shown]
	v_fma_f64 v[38:39], -v[23:24], v[31:32], v[38:39]
	v_fma_f64 v[21:22], v[21:22], v[31:32], v[106:107]
	v_fma_f64 v[14:15], -v[14:15], v[31:32], v[108:109]
	v_fma_f64 v[12:13], v[12:13], v[31:32], v[114:115]
	;; [unrolled: 2-line block ×4, first 2 shown]
	s_clause 0x3
	global_load_b128 v[8:11], v[146:147], off offset:192
	global_load_b128 v[23:26], v[146:147], off offset:208
	;; [unrolled: 1-line block ×4, first 2 shown]
	s_waitcnt vmcnt(20)
	v_fma_f64 v[38:39], v[50:51], v[54:55], v[38:39]
	v_fma_f64 v[21:22], v[52:53], v[54:55], v[21:22]
	;; [unrolled: 1-line block ×8, first 2 shown]
	v_fma_f64 v[38:39], -v[52:53], v[56:57], v[38:39]
	v_fma_f64 v[21:22], v[50:51], v[56:57], v[21:22]
	v_fma_f64 v[14:15], -v[48:49], v[56:57], v[14:15]
	v_fma_f64 v[12:13], v[46:47], v[56:57], v[12:13]
	;; [unrolled: 2-line block ×4, first 2 shown]
	s_waitcnt vmcnt(15)
	v_fma_f64 v[36:37], v[126:127], v[58:59], v[38:39]
	v_fma_f64 v[21:22], v[128:129], v[58:59], v[21:22]
	v_fma_f64 v[14:15], v[130:131], v[58:59], v[14:15]
	v_fma_f64 v[12:13], v[132:133], v[58:59], v[12:13]
	v_fma_f64 v[38:39], v[122:123], v[58:59], v[44:45]
	v_fma_f64 v[42:43], v[124:125], v[58:59], v[42:43]
	v_fma_f64 v[27:28], v[118:119], v[58:59], v[27:28]
	v_fma_f64 v[34:35], v[120:121], v[58:59], v[34:35]
	v_fma_f64 v[36:37], -v[128:129], v[60:61], v[36:37]
	v_fma_f64 v[21:22], v[126:127], v[60:61], v[21:22]
	v_fma_f64 v[14:15], -v[132:133], v[60:61], v[14:15]
	v_fma_f64 v[12:13], v[130:131], v[60:61], v[12:13]
	;; [unrolled: 2-line block ×4, first 2 shown]
	s_waitcnt vmcnt(13)
	v_fma_f64 v[36:37], v[66:67], v[62:63], v[36:37]
	v_fma_f64 v[21:22], v[68:69], v[62:63], v[21:22]
	s_waitcnt vmcnt(12)
	v_fma_f64 v[14:15], v[70:71], v[62:63], v[14:15]
	v_fma_f64 v[12:13], v[72:73], v[62:63], v[12:13]
	;; [unrolled: 3-line block ×4, first 2 shown]
	v_fma_f64 v[36:37], -v[68:69], v[64:65], v[36:37]
	v_fma_f64 v[21:22], v[66:67], v[64:65], v[21:22]
	v_fma_f64 v[14:15], -v[72:73], v[64:65], v[14:15]
	v_fma_f64 v[12:13], v[70:71], v[64:65], v[12:13]
	;; [unrolled: 2-line block ×4, first 2 shown]
	s_waitcnt vmcnt(5)
	v_fma_f64 v[36:37], v[94:95], v[98:99], v[36:37]
	v_fma_f64 v[21:22], v[96:97], v[98:99], v[21:22]
	;; [unrolled: 1-line block ×8, first 2 shown]
	v_fma_f64 v[36:37], -v[96:97], v[100:101], v[36:37]
	v_fma_f64 v[21:22], v[94:95], v[100:101], v[21:22]
	v_fma_f64 v[14:15], -v[92:93], v[100:101], v[14:15]
	v_fma_f64 v[12:13], v[90:91], v[100:101], v[12:13]
	;; [unrolled: 2-line block ×4, first 2 shown]
	s_waitcnt vmcnt(3)
	v_fma_f64 v[36:37], v[8:9], v[102:103], v[36:37]
	v_fma_f64 v[44:45], v[10:11], v[102:103], v[21:22]
	s_waitcnt vmcnt(2)
	v_fma_f64 v[14:15], v[23:24], v[102:103], v[14:15]
	v_fma_f64 v[46:47], v[25:26], v[102:103], v[12:13]
	s_waitcnt vmcnt(1)
	v_fma_f64 v[38:39], v[29:30], v[102:103], v[38:39]
	v_fma_f64 v[42:43], v[31:32], v[102:103], v[42:43]
	s_waitcnt vmcnt(0)
	v_fma_f64 v[48:49], v[106:107], v[102:103], v[27:28]
	v_fma_f64 v[34:35], v[108:109], v[102:103], v[34:35]
	v_fma_f64 v[21:22], -v[10:11], v[104:105], v[36:37]
	v_fma_f64 v[12:13], v[8:9], v[104:105], v[44:45]
	v_fma_f64 v[27:28], -v[25:26], v[104:105], v[14:15]
	v_fma_f64 v[14:15], v[23:24], v[104:105], v[46:47]
	;; [unrolled: 2-line block ×4, first 2 shown]
	s_and_not1_b32 exec_lo, exec_lo, s7
	s_cbranch_execnz .LBB17_35
; %bb.36:
	s_or_b32 exec_lo, exec_lo, s7
.LBB17_37:
	s_delay_alu instid0(SALU_CYCLE_1)
	s_or_b32 exec_lo, exec_lo, s6
.LBB17_38:
	s_delay_alu instid0(SALU_CYCLE_1)
	s_or_b32 exec_lo, exec_lo, s1
.LBB17_39:
	v_mbcnt_lo_u32_b32 v44, -1, 0
	s_delay_alu instid0(VALU_DEP_1) | instskip(NEXT) | instid1(VALU_DEP_1)
	v_xor_b32_e32 v4, 8, v44
	v_cmp_gt_i32_e32 vcc_lo, 32, v4
	v_cndmask_b32_e32 v4, v44, v4, vcc_lo
	s_delay_alu instid0(VALU_DEP_1)
	v_lshlrev_b32_e32 v40, 2, v4
	ds_bpermute_b32 v4, v40, v21
	ds_bpermute_b32 v5, v40, v22
	;; [unrolled: 1-line block ×6, first 2 shown]
	s_waitcnt lgkmcnt(0)
	v_add_f64 v[4:5], v[21:22], v[4:5]
	v_add_f64 v[21:22], v[23:24], v[33:34]
	;; [unrolled: 1-line block ×3, first 2 shown]
	v_xor_b32_e32 v25, 4, v44
	s_delay_alu instid0(VALU_DEP_1)
	v_cmp_gt_i32_e32 vcc_lo, 32, v25
	v_cndmask_b32_e32 v25, v44, v25, vcc_lo
	ds_bpermute_b32 v6, v40, v12
	ds_bpermute_b32 v7, v40, v13
	;; [unrolled: 1-line block ×10, first 2 shown]
	s_waitcnt lgkmcnt(8)
	v_add_f64 v[6:7], v[12:13], v[6:7]
	s_waitcnt lgkmcnt(6)
	v_add_f64 v[12:13], v[27:28], v[29:30]
	;; [unrolled: 2-line block ×5, first 2 shown]
	v_lshlrev_b32_e32 v40, 2, v25
	ds_bpermute_b32 v25, v40, v4
	ds_bpermute_b32 v26, v40, v5
	;; [unrolled: 1-line block ×6, first 2 shown]
	s_waitcnt lgkmcnt(4)
	v_add_f64 v[4:5], v[4:5], v[25:26]
	s_waitcnt lgkmcnt(2)
	v_add_f64 v[21:22], v[21:22], v[33:34]
	ds_bpermute_b32 v27, v40, v6
	ds_bpermute_b32 v28, v40, v7
	;; [unrolled: 1-line block ×10, first 2 shown]
	s_waitcnt lgkmcnt(10)
	v_add_f64 v[25:26], v[23:24], v[35:36]
	s_waitcnt lgkmcnt(8)
	v_add_f64 v[6:7], v[6:7], v[27:28]
	;; [unrolled: 2-line block ×6, first 2 shown]
	v_xor_b32_e32 v8, 2, v44
	s_delay_alu instid0(VALU_DEP_1) | instskip(SKIP_1) | instid1(VALU_DEP_1)
	v_cmp_gt_i32_e32 vcc_lo, 32, v8
	v_cndmask_b32_e32 v8, v44, v8, vcc_lo
	v_lshlrev_b32_e32 v27, 2, v8
	ds_bpermute_b32 v8, v27, v4
	ds_bpermute_b32 v9, v27, v5
	;; [unrolled: 1-line block ×16, first 2 shown]
	s_waitcnt lgkmcnt(14)
	v_add_f64 v[4:5], v[4:5], v[8:9]
	s_waitcnt lgkmcnt(12)
	v_add_f64 v[8:9], v[21:22], v[35:36]
	v_xor_b32_e32 v21, 1, v44
	s_delay_alu instid0(VALU_DEP_1)
	v_cmp_gt_i32_e32 vcc_lo, 32, v21
	s_waitcnt lgkmcnt(8)
	v_add_f64 v[27:28], v[6:7], v[23:24]
	s_waitcnt lgkmcnt(6)
	v_add_f64 v[6:7], v[12:13], v[31:32]
	;; [unrolled: 2-line block ×3, first 2 shown]
	v_add_f64 v[14:15], v[25:26], v[37:38]
	s_waitcnt lgkmcnt(2)
	v_add_f64 v[10:11], v[10:11], v[39:40]
	v_cndmask_b32_e32 v21, v44, v21, vcc_lo
	s_waitcnt lgkmcnt(0)
	v_add_f64 v[12:13], v[29:30], v[42:43]
	v_cmp_eq_u32_e32 vcc_lo, 15, v41
	s_delay_alu instid0(VALU_DEP_3)
	v_lshlrev_b32_e32 v34, 2, v21
	ds_bpermute_b32 v21, v34, v4
	ds_bpermute_b32 v22, v34, v5
	;; [unrolled: 1-line block ×16, first 2 shown]
	s_and_b32 exec_lo, exec_lo, vcc_lo
	s_cbranch_execz .LBB17_12
; %bb.40:
	s_waitcnt lgkmcnt(10)
	v_add_f64 v[27:28], v[27:28], v[39:40]
	s_waitcnt lgkmcnt(6)
	v_add_f64 v[23:24], v[23:24], v[37:38]
	;; [unrolled: 2-line block ×4, first 2 shown]
	v_add_f64 v[4:5], v[4:5], v[21:22]
	v_add_f64 v[6:7], v[6:7], v[25:26]
	;; [unrolled: 1-line block ×4, first 2 shown]
	v_cmp_eq_f64_e32 vcc_lo, 0, v[16:17]
	v_cmp_eq_f64_e64 s0, 0, v[18:19]
	s_load_b64 s[2:3], s[2:3], 0x60
	v_lshlrev_b32_e32 v20, 2, v20
	v_mul_f64 v[8:9], v[27:28], -v[2:3]
	v_mul_f64 v[10:11], v[0:1], v[27:28]
	v_mul_f64 v[27:28], v[23:24], -v[2:3]
	v_mul_f64 v[23:24], v[0:1], v[23:24]
	;; [unrolled: 2-line block ×4, first 2 shown]
	s_and_b32 s0, vcc_lo, s0
	v_fma_f64 v[12:13], v[0:1], v[4:5], v[8:9]
	v_fma_f64 v[14:15], v[2:3], v[4:5], v[10:11]
	v_fma_f64 v[8:9], v[0:1], v[6:7], v[27:28]
	v_fma_f64 v[10:11], v[2:3], v[6:7], v[23:24]
	v_fma_f64 v[4:5], v[0:1], v[21:22], v[29:30]
	v_fma_f64 v[6:7], v[2:3], v[21:22], v[31:32]
	v_fma_f64 v[0:1], v[0:1], v[25:26], v[33:34]
	v_fma_f64 v[2:3], v[2:3], v[25:26], v[35:36]
	s_and_saveexec_b32 s1, s0
	s_delay_alu instid0(SALU_CYCLE_1)
	s_xor_b32 s0, exec_lo, s1
	s_cbranch_execz .LBB17_42
; %bb.41:
	v_ashrrev_i32_e32 v21, 31, v20
                                        ; implicit-def: $vgpr18_vgpr19
	s_delay_alu instid0(VALU_DEP_1) | instskip(SKIP_1) | instid1(VALU_DEP_1)
	v_lshlrev_b64 v[16:17], 4, v[20:21]
                                        ; implicit-def: $vgpr20
	s_waitcnt lgkmcnt(0)
	v_add_co_u32 v16, vcc_lo, s2, v16
	s_delay_alu instid0(VALU_DEP_2)
	v_add_co_ci_u32_e32 v17, vcc_lo, s3, v17, vcc_lo
	s_clause 0x3
	global_store_b128 v[16:17], v[12:15], off
	global_store_b128 v[16:17], v[8:11], off offset:16
	global_store_b128 v[16:17], v[4:7], off offset:32
	;; [unrolled: 1-line block ×3, first 2 shown]
                                        ; implicit-def: $vgpr16_vgpr17
                                        ; implicit-def: $vgpr12_vgpr13
                                        ; implicit-def: $vgpr8_vgpr9
                                        ; implicit-def: $vgpr4_vgpr5
                                        ; implicit-def: $vgpr0_vgpr1
.LBB17_42:
	s_and_not1_saveexec_b32 s0, s0
	s_cbranch_execz .LBB17_12
; %bb.43:
	v_ashrrev_i32_e32 v21, 31, v20
	s_delay_alu instid0(VALU_DEP_1) | instskip(SKIP_1) | instid1(VALU_DEP_1)
	v_lshlrev_b64 v[20:21], 4, v[20:21]
	s_waitcnt lgkmcnt(0)
	v_add_co_u32 v36, vcc_lo, s2, v20
	s_delay_alu instid0(VALU_DEP_2)
	v_add_co_ci_u32_e32 v37, vcc_lo, s3, v21, vcc_lo
	s_clause 0x3
	global_load_b128 v[20:23], v[36:37], off
	global_load_b128 v[24:27], v[36:37], off offset:16
	global_load_b128 v[28:31], v[36:37], off offset:32
	;; [unrolled: 1-line block ×3, first 2 shown]
	s_waitcnt vmcnt(3)
	v_fma_f64 v[12:13], v[16:17], v[20:21], v[12:13]
	v_fma_f64 v[14:15], v[18:19], v[20:21], v[14:15]
	s_waitcnt vmcnt(2)
	v_fma_f64 v[8:9], v[16:17], v[24:25], v[8:9]
	v_fma_f64 v[10:11], v[18:19], v[24:25], v[10:11]
	;; [unrolled: 3-line block ×4, first 2 shown]
	v_fma_f64 v[0:1], -v[18:19], v[22:23], v[12:13]
	v_fma_f64 v[2:3], v[16:17], v[22:23], v[14:15]
	v_fma_f64 v[4:5], -v[18:19], v[26:27], v[8:9]
	v_fma_f64 v[6:7], v[16:17], v[26:27], v[10:11]
	;; [unrolled: 2-line block ×4, first 2 shown]
	s_clause 0x3
	global_store_b128 v[36:37], v[0:3], off
	global_store_b128 v[36:37], v[4:7], off offset:16
	global_store_b128 v[36:37], v[8:11], off offset:32
	;; [unrolled: 1-line block ×3, first 2 shown]
	s_nop 0
	s_sendmsg sendmsg(MSG_DEALLOC_VGPRS)
	s_endpgm
	.section	.rodata,"a",@progbits
	.p2align	6, 0x0
	.amdhsa_kernel _ZN9rocsparseL18bsrxmvn_4x4_kernelILj128ELj16E21rocsparse_complex_numIdEiiS2_S2_S2_EEvT3_20rocsparse_direction_NS_24const_host_device_scalarIT1_EES3_PKS3_PKT2_SC_S9_PKT4_PKT5_S7_PT6_21rocsparse_index_base_b
		.amdhsa_group_segment_fixed_size 2048
		.amdhsa_private_segment_fixed_size 0
		.amdhsa_kernarg_size 112
		.amdhsa_user_sgpr_count 15
		.amdhsa_user_sgpr_dispatch_ptr 1
		.amdhsa_user_sgpr_queue_ptr 0
		.amdhsa_user_sgpr_kernarg_segment_ptr 1
		.amdhsa_user_sgpr_dispatch_id 0
		.amdhsa_user_sgpr_private_segment_size 0
		.amdhsa_wavefront_size32 1
		.amdhsa_uses_dynamic_stack 0
		.amdhsa_enable_private_segment 0
		.amdhsa_system_sgpr_workgroup_id_x 1
		.amdhsa_system_sgpr_workgroup_id_y 0
		.amdhsa_system_sgpr_workgroup_id_z 0
		.amdhsa_system_sgpr_workgroup_info 0
		.amdhsa_system_vgpr_workitem_id 2
		.amdhsa_next_free_vgpr 156
		.amdhsa_next_free_sgpr 18
		.amdhsa_reserve_vcc 1
		.amdhsa_float_round_mode_32 0
		.amdhsa_float_round_mode_16_64 0
		.amdhsa_float_denorm_mode_32 3
		.amdhsa_float_denorm_mode_16_64 3
		.amdhsa_dx10_clamp 1
		.amdhsa_ieee_mode 1
		.amdhsa_fp16_overflow 0
		.amdhsa_workgroup_processor_mode 1
		.amdhsa_memory_ordered 1
		.amdhsa_forward_progress 0
		.amdhsa_shared_vgpr_count 0
		.amdhsa_exception_fp_ieee_invalid_op 0
		.amdhsa_exception_fp_denorm_src 0
		.amdhsa_exception_fp_ieee_div_zero 0
		.amdhsa_exception_fp_ieee_overflow 0
		.amdhsa_exception_fp_ieee_underflow 0
		.amdhsa_exception_fp_ieee_inexact 0
		.amdhsa_exception_int_div_zero 0
	.end_amdhsa_kernel
	.section	.text._ZN9rocsparseL18bsrxmvn_4x4_kernelILj128ELj16E21rocsparse_complex_numIdEiiS2_S2_S2_EEvT3_20rocsparse_direction_NS_24const_host_device_scalarIT1_EES3_PKS3_PKT2_SC_S9_PKT4_PKT5_S7_PT6_21rocsparse_index_base_b,"axG",@progbits,_ZN9rocsparseL18bsrxmvn_4x4_kernelILj128ELj16E21rocsparse_complex_numIdEiiS2_S2_S2_EEvT3_20rocsparse_direction_NS_24const_host_device_scalarIT1_EES3_PKS3_PKT2_SC_S9_PKT4_PKT5_S7_PT6_21rocsparse_index_base_b,comdat
.Lfunc_end17:
	.size	_ZN9rocsparseL18bsrxmvn_4x4_kernelILj128ELj16E21rocsparse_complex_numIdEiiS2_S2_S2_EEvT3_20rocsparse_direction_NS_24const_host_device_scalarIT1_EES3_PKS3_PKT2_SC_S9_PKT4_PKT5_S7_PT6_21rocsparse_index_base_b, .Lfunc_end17-_ZN9rocsparseL18bsrxmvn_4x4_kernelILj128ELj16E21rocsparse_complex_numIdEiiS2_S2_S2_EEvT3_20rocsparse_direction_NS_24const_host_device_scalarIT1_EES3_PKS3_PKT2_SC_S9_PKT4_PKT5_S7_PT6_21rocsparse_index_base_b
                                        ; -- End function
	.section	.AMDGPU.csdata,"",@progbits
; Kernel info:
; codeLenInByte = 11036
; NumSgprs: 20
; NumVgprs: 156
; ScratchSize: 0
; MemoryBound: 1
; FloatMode: 240
; IeeeMode: 1
; LDSByteSize: 2048 bytes/workgroup (compile time only)
; SGPRBlocks: 2
; VGPRBlocks: 19
; NumSGPRsForWavesPerEU: 20
; NumVGPRsForWavesPerEU: 156
; Occupancy: 9
; WaveLimiterHint : 1
; COMPUTE_PGM_RSRC2:SCRATCH_EN: 0
; COMPUTE_PGM_RSRC2:USER_SGPR: 15
; COMPUTE_PGM_RSRC2:TRAP_HANDLER: 0
; COMPUTE_PGM_RSRC2:TGID_X_EN: 1
; COMPUTE_PGM_RSRC2:TGID_Y_EN: 0
; COMPUTE_PGM_RSRC2:TGID_Z_EN: 0
; COMPUTE_PGM_RSRC2:TIDIG_COMP_CNT: 2
	.section	.text._ZN9rocsparseL18bsrxmvn_4x4_kernelILj128ELj32E21rocsparse_complex_numIdEiiS2_S2_S2_EEvT3_20rocsparse_direction_NS_24const_host_device_scalarIT1_EES3_PKS3_PKT2_SC_S9_PKT4_PKT5_S7_PT6_21rocsparse_index_base_b,"axG",@progbits,_ZN9rocsparseL18bsrxmvn_4x4_kernelILj128ELj32E21rocsparse_complex_numIdEiiS2_S2_S2_EEvT3_20rocsparse_direction_NS_24const_host_device_scalarIT1_EES3_PKS3_PKT2_SC_S9_PKT4_PKT5_S7_PT6_21rocsparse_index_base_b,comdat
	.globl	_ZN9rocsparseL18bsrxmvn_4x4_kernelILj128ELj32E21rocsparse_complex_numIdEiiS2_S2_S2_EEvT3_20rocsparse_direction_NS_24const_host_device_scalarIT1_EES3_PKS3_PKT2_SC_S9_PKT4_PKT5_S7_PT6_21rocsparse_index_base_b ; -- Begin function _ZN9rocsparseL18bsrxmvn_4x4_kernelILj128ELj32E21rocsparse_complex_numIdEiiS2_S2_S2_EEvT3_20rocsparse_direction_NS_24const_host_device_scalarIT1_EES3_PKS3_PKT2_SC_S9_PKT4_PKT5_S7_PT6_21rocsparse_index_base_b
	.p2align	8
	.type	_ZN9rocsparseL18bsrxmvn_4x4_kernelILj128ELj32E21rocsparse_complex_numIdEiiS2_S2_S2_EEvT3_20rocsparse_direction_NS_24const_host_device_scalarIT1_EES3_PKS3_PKT2_SC_S9_PKT4_PKT5_S7_PT6_21rocsparse_index_base_b,@function
_ZN9rocsparseL18bsrxmvn_4x4_kernelILj128ELj32E21rocsparse_complex_numIdEiiS2_S2_S2_EEvT3_20rocsparse_direction_NS_24const_host_device_scalarIT1_EES3_PKS3_PKT2_SC_S9_PKT4_PKT5_S7_PT6_21rocsparse_index_base_b: ; @_ZN9rocsparseL18bsrxmvn_4x4_kernelILj128ELj32E21rocsparse_complex_numIdEiiS2_S2_S2_EEvT3_20rocsparse_direction_NS_24const_host_device_scalarIT1_EES3_PKS3_PKT2_SC_S9_PKT4_PKT5_S7_PT6_21rocsparse_index_base_b
; %bb.0:
	s_load_b64 s[12:13], s[2:3], 0x68
	s_load_b64 s[16:17], s[0:1], 0x4
	s_load_b128 s[8:11], s[2:3], 0x8
	v_bfe_u32 v1, v0, 10, 10
	s_mov_b64 s[0:1], src_shared_base
	s_load_b128 s[4:7], s[2:3], 0x50
	v_and_b32_e32 v4, 0x3ff, v0
	v_bfe_u32 v0, v0, 20, 10
	s_waitcnt lgkmcnt(0)
	s_bitcmp1_b32 s13, 0
	v_mul_u32_u24_e32 v1, s17, v1
	s_cselect_b32 s0, -1, 0
	s_delay_alu instid0(SALU_CYCLE_1)
	s_and_b32 vcc_lo, s0, exec_lo
	s_cselect_b32 s13, s1, s9
	s_lshr_b32 s14, s16, 16
	v_mov_b32_e32 v2, s4
	s_mul_i32 s14, s14, s17
	v_mov_b32_e32 v7, s13
	v_mad_u32_u24 v1, s14, v4, v1
	v_mov_b32_e32 v3, s5
	s_delay_alu instid0(VALU_DEP_2) | instskip(SKIP_1) | instid1(VALU_DEP_2)
	v_add_lshl_u32 v5, v1, v0, 3
	v_dual_mov_b32 v0, s8 :: v_dual_mov_b32 v1, s9
	v_add_nc_u32_e32 v6, 0x400, v5
	ds_store_2addr_stride64_b64 v5, v[2:3], v[0:1] offset1:2
	v_dual_mov_b32 v2, s10 :: v_dual_mov_b32 v3, s11
	v_cndmask_b32_e64 v6, s8, v6, s0
	s_xor_b32 s10, s0, -1
	flat_load_b64 v[0:1], v[6:7]
	s_cbranch_vccnz .LBB18_2
; %bb.1:
	v_dual_mov_b32 v2, s8 :: v_dual_mov_b32 v3, s9
	flat_load_b64 v[2:3], v[2:3] offset:8
.LBB18_2:
	s_and_b32 s8, s0, exec_lo
	s_cselect_b32 s1, s1, s5
	v_cndmask_b32_e64 v5, s4, v5, s0
	v_dual_mov_b32 v6, s1 :: v_dual_mov_b32 v19, s7
	v_mov_b32_e32 v18, s6
	s_and_not1_b32 vcc_lo, exec_lo, s10
	flat_load_b64 v[16:17], v[5:6]
	s_cbranch_vccnz .LBB18_4
; %bb.3:
	v_dual_mov_b32 v6, s5 :: v_dual_mov_b32 v5, s4
	flat_load_b64 v[18:19], v[5:6] offset:8
.LBB18_4:
	s_waitcnt vmcnt(1) lgkmcnt(1)
	v_cmp_eq_f64_e32 vcc_lo, 0, v[0:1]
	v_cmp_eq_f64_e64 s0, 0, v[2:3]
	s_delay_alu instid0(VALU_DEP_1)
	s_and_b32 s4, vcc_lo, s0
	s_mov_b32 s0, -1
	s_and_saveexec_b32 s1, s4
	s_cbranch_execz .LBB18_6
; %bb.5:
	s_waitcnt vmcnt(0) lgkmcnt(0)
	v_cmp_neq_f64_e32 vcc_lo, 1.0, v[16:17]
	v_cmp_neq_f64_e64 s0, 0, v[18:19]
	s_delay_alu instid0(VALU_DEP_1) | instskip(NEXT) | instid1(SALU_CYCLE_1)
	s_or_b32 s0, vcc_lo, s0
	s_or_not1_b32 s0, s0, exec_lo
.LBB18_6:
	s_or_b32 exec_lo, exec_lo, s1
	s_and_saveexec_b32 s1, s0
	s_cbranch_execz .LBB18_12
; %bb.7:
	s_clause 0x1
	s_load_b64 s[4:5], s[2:3], 0x20
	s_load_b64 s[0:1], s[2:3], 0x0
	v_lshrrev_b32_e32 v5, 5, v4
	s_delay_alu instid0(VALU_DEP_1)
	v_lshl_or_b32 v20, s15, 2, v5
	s_waitcnt lgkmcnt(0)
	s_cmp_lg_u64 s[4:5], 0
	s_cbranch_scc0 .LBB18_13
; %bb.8:
	s_load_b32 s6, s[2:3], 0x18
	s_mov_b32 s7, 0
                                        ; implicit-def: $vgpr5
	s_waitcnt lgkmcnt(0)
	v_cmp_gt_i32_e32 vcc_lo, s6, v20
	s_mov_b32 s6, 0
	s_and_saveexec_b32 s8, vcc_lo
	s_delay_alu instid0(SALU_CYCLE_1)
	s_xor_b32 s8, exec_lo, s8
	s_cbranch_execz .LBB18_10
; %bb.9:
	v_ashrrev_i32_e32 v21, 31, v20
	s_mov_b32 s6, exec_lo
	s_delay_alu instid0(VALU_DEP_1) | instskip(NEXT) | instid1(VALU_DEP_1)
	v_lshlrev_b64 v[5:6], 2, v[20:21]
	v_add_co_u32 v5, vcc_lo, s4, v5
	s_delay_alu instid0(VALU_DEP_2)
	v_add_co_ci_u32_e32 v6, vcc_lo, s5, v6, vcc_lo
	global_load_b32 v5, v[5:6], off
	s_waitcnt vmcnt(0)
	v_subrev_nc_u32_e32 v5, s12, v5
.LBB18_10:
	s_or_b32 exec_lo, exec_lo, s8
	s_delay_alu instid0(SALU_CYCLE_1)
	s_and_b32 vcc_lo, exec_lo, s7
	s_cbranch_vccz .LBB18_14
.LBB18_11:
	v_cmp_gt_i32_e32 vcc_lo, s0, v20
	s_and_not1_b32 s0, s6, exec_lo
	s_and_b32 s4, vcc_lo, exec_lo
	s_delay_alu instid0(SALU_CYCLE_1) | instskip(NEXT) | instid1(SALU_CYCLE_1)
	s_or_b32 s6, s0, s4
	s_and_b32 exec_lo, exec_lo, s6
	s_cbranch_execnz .LBB18_15
.LBB18_12:
	s_nop 0
	s_sendmsg sendmsg(MSG_DEALLOC_VGPRS)
	s_endpgm
.LBB18_13:
	s_mov_b32 s6, 0
                                        ; implicit-def: $vgpr5
	s_cbranch_execnz .LBB18_11
.LBB18_14:
	s_delay_alu instid0(VALU_DEP_1)
	v_mov_b32_e32 v20, v5
	s_and_b32 exec_lo, exec_lo, s6
	s_cbranch_execz .LBB18_12
.LBB18_15:
	s_load_b256 s[4:11], s[2:3], 0x28
	s_delay_alu instid0(VALU_DEP_1) | instskip(SKIP_1) | instid1(VALU_DEP_2)
	v_ashrrev_i32_e32 v21, 31, v20
	v_and_b32_e32 v41, 31, v4
	v_lshlrev_b64 v[5:6], 2, v[20:21]
	s_waitcnt lgkmcnt(0)
	s_delay_alu instid0(VALU_DEP_1) | instskip(NEXT) | instid1(VALU_DEP_2)
	v_add_co_u32 v7, vcc_lo, s4, v5
	v_add_co_ci_u32_e32 v8, vcc_lo, s5, v6, vcc_lo
	v_add_co_u32 v5, vcc_lo, s6, v5
	v_add_co_ci_u32_e32 v6, vcc_lo, s7, v6, vcc_lo
	global_load_b32 v34, v[7:8], off
	v_add_co_u32 v7, vcc_lo, v7, 4
	v_add_co_ci_u32_e32 v8, vcc_lo, 0, v8, vcc_lo
	s_cmp_eq_u64 s[6:7], 0
	s_load_b64 s[4:5], s[2:3], 0x48
	s_cselect_b32 vcc_lo, -1, 0
	s_cmp_eq_u32 s1, 1
	v_dual_cndmask_b32 v6, v6, v8 :: v_dual_cndmask_b32 v5, v5, v7
	global_load_b32 v8, v[5:6], off
	s_waitcnt vmcnt(1)
	v_subrev_nc_u32_e32 v4, s12, v34
	s_delay_alu instid0(VALU_DEP_1) | instskip(NEXT) | instid1(VALU_DEP_1)
	v_add_nc_u32_e32 v4, v4, v41
	v_ashrrev_i32_e32 v5, 31, v4
	s_waitcnt vmcnt(0)
	v_subrev_nc_u32_e32 v33, s12, v8
	s_delay_alu instid0(VALU_DEP_2) | instskip(NEXT) | instid1(VALU_DEP_2)
	v_lshlrev_b64 v[6:7], 8, v[4:5]
	v_cmp_lt_i32_e64 s0, v4, v33
	s_delay_alu instid0(VALU_DEP_2) | instskip(NEXT) | instid1(VALU_DEP_3)
	v_add_co_u32 v6, vcc_lo, s10, v6
	v_add_co_ci_u32_e32 v7, vcc_lo, s11, v7, vcc_lo
	s_cbranch_scc1 .LBB18_27
; %bb.16:
	v_mov_b32_e32 v12, 0
	v_mov_b32_e32 v13, 0
	s_delay_alu instid0(VALU_DEP_2) | instskip(NEXT) | instid1(VALU_DEP_2)
	v_mov_b32_e32 v10, v12
	v_dual_mov_b32 v8, v12 :: v_dual_mov_b32 v9, v13
	v_dual_mov_b32 v22, v13 :: v_dual_mov_b32 v21, v12
	v_mov_b32_e32 v11, v13
	v_dual_mov_b32 v24, v13 :: v_dual_mov_b32 v23, v12
	v_dual_mov_b32 v26, v13 :: v_dual_mov_b32 v25, v12
	;; [unrolled: 1-line block ×4, first 2 shown]
	s_and_saveexec_b32 s6, s0
	s_cbranch_execz .LBB18_26
; %bb.17:
	v_dual_mov_b32 v14, 0 :: v_dual_add_nc_u32 v5, v34, v41
	v_not_b32_e32 v8, v34
	v_mov_b32_e32 v31, v4
	s_mov_b32 s10, 0
	s_delay_alu instid0(VALU_DEP_3) | instskip(SKIP_1) | instid1(VALU_DEP_1)
	v_subrev_nc_u32_e32 v5, s12, v5
	s_mov_b32 s7, exec_lo
	v_dual_mov_b32 v30, v7 :: v_dual_add_nc_u32 v5, 32, v5
	s_delay_alu instid0(VALU_DEP_1) | instskip(NEXT) | instid1(VALU_DEP_1)
	v_max_i32_e32 v5, v5, v33
	v_add3_u32 v5, v5, s12, v8
	s_delay_alu instid0(VALU_DEP_1) | instskip(NEXT) | instid1(VALU_DEP_1)
	v_sub_nc_u32_e32 v5, v5, v41
	v_lshrrev_b32_e32 v8, 5, v5
	s_delay_alu instid0(VALU_DEP_1) | instskip(NEXT) | instid1(VALU_DEP_1)
	v_dual_mov_b32 v15, 0 :: v_dual_add_nc_u32 v8, 1, v8
	v_dual_mov_b32 v29, v6 :: v_dual_mov_b32 v28, v15
	v_dual_mov_b32 v27, v14 :: v_dual_mov_b32 v26, v15
	;; [unrolled: 1-line block ×3, first 2 shown]
	s_delay_alu instid0(VALU_DEP_4)
	v_dual_mov_b32 v23, v14 :: v_dual_and_b32 v32, 3, v8
	v_dual_mov_b32 v8, v14 :: v_dual_mov_b32 v9, v15
	v_dual_mov_b32 v10, v14 :: v_dual_mov_b32 v11, v15
	;; [unrolled: 1-line block ×4, first 2 shown]
	v_cmpx_ne_u32_e32 0, v32
	s_cbranch_execz .LBB18_21
; %bb.18:
	v_dual_mov_b32 v12, 0 :: v_dual_lshlrev_b32 v35, 8, v32
	v_dual_mov_b32 v13, 0 :: v_dual_mov_b32 v30, v7
	v_mov_b32_e32 v31, v4
	s_delay_alu instid0(VALU_DEP_3) | instskip(NEXT) | instid1(VALU_DEP_3)
	v_dual_mov_b32 v29, v6 :: v_dual_mov_b32 v10, v12
	v_dual_mov_b32 v22, v13 :: v_dual_mov_b32 v21, v12
	;; [unrolled: 1-line block ×3, first 2 shown]
	v_mov_b32_e32 v26, v13
	v_dual_mov_b32 v11, v13 :: v_dual_mov_b32 v8, v12
	v_dual_mov_b32 v25, v12 :: v_dual_mov_b32 v28, v13
	v_mov_b32_e32 v15, v13
	v_dual_mov_b32 v9, v13 :: v_dual_mov_b32 v14, v12
	v_mov_b32_e32 v27, v12
.LBB18_19:                              ; =>This Inner Loop Header: Depth=1
	v_ashrrev_i32_e32 v32, 31, v31
	v_add_nc_u32_e32 v35, 0xffffff00, v35
	s_delay_alu instid0(VALU_DEP_2) | instskip(NEXT) | instid1(VALU_DEP_2)
	v_lshlrev_b64 v[36:37], 2, v[31:32]
	v_cmp_eq_u32_e64 s1, 0, v35
	v_add_nc_u32_e32 v31, 32, v31
	s_delay_alu instid0(VALU_DEP_2) | instskip(NEXT) | instid1(VALU_DEP_3)
	s_or_b32 s10, s1, s10
	v_add_co_u32 v36, vcc_lo, s8, v36
	s_delay_alu instid0(VALU_DEP_4)
	v_add_co_ci_u32_e32 v37, vcc_lo, s9, v37, vcc_lo
	global_load_b32 v32, v[36:37], off
	s_clause 0x7
	global_load_b128 v[36:39], v[29:30], off offset:16
	global_load_b128 v[42:45], v[29:30], off
	global_load_b128 v[46:49], v[29:30], off offset:80
	global_load_b128 v[50:53], v[29:30], off offset:64
	;; [unrolled: 1-line block ×6, first 2 shown]
	s_waitcnt vmcnt(8)
	v_subrev_nc_u32_e32 v32, s12, v32
	s_delay_alu instid0(VALU_DEP_1) | instskip(NEXT) | instid1(VALU_DEP_1)
	v_lshlrev_b32_e32 v70, 2, v32
	v_ashrrev_i32_e32 v71, 31, v70
	s_delay_alu instid0(VALU_DEP_1) | instskip(SKIP_1) | instid1(VALU_DEP_1)
	v_lshlrev_b64 v[70:71], 4, v[70:71]
	s_waitcnt lgkmcnt(0)
	v_add_co_u32 v114, vcc_lo, s4, v70
	s_delay_alu instid0(VALU_DEP_2)
	v_add_co_ci_u32_e32 v115, vcc_lo, s5, v71, vcc_lo
	s_clause 0x1
	global_load_b128 v[70:73], v[114:115], off
	global_load_b128 v[74:77], v[114:115], off offset:16
	s_clause 0x7
	global_load_b128 v[78:81], v[29:30], off offset:48
	global_load_b128 v[82:85], v[29:30], off offset:32
	;; [unrolled: 1-line block ×8, first 2 shown]
	s_clause 0x1
	global_load_b128 v[110:113], v[114:115], off offset:32
	global_load_b128 v[114:117], v[114:115], off offset:48
	v_add_co_u32 v29, vcc_lo, 0x2000, v29
	v_add_co_ci_u32_e32 v30, vcc_lo, 0, v30, vcc_lo
	s_waitcnt vmcnt(11)
	v_fma_f64 v[21:22], v[42:43], v[70:71], v[21:22]
	v_fma_f64 v[12:13], v[44:45], v[70:71], v[12:13]
	v_fma_f64 v[27:28], v[50:51], v[70:71], v[27:28]
	v_fma_f64 v[14:15], v[52:53], v[70:71], v[14:15]
	v_fma_f64 v[23:24], v[58:59], v[70:71], v[23:24]
	v_fma_f64 v[25:26], v[60:61], v[70:71], v[25:26]
	v_fma_f64 v[10:11], v[66:67], v[70:71], v[10:11]
	v_fma_f64 v[8:9], v[68:69], v[70:71], v[8:9]
	v_fma_f64 v[21:22], -v[44:45], v[72:73], v[21:22]
	v_fma_f64 v[12:13], v[42:43], v[72:73], v[12:13]
	v_fma_f64 v[27:28], -v[52:53], v[72:73], v[27:28]
	v_fma_f64 v[14:15], v[50:51], v[72:73], v[14:15]
	v_fma_f64 v[23:24], -v[60:61], v[72:73], v[23:24]
	v_fma_f64 v[25:26], v[58:59], v[72:73], v[25:26]
	v_fma_f64 v[10:11], -v[68:69], v[72:73], v[10:11]
	v_fma_f64 v[8:9], v[66:67], v[72:73], v[8:9]
	s_waitcnt vmcnt(10)
	v_fma_f64 v[21:22], v[36:37], v[74:75], v[21:22]
	v_fma_f64 v[12:13], v[38:39], v[74:75], v[12:13]
	v_fma_f64 v[27:28], v[46:47], v[74:75], v[27:28]
	v_fma_f64 v[14:15], v[48:49], v[74:75], v[14:15]
	v_fma_f64 v[23:24], v[54:55], v[74:75], v[23:24]
	v_fma_f64 v[25:26], v[56:57], v[74:75], v[25:26]
	v_fma_f64 v[10:11], v[62:63], v[74:75], v[10:11]
	v_fma_f64 v[8:9], v[64:65], v[74:75], v[8:9]
	v_fma_f64 v[21:22], -v[38:39], v[76:77], v[21:22]
	v_fma_f64 v[12:13], v[36:37], v[76:77], v[12:13]
	v_fma_f64 v[27:28], -v[48:49], v[76:77], v[27:28]
	v_fma_f64 v[14:15], v[46:47], v[76:77], v[14:15]
	v_fma_f64 v[23:24], -v[56:57], v[76:77], v[23:24]
	v_fma_f64 v[25:26], v[54:55], v[76:77], v[25:26]
	v_fma_f64 v[10:11], -v[64:65], v[76:77], v[10:11]
	v_fma_f64 v[8:9], v[62:63], v[76:77], v[8:9]
	;; [unrolled: 17-line block ×4, first 2 shown]
	s_and_not1_b32 exec_lo, exec_lo, s10
	s_cbranch_execnz .LBB18_19
; %bb.20:
	s_or_b32 exec_lo, exec_lo, s10
.LBB18_21:
	s_delay_alu instid0(SALU_CYCLE_1) | instskip(NEXT) | instid1(SALU_CYCLE_1)
	s_or_b32 exec_lo, exec_lo, s7
	s_mov_b32 s7, exec_lo
	v_cmpx_lt_u32_e32 0x5f, v5
	s_cbranch_execz .LBB18_25
; %bb.22:
	s_mov_b32 s10, 0
.LBB18_23:                              ; =>This Inner Loop Header: Depth=1
	v_ashrrev_i32_e32 v32, 31, v31
	s_delay_alu instid0(VALU_DEP_1) | instskip(SKIP_1) | instid1(VALU_DEP_2)
	v_lshlrev_b64 v[35:36], 2, v[31:32]
	v_add_nc_u32_e32 v31, 0x80, v31
	v_add_co_u32 v39, vcc_lo, s8, v35
	s_delay_alu instid0(VALU_DEP_3)
	v_add_co_ci_u32_e32 v40, vcc_lo, s9, v36, vcc_lo
	global_load_b32 v5, v[39:40], off
	s_clause 0x3
	global_load_b128 v[35:38], v[29:30], off
	global_load_b128 v[42:45], v[29:30], off offset:64
	global_load_b128 v[46:49], v[29:30], off offset:128
	;; [unrolled: 1-line block ×3, first 2 shown]
	s_clause 0x2
	global_load_b32 v32, v[39:40], off offset:128
	global_load_b32 v152, v[39:40], off offset:256
	;; [unrolled: 1-line block ×3, first 2 shown]
	s_waitcnt vmcnt(7)
	v_subrev_nc_u32_e32 v5, s12, v5
	s_delay_alu instid0(VALU_DEP_1) | instskip(SKIP_2) | instid1(VALU_DEP_2)
	v_lshlrev_b32_e32 v39, 2, v5
	s_waitcnt vmcnt(2)
	v_subrev_nc_u32_e32 v5, s12, v32
	v_ashrrev_i32_e32 v40, 31, v39
	s_delay_alu instid0(VALU_DEP_2) | instskip(SKIP_2) | instid1(VALU_DEP_3)
	v_lshlrev_b32_e32 v134, 2, v5
	s_waitcnt vmcnt(1)
	v_subrev_nc_u32_e32 v5, s12, v152
	v_lshlrev_b64 v[39:40], 4, v[39:40]
	s_delay_alu instid0(VALU_DEP_3) | instskip(NEXT) | instid1(VALU_DEP_3)
	v_ashrrev_i32_e32 v135, 31, v134
	v_lshlrev_b32_e32 v152, 2, v5
	s_waitcnt vmcnt(0)
	v_subrev_nc_u32_e32 v5, s12, v154
	s_delay_alu instid0(VALU_DEP_3)
	v_lshlrev_b64 v[134:135], 4, v[134:135]
	s_waitcnt lgkmcnt(0)
	v_add_co_u32 v39, vcc_lo, s4, v39
	v_add_co_ci_u32_e32 v40, vcc_lo, s5, v40, vcc_lo
	v_ashrrev_i32_e32 v153, 31, v152
	global_load_b128 v[54:57], v[39:40], off
	s_clause 0x3
	global_load_b128 v[58:61], v[29:30], off offset:16
	global_load_b128 v[62:65], v[29:30], off offset:80
	global_load_b128 v[66:69], v[29:30], off offset:144
	global_load_b128 v[70:73], v[29:30], off offset:208
	global_load_b128 v[74:77], v[39:40], off offset:16
	s_clause 0x3
	global_load_b128 v[78:81], v[29:30], off offset:96
	global_load_b128 v[82:85], v[29:30], off offset:160
	global_load_b128 v[86:89], v[29:30], off offset:224
	global_load_b128 v[90:93], v[29:30], off offset:32
	global_load_b128 v[94:97], v[39:40], off offset:32
	;; [unrolled: 6-line block ×3, first 2 shown]
	v_add_co_u32 v39, vcc_lo, 0x2000, v29
	v_add_co_ci_u32_e32 v40, vcc_lo, 0, v30, vcc_lo
	v_add_co_u32 v138, vcc_lo, s4, v134
	v_add_co_ci_u32_e32 v139, vcc_lo, s5, v135, vcc_lo
	s_clause 0x3
	global_load_b128 v[118:121], v[39:40], off
	global_load_b128 v[122:125], v[39:40], off offset:64
	global_load_b128 v[126:129], v[39:40], off offset:128
	;; [unrolled: 1-line block ×3, first 2 shown]
	v_add_co_u32 v150, vcc_lo, 0x4000, v29
	global_load_b128 v[134:137], v[138:139], off
	v_add_co_ci_u32_e32 v151, vcc_lo, 0, v30, vcc_lo
	s_waitcnt vmcnt(20)
	v_fma_f64 v[21:22], v[35:36], v[54:55], v[21:22]
	v_fma_f64 v[12:13], v[37:38], v[54:55], v[12:13]
	v_fma_f64 v[27:28], v[42:43], v[54:55], v[27:28]
	v_fma_f64 v[14:15], v[44:45], v[54:55], v[14:15]
	v_fma_f64 v[23:24], v[46:47], v[54:55], v[23:24]
	v_fma_f64 v[25:26], v[48:49], v[54:55], v[25:26]
	v_fma_f64 v[10:11], v[50:51], v[54:55], v[10:11]
	v_fma_f64 v[8:9], v[52:53], v[54:55], v[8:9]
	v_fma_f64 v[54:55], -v[37:38], v[56:57], v[21:22]
	v_fma_f64 v[140:141], v[35:36], v[56:57], v[12:13]
	v_fma_f64 v[44:45], -v[44:45], v[56:57], v[27:28]
	v_fma_f64 v[42:43], v[42:43], v[56:57], v[14:15]
	v_fma_f64 v[48:49], -v[48:49], v[56:57], v[23:24]
	v_fma_f64 v[46:47], v[46:47], v[56:57], v[25:26]
	v_fma_f64 v[52:53], -v[52:53], v[56:57], v[10:11]
	v_fma_f64 v[50:51], v[50:51], v[56:57], v[8:9]
	s_clause 0x3
	global_load_b128 v[8:11], v[39:40], off offset:16
	global_load_b128 v[12:15], v[39:40], off offset:80
	global_load_b128 v[21:24], v[39:40], off offset:144
	global_load_b128 v[25:28], v[39:40], off offset:208
	global_load_b128 v[35:38], v[138:139], off offset:16
	s_waitcnt vmcnt(20)
	v_fma_f64 v[54:55], v[58:59], v[74:75], v[54:55]
	v_fma_f64 v[56:57], v[60:61], v[74:75], v[140:141]
	v_fma_f64 v[44:45], v[62:63], v[74:75], v[44:45]
	v_fma_f64 v[42:43], v[64:65], v[74:75], v[42:43]
	v_fma_f64 v[48:49], v[66:67], v[74:75], v[48:49]
	v_fma_f64 v[46:47], v[68:69], v[74:75], v[46:47]
	v_fma_f64 v[52:53], v[70:71], v[74:75], v[52:53]
	v_fma_f64 v[50:51], v[72:73], v[74:75], v[50:51]
	v_fma_f64 v[74:75], -v[60:61], v[76:77], v[54:55]
	v_fma_f64 v[140:141], v[58:59], v[76:77], v[56:57]
	v_fma_f64 v[64:65], -v[64:65], v[76:77], v[44:45]
	v_fma_f64 v[62:63], v[62:63], v[76:77], v[42:43]
	v_fma_f64 v[68:69], -v[68:69], v[76:77], v[48:49]
	v_fma_f64 v[66:67], v[66:67], v[76:77], v[46:47]
	v_fma_f64 v[72:73], -v[72:73], v[76:77], v[52:53]
	v_fma_f64 v[70:71], v[70:71], v[76:77], v[50:51]
	s_clause 0x3
	global_load_b128 v[42:45], v[39:40], off offset:96
	global_load_b128 v[46:49], v[39:40], off offset:160
	global_load_b128 v[50:53], v[39:40], off offset:224
	global_load_b128 v[54:57], v[39:40], off offset:32
	global_load_b128 v[58:61], v[138:139], off offset:32
	;; [unrolled: 23-line block ×3, first 2 shown]
	s_waitcnt vmcnt(20)
	v_fma_f64 v[39:40], v[98:99], v[114:115], v[92:93]
	v_fma_f64 v[138:139], v[100:101], v[114:115], v[90:91]
	;; [unrolled: 1-line block ×8, first 2 shown]
	s_clause 0x3
	global_load_b128 v[82:85], v[150:151], off
	global_load_b128 v[86:89], v[150:151], off offset:64
	global_load_b128 v[90:93], v[150:151], off offset:128
	;; [unrolled: 1-line block ×3, first 2 shown]
	v_fma_f64 v[39:40], -v[100:101], v[116:117], v[39:40]
	v_fma_f64 v[138:139], v[98:99], v[116:117], v[138:139]
	v_fma_f64 v[104:105], -v[104:105], v[116:117], v[142:143]
	v_fma_f64 v[102:103], v[102:103], v[116:117], v[140:141]
	;; [unrolled: 2-line block ×4, first 2 shown]
	v_lshlrev_b64 v[98:99], 4, v[152:153]
	v_lshlrev_b32_e32 v152, 2, v5
	s_delay_alu instid0(VALU_DEP_2) | instskip(NEXT) | instid1(VALU_DEP_3)
	v_add_co_u32 v140, vcc_lo, s4, v98
	v_add_co_ci_u32_e32 v141, vcc_lo, s5, v99, vcc_lo
	s_delay_alu instid0(VALU_DEP_3)
	v_ashrrev_i32_e32 v153, 31, v152
	global_load_b128 v[98:101], v[140:141], off
	s_waitcnt vmcnt(20)
	v_fma_f64 v[39:40], v[118:119], v[134:135], v[39:40]
	v_fma_f64 v[114:115], v[120:121], v[134:135], v[138:139]
	v_fma_f64 v[104:105], v[122:123], v[134:135], v[104:105]
	v_fma_f64 v[102:103], v[124:125], v[134:135], v[102:103]
	v_fma_f64 v[108:109], v[126:127], v[134:135], v[108:109]
	v_fma_f64 v[106:107], v[128:129], v[134:135], v[106:107]
	v_fma_f64 v[112:113], v[130:131], v[134:135], v[112:113]
	v_fma_f64 v[110:111], v[132:133], v[134:135], v[110:111]
	v_fma_f64 v[39:40], -v[120:121], v[136:137], v[39:40]
	v_fma_f64 v[134:135], v[118:119], v[136:137], v[114:115]
	v_fma_f64 v[124:125], -v[124:125], v[136:137], v[104:105]
	v_fma_f64 v[122:123], v[122:123], v[136:137], v[102:103]
	v_fma_f64 v[128:129], -v[128:129], v[136:137], v[108:109]
	v_fma_f64 v[126:127], v[126:127], v[136:137], v[106:107]
	v_fma_f64 v[132:133], -v[132:133], v[136:137], v[112:113]
	v_fma_f64 v[130:131], v[130:131], v[136:137], v[110:111]
	s_clause 0x3
	global_load_b128 v[102:105], v[150:151], off offset:16
	global_load_b128 v[106:109], v[150:151], off offset:80
	global_load_b128 v[110:113], v[150:151], off offset:144
	global_load_b128 v[114:117], v[150:151], off offset:208
	global_load_b128 v[118:121], v[140:141], off offset:16
	s_waitcnt vmcnt(20)
	v_fma_f64 v[39:40], v[8:9], v[35:36], v[39:40]
	v_fma_f64 v[134:135], v[10:11], v[35:36], v[134:135]
	v_fma_f64 v[124:125], v[12:13], v[35:36], v[124:125]
	v_fma_f64 v[122:123], v[14:15], v[35:36], v[122:123]
	v_fma_f64 v[128:129], v[21:22], v[35:36], v[128:129]
	v_fma_f64 v[126:127], v[23:24], v[35:36], v[126:127]
	v_fma_f64 v[132:133], v[25:26], v[35:36], v[132:133]
	v_fma_f64 v[35:36], v[27:28], v[35:36], v[130:131]
	v_fma_f64 v[39:40], -v[10:11], v[37:38], v[39:40]
	v_fma_f64 v[130:131], v[8:9], v[37:38], v[134:135]
	v_fma_f64 v[124:125], -v[14:15], v[37:38], v[124:125]
	v_fma_f64 v[122:123], v[12:13], v[37:38], v[122:123]
	v_fma_f64 v[128:129], -v[23:24], v[37:38], v[128:129]
	v_fma_f64 v[126:127], v[21:22], v[37:38], v[126:127]
	v_fma_f64 v[132:133], -v[27:28], v[37:38], v[132:133]
	v_fma_f64 v[134:135], v[25:26], v[37:38], v[35:36]
	s_clause 0x3
	global_load_b128 v[8:11], v[150:151], off offset:96
	global_load_b128 v[12:15], v[150:151], off offset:160
	global_load_b128 v[21:24], v[150:151], off offset:224
	global_load_b128 v[25:28], v[150:151], off offset:32
	global_load_b128 v[35:38], v[140:141], off offset:32
	s_waitcnt vmcnt(20)
	v_fma_f64 v[39:40], v[54:55], v[58:59], v[39:40]
	v_fma_f64 v[130:131], v[56:57], v[58:59], v[130:131]
	v_fma_f64 v[124:125], v[42:43], v[58:59], v[124:125]
	v_fma_f64 v[122:123], v[44:45], v[58:59], v[122:123]
	v_fma_f64 v[128:129], v[46:47], v[58:59], v[128:129]
	v_fma_f64 v[126:127], v[48:49], v[58:59], v[126:127]
	v_fma_f64 v[132:133], v[50:51], v[58:59], v[132:133]
	v_fma_f64 v[58:59], v[52:53], v[58:59], v[134:135]
	v_fma_f64 v[39:40], -v[56:57], v[60:61], v[39:40]
	v_fma_f64 v[130:131], v[54:55], v[60:61], v[130:131]
	v_fma_f64 v[124:125], -v[44:45], v[60:61], v[124:125]
	v_fma_f64 v[122:123], v[42:43], v[60:61], v[122:123]
	v_fma_f64 v[128:129], -v[48:49], v[60:61], v[128:129]
	v_fma_f64 v[126:127], v[46:47], v[60:61], v[126:127]
	v_fma_f64 v[132:133], -v[52:53], v[60:61], v[132:133]
	v_fma_f64 v[134:135], v[50:51], v[60:61], v[58:59]
	s_clause 0x3
	global_load_b128 v[42:45], v[150:151], off offset:48
	global_load_b128 v[46:49], v[150:151], off offset:112
	global_load_b128 v[50:53], v[150:151], off offset:176
	global_load_b128 v[54:57], v[150:151], off offset:240
	global_load_b128 v[58:61], v[140:141], off offset:48
	v_add_co_u32 v150, vcc_lo, 0x6000, v29
	v_add_co_ci_u32_e32 v151, vcc_lo, 0, v30, vcc_lo
	v_add_co_u32 v29, s1, 0x8000, v29
	s_delay_alu instid0(VALU_DEP_1)
	v_add_co_ci_u32_e64 v30, s1, 0, v30, s1
	s_waitcnt vmcnt(20)
	v_fma_f64 v[39:40], v[62:63], v[78:79], v[39:40]
	v_fma_f64 v[138:139], v[64:65], v[78:79], v[130:131]
	;; [unrolled: 1-line block ×8, first 2 shown]
	s_clause 0x3
	global_load_b128 v[122:125], v[150:151], off
	global_load_b128 v[126:129], v[150:151], off offset:64
	global_load_b128 v[130:133], v[150:151], off offset:128
	;; [unrolled: 1-line block ×3, first 2 shown]
	v_fma_f64 v[39:40], -v[64:65], v[80:81], v[39:40]
	v_fma_f64 v[138:139], v[62:63], v[80:81], v[138:139]
	v_fma_f64 v[68:69], -v[68:69], v[80:81], v[140:141]
	v_fma_f64 v[66:67], v[66:67], v[80:81], v[142:143]
	;; [unrolled: 2-line block ×4, first 2 shown]
	v_lshlrev_b64 v[62:63], 4, v[152:153]
	s_delay_alu instid0(VALU_DEP_1) | instskip(NEXT) | instid1(VALU_DEP_2)
	v_add_co_u32 v140, vcc_lo, s4, v62
	v_add_co_ci_u32_e32 v141, vcc_lo, s5, v63, vcc_lo
	v_cmp_ge_i32_e32 vcc_lo, v31, v33
	global_load_b128 v[62:65], v[140:141], off
	s_or_b32 s10, vcc_lo, s10
	s_waitcnt vmcnt(20)
	v_fma_f64 v[39:40], v[82:83], v[98:99], v[39:40]
	v_fma_f64 v[78:79], v[84:85], v[98:99], v[138:139]
	v_fma_f64 v[68:69], v[86:87], v[98:99], v[68:69]
	v_fma_f64 v[66:67], v[88:89], v[98:99], v[66:67]
	v_fma_f64 v[72:73], v[90:91], v[98:99], v[72:73]
	v_fma_f64 v[70:71], v[92:93], v[98:99], v[70:71]
	v_fma_f64 v[76:77], v[94:95], v[98:99], v[76:77]
	v_fma_f64 v[74:75], v[96:97], v[98:99], v[74:75]
	v_fma_f64 v[39:40], -v[84:85], v[100:101], v[39:40]
	v_fma_f64 v[98:99], v[82:83], v[100:101], v[78:79]
	v_fma_f64 v[88:89], -v[88:89], v[100:101], v[68:69]
	v_fma_f64 v[86:87], v[86:87], v[100:101], v[66:67]
	v_fma_f64 v[92:93], -v[92:93], v[100:101], v[72:73]
	v_fma_f64 v[90:91], v[90:91], v[100:101], v[70:71]
	v_fma_f64 v[96:97], -v[96:97], v[100:101], v[76:77]
	v_fma_f64 v[94:95], v[94:95], v[100:101], v[74:75]
	s_clause 0x3
	global_load_b128 v[66:69], v[150:151], off offset:80
	global_load_b128 v[70:73], v[150:151], off offset:144
	global_load_b128 v[74:77], v[150:151], off offset:208
	global_load_b128 v[78:81], v[150:151], off offset:16
	global_load_b128 v[82:85], v[140:141], off offset:16
	s_waitcnt vmcnt(20)
	v_fma_f64 v[39:40], v[102:103], v[118:119], v[39:40]
	v_fma_f64 v[98:99], v[104:105], v[118:119], v[98:99]
	v_fma_f64 v[88:89], v[106:107], v[118:119], v[88:89]
	v_fma_f64 v[86:87], v[108:109], v[118:119], v[86:87]
	v_fma_f64 v[92:93], v[110:111], v[118:119], v[92:93]
	v_fma_f64 v[90:91], v[112:113], v[118:119], v[90:91]
	v_fma_f64 v[96:97], v[114:115], v[118:119], v[96:97]
	v_fma_f64 v[94:95], v[116:117], v[118:119], v[94:95]
	v_fma_f64 v[39:40], -v[104:105], v[120:121], v[39:40]
	v_fma_f64 v[118:119], v[102:103], v[120:121], v[98:99]
	v_fma_f64 v[108:109], -v[108:109], v[120:121], v[88:89]
	v_fma_f64 v[106:107], v[106:107], v[120:121], v[86:87]
	v_fma_f64 v[112:113], -v[112:113], v[120:121], v[92:93]
	v_fma_f64 v[110:111], v[110:111], v[120:121], v[90:91]
	v_fma_f64 v[116:117], -v[116:117], v[120:121], v[96:97]
	v_fma_f64 v[114:115], v[114:115], v[120:121], v[94:95]
	s_clause 0x3
	global_load_b128 v[86:89], v[150:151], off offset:96
	global_load_b128 v[90:93], v[150:151], off offset:160
	global_load_b128 v[94:97], v[150:151], off offset:224
	global_load_b128 v[98:101], v[150:151], off offset:32
	global_load_b128 v[102:105], v[140:141], off offset:32
	;; [unrolled: 23-line block ×3, first 2 shown]
	s_waitcnt vmcnt(20)
	v_fma_f64 v[27:28], v[42:43], v[58:59], v[27:28]
	v_fma_f64 v[39:40], v[44:45], v[58:59], v[39:40]
	v_fma_f64 v[114:115], v[46:47], v[58:59], v[114:115]
	v_fma_f64 v[118:119], v[48:49], v[58:59], v[118:119]
	v_fma_f64 v[14:15], v[50:51], v[58:59], v[14:15]
	v_fma_f64 v[12:13], v[52:53], v[58:59], v[12:13]
	v_fma_f64 v[116:117], v[54:55], v[58:59], v[116:117]
	v_fma_f64 v[21:22], v[56:57], v[58:59], v[21:22]
	v_fma_f64 v[27:28], -v[44:45], v[60:61], v[27:28]
	v_fma_f64 v[39:40], v[42:43], v[60:61], v[39:40]
	v_fma_f64 v[42:43], -v[48:49], v[60:61], v[114:115]
	v_fma_f64 v[44:45], v[46:47], v[60:61], v[118:119]
	v_fma_f64 v[14:15], -v[52:53], v[60:61], v[14:15]
	v_fma_f64 v[12:13], v[50:51], v[60:61], v[12:13]
	v_fma_f64 v[46:47], -v[56:57], v[60:61], v[116:117]
	v_fma_f64 v[21:22], v[54:55], v[60:61], v[21:22]
	s_waitcnt vmcnt(15)
	v_fma_f64 v[27:28], v[122:123], v[62:63], v[27:28]
	v_fma_f64 v[39:40], v[124:125], v[62:63], v[39:40]
	v_fma_f64 v[42:43], v[126:127], v[62:63], v[42:43]
	v_fma_f64 v[44:45], v[128:129], v[62:63], v[44:45]
	v_fma_f64 v[14:15], v[130:131], v[62:63], v[14:15]
	v_fma_f64 v[12:13], v[132:133], v[62:63], v[12:13]
	v_fma_f64 v[46:47], v[134:135], v[62:63], v[46:47]
	v_fma_f64 v[21:22], v[136:137], v[62:63], v[21:22]
	v_fma_f64 v[27:28], -v[124:125], v[64:65], v[27:28]
	v_fma_f64 v[39:40], v[122:123], v[64:65], v[39:40]
	v_fma_f64 v[42:43], -v[128:129], v[64:65], v[42:43]
	v_fma_f64 v[44:45], v[126:127], v[64:65], v[44:45]
	v_fma_f64 v[14:15], -v[132:133], v[64:65], v[14:15]
	v_fma_f64 v[12:13], v[130:131], v[64:65], v[12:13]
	v_fma_f64 v[46:47], -v[136:137], v[64:65], v[46:47]
	v_fma_f64 v[21:22], v[134:135], v[64:65], v[21:22]
	;; [unrolled: 17-line block ×5, first 2 shown]
	s_and_not1_b32 exec_lo, exec_lo, s10
	s_cbranch_execnz .LBB18_23
; %bb.24:
	s_or_b32 exec_lo, exec_lo, s10
.LBB18_25:
	s_delay_alu instid0(SALU_CYCLE_1)
	s_or_b32 exec_lo, exec_lo, s7
.LBB18_26:
	s_delay_alu instid0(SALU_CYCLE_1)
	s_or_b32 exec_lo, exec_lo, s6
	s_cbranch_execz .LBB18_28
	s_branch .LBB18_39
.LBB18_27:
                                        ; implicit-def: $vgpr12_vgpr13
                                        ; implicit-def: $vgpr21_vgpr22
                                        ; implicit-def: $vgpr10_vgpr11
                                        ; implicit-def: $vgpr8_vgpr9
                                        ; implicit-def: $vgpr23_vgpr24
                                        ; implicit-def: $vgpr25_vgpr26
                                        ; implicit-def: $vgpr27_vgpr28
                                        ; implicit-def: $vgpr14_vgpr15
.LBB18_28:
	v_mov_b32_e32 v12, 0
	v_mov_b32_e32 v13, 0
	s_delay_alu instid0(VALU_DEP_2) | instskip(NEXT) | instid1(VALU_DEP_2)
	v_mov_b32_e32 v10, v12
	v_dual_mov_b32 v8, v12 :: v_dual_mov_b32 v9, v13
	v_dual_mov_b32 v22, v13 :: v_dual_mov_b32 v21, v12
	v_mov_b32_e32 v11, v13
	v_dual_mov_b32 v24, v13 :: v_dual_mov_b32 v23, v12
	v_dual_mov_b32 v26, v13 :: v_dual_mov_b32 v25, v12
	;; [unrolled: 1-line block ×4, first 2 shown]
	s_and_saveexec_b32 s1, s0
	s_cbranch_execz .LBB18_38
; %bb.29:
	v_dual_mov_b32 v14, 0 :: v_dual_add_nc_u32 v5, v34, v41
	v_mov_b32_e32 v15, 0
	v_not_b32_e32 v8, v34
	s_mov_b32 s7, 0
	s_delay_alu instid0(VALU_DEP_3) | instskip(SKIP_2) | instid1(VALU_DEP_2)
	v_subrev_nc_u32_e32 v5, s12, v5
	s_mov_b32 s6, exec_lo
	v_dual_mov_b32 v28, v15 :: v_dual_mov_b32 v27, v14
	v_dual_mov_b32 v24, v15 :: v_dual_add_nc_u32 v5, 32, v5
	v_dual_mov_b32 v23, v14 :: v_dual_mov_b32 v26, v15
	v_dual_mov_b32 v25, v14 :: v_dual_mov_b32 v22, v15
	s_delay_alu instid0(VALU_DEP_3) | instskip(SKIP_3) | instid1(VALU_DEP_4)
	v_max_i32_e32 v5, v5, v33
	v_mov_b32_e32 v21, v14
	v_dual_mov_b32 v10, v14 :: v_dual_mov_b32 v11, v15
	v_mov_b32_e32 v12, v14
	v_add3_u32 v5, v5, s12, v8
	v_dual_mov_b32 v8, v14 :: v_dual_mov_b32 v9, v15
	v_mov_b32_e32 v13, v15
	s_delay_alu instid0(VALU_DEP_3) | instskip(NEXT) | instid1(VALU_DEP_1)
	v_sub_nc_u32_e32 v29, v5, v41
	v_lshrrev_b32_e32 v5, 5, v29
	s_delay_alu instid0(VALU_DEP_1) | instskip(NEXT) | instid1(VALU_DEP_1)
	v_add_nc_u32_e32 v5, 1, v5
	v_and_b32_e32 v5, 3, v5
	s_delay_alu instid0(VALU_DEP_1)
	v_cmpx_ne_u32_e32 0, v5
	s_cbranch_execz .LBB18_33
; %bb.30:
	v_mov_b32_e32 v12, 0
	v_dual_mov_b32 v13, 0 :: v_dual_lshlrev_b32 v30, 8, v5
	s_delay_alu instid0(VALU_DEP_2) | instskip(NEXT) | instid1(VALU_DEP_2)
	v_mov_b32_e32 v10, v12
	v_dual_mov_b32 v8, v12 :: v_dual_mov_b32 v9, v13
	v_dual_mov_b32 v22, v13 :: v_dual_mov_b32 v21, v12
	v_mov_b32_e32 v11, v13
	v_dual_mov_b32 v24, v13 :: v_dual_mov_b32 v23, v12
	v_dual_mov_b32 v26, v13 :: v_dual_mov_b32 v25, v12
	;; [unrolled: 1-line block ×4, first 2 shown]
.LBB18_31:                              ; =>This Inner Loop Header: Depth=1
	v_ashrrev_i32_e32 v5, 31, v4
	v_add_nc_u32_e32 v30, 0xffffff00, v30
	s_delay_alu instid0(VALU_DEP_2) | instskip(NEXT) | instid1(VALU_DEP_2)
	v_lshlrev_b64 v[31:32], 2, v[4:5]
	v_cmp_eq_u32_e64 s0, 0, v30
	v_add_nc_u32_e32 v4, 32, v4
	s_delay_alu instid0(VALU_DEP_2) | instskip(NEXT) | instid1(VALU_DEP_3)
	s_or_b32 s7, s0, s7
	v_add_co_u32 v31, vcc_lo, s8, v31
	s_delay_alu instid0(VALU_DEP_4)
	v_add_co_ci_u32_e32 v32, vcc_lo, s9, v32, vcc_lo
	global_load_b32 v5, v[31:32], off
	s_clause 0x3
	global_load_b128 v[34:37], v[6:7], off offset:48
	global_load_b128 v[42:45], v[6:7], off offset:32
	;; [unrolled: 1-line block ×3, first 2 shown]
	global_load_b128 v[50:53], v[6:7], off
	s_waitcnt vmcnt(4)
	v_subrev_nc_u32_e32 v5, s12, v5
	s_delay_alu instid0(VALU_DEP_1) | instskip(NEXT) | instid1(VALU_DEP_1)
	v_lshlrev_b32_e32 v31, 2, v5
	v_ashrrev_i32_e32 v32, 31, v31
	s_delay_alu instid0(VALU_DEP_1) | instskip(SKIP_1) | instid1(VALU_DEP_1)
	v_lshlrev_b64 v[31:32], 4, v[31:32]
	s_waitcnt lgkmcnt(0)
	v_add_co_u32 v31, vcc_lo, s4, v31
	s_delay_alu instid0(VALU_DEP_2)
	v_add_co_ci_u32_e32 v32, vcc_lo, s5, v32, vcc_lo
	s_clause 0x1
	global_load_b128 v[54:57], v[31:32], off
	global_load_b128 v[58:61], v[31:32], off offset:16
	s_clause 0x7
	global_load_b128 v[62:65], v[6:7], off offset:64
	global_load_b128 v[66:69], v[6:7], off offset:80
	;; [unrolled: 1-line block ×8, first 2 shown]
	s_clause 0x1
	global_load_b128 v[94:97], v[31:32], off offset:32
	global_load_b128 v[98:101], v[31:32], off offset:48
	s_clause 0x3
	global_load_b128 v[102:105], v[6:7], off offset:192
	global_load_b128 v[106:109], v[6:7], off offset:208
	;; [unrolled: 1-line block ×4, first 2 shown]
	v_add_co_u32 v6, vcc_lo, 0x2000, v6
	v_add_co_ci_u32_e32 v7, vcc_lo, 0, v7, vcc_lo
	s_waitcnt vmcnt(15)
	v_fma_f64 v[21:22], v[50:51], v[54:55], v[21:22]
	v_fma_f64 v[12:13], v[52:53], v[54:55], v[12:13]
	;; [unrolled: 1-line block ×8, first 2 shown]
	v_fma_f64 v[21:22], -v[52:53], v[56:57], v[21:22]
	v_fma_f64 v[12:13], v[50:51], v[56:57], v[12:13]
	v_fma_f64 v[27:28], -v[48:49], v[56:57], v[27:28]
	v_fma_f64 v[14:15], v[46:47], v[56:57], v[14:15]
	;; [unrolled: 2-line block ×4, first 2 shown]
	s_waitcnt vmcnt(13)
	v_fma_f64 v[21:22], v[62:63], v[58:59], v[21:22]
	v_fma_f64 v[12:13], v[64:65], v[58:59], v[12:13]
	s_waitcnt vmcnt(12)
	v_fma_f64 v[27:28], v[66:67], v[58:59], v[27:28]
	v_fma_f64 v[14:15], v[68:69], v[58:59], v[14:15]
	;; [unrolled: 3-line block ×4, first 2 shown]
	v_fma_f64 v[21:22], -v[64:65], v[60:61], v[21:22]
	v_fma_f64 v[12:13], v[62:63], v[60:61], v[12:13]
	v_fma_f64 v[27:28], -v[68:69], v[60:61], v[27:28]
	v_fma_f64 v[14:15], v[66:67], v[60:61], v[14:15]
	;; [unrolled: 2-line block ×4, first 2 shown]
	s_waitcnt vmcnt(5)
	v_fma_f64 v[21:22], v[90:91], v[94:95], v[21:22]
	v_fma_f64 v[12:13], v[92:93], v[94:95], v[12:13]
	;; [unrolled: 1-line block ×8, first 2 shown]
	v_fma_f64 v[21:22], -v[92:93], v[96:97], v[21:22]
	v_fma_f64 v[12:13], v[90:91], v[96:97], v[12:13]
	v_fma_f64 v[27:28], -v[88:89], v[96:97], v[27:28]
	v_fma_f64 v[14:15], v[86:87], v[96:97], v[14:15]
	;; [unrolled: 2-line block ×4, first 2 shown]
	s_waitcnt vmcnt(3)
	v_fma_f64 v[21:22], v[102:103], v[98:99], v[21:22]
	v_fma_f64 v[12:13], v[104:105], v[98:99], v[12:13]
	s_waitcnt vmcnt(2)
	v_fma_f64 v[27:28], v[106:107], v[98:99], v[27:28]
	v_fma_f64 v[14:15], v[108:109], v[98:99], v[14:15]
	;; [unrolled: 3-line block ×4, first 2 shown]
	v_fma_f64 v[21:22], -v[104:105], v[100:101], v[21:22]
	v_fma_f64 v[12:13], v[102:103], v[100:101], v[12:13]
	v_fma_f64 v[27:28], -v[108:109], v[100:101], v[27:28]
	v_fma_f64 v[14:15], v[106:107], v[100:101], v[14:15]
	;; [unrolled: 2-line block ×4, first 2 shown]
	s_and_not1_b32 exec_lo, exec_lo, s7
	s_cbranch_execnz .LBB18_31
; %bb.32:
	s_or_b32 exec_lo, exec_lo, s7
.LBB18_33:
	s_delay_alu instid0(SALU_CYCLE_1) | instskip(NEXT) | instid1(SALU_CYCLE_1)
	s_or_b32 exec_lo, exec_lo, s6
	s_mov_b32 s6, exec_lo
	v_cmpx_lt_u32_e32 0x5f, v29
	s_cbranch_execz .LBB18_37
; %bb.34:
	s_mov_b32 s7, 0
.LBB18_35:                              ; =>This Inner Loop Header: Depth=1
	v_ashrrev_i32_e32 v5, 31, v4
	s_delay_alu instid0(VALU_DEP_1) | instskip(SKIP_1) | instid1(VALU_DEP_2)
	v_lshlrev_b64 v[29:30], 2, v[4:5]
	v_add_nc_u32_e32 v4, 0x80, v4
	v_add_co_u32 v38, vcc_lo, s8, v29
	s_delay_alu instid0(VALU_DEP_3)
	v_add_co_ci_u32_e32 v39, vcc_lo, s9, v30, vcc_lo
	global_load_b32 v40, v[38:39], off
	s_clause 0x3
	global_load_b128 v[29:32], v[6:7], off offset:48
	global_load_b128 v[34:37], v[6:7], off offset:32
	;; [unrolled: 1-line block ×3, first 2 shown]
	global_load_b128 v[46:49], v[6:7], off
	s_clause 0x2
	global_load_b32 v130, v[38:39], off offset:128
	global_load_b32 v148, v[38:39], off offset:256
	;; [unrolled: 1-line block ×3, first 2 shown]
	s_waitcnt vmcnt(7)
	v_subrev_nc_u32_e32 v38, s12, v40
	s_delay_alu instid0(VALU_DEP_1)
	v_lshlrev_b32_e32 v38, 2, v38
	s_waitcnt vmcnt(2)
	v_subrev_nc_u32_e32 v40, s12, v130
	s_waitcnt vmcnt(0)
	v_subrev_nc_u32_e32 v5, s12, v5
	v_ashrrev_i32_e32 v39, 31, v38
	s_delay_alu instid0(VALU_DEP_3) | instskip(SKIP_1) | instid1(VALU_DEP_3)
	v_lshlrev_b32_e32 v130, 2, v40
	v_subrev_nc_u32_e32 v40, s12, v148
	v_lshlrev_b64 v[38:39], 4, v[38:39]
	s_delay_alu instid0(VALU_DEP_3) | instskip(NEXT) | instid1(VALU_DEP_3)
	v_ashrrev_i32_e32 v131, 31, v130
	v_lshlrev_b32_e32 v148, 2, v40
	s_delay_alu instid0(VALU_DEP_2) | instskip(SKIP_1) | instid1(VALU_DEP_4)
	v_lshlrev_b64 v[130:131], 4, v[130:131]
	s_waitcnt lgkmcnt(0)
	v_add_co_u32 v38, vcc_lo, s4, v38
	v_add_co_ci_u32_e32 v39, vcc_lo, s5, v39, vcc_lo
	v_ashrrev_i32_e32 v149, 31, v148
	global_load_b128 v[50:53], v[38:39], off
	s_clause 0x3
	global_load_b128 v[54:57], v[6:7], off offset:112
	global_load_b128 v[58:61], v[6:7], off offset:96
	global_load_b128 v[62:65], v[6:7], off offset:80
	global_load_b128 v[66:69], v[6:7], off offset:64
	global_load_b128 v[70:73], v[38:39], off offset:16
	s_clause 0x3
	global_load_b128 v[74:77], v[6:7], off offset:176
	global_load_b128 v[78:81], v[6:7], off offset:160
	global_load_b128 v[82:85], v[6:7], off offset:144
	global_load_b128 v[86:89], v[6:7], off offset:128
	global_load_b128 v[90:93], v[38:39], off offset:32
	;; [unrolled: 6-line block ×3, first 2 shown]
	v_add_co_u32 v38, vcc_lo, 0x2000, v6
	v_add_co_ci_u32_e32 v39, vcc_lo, 0, v7, vcc_lo
	v_add_co_u32 v134, vcc_lo, s4, v130
	v_add_co_ci_u32_e32 v135, vcc_lo, s5, v131, vcc_lo
	s_clause 0x3
	global_load_b128 v[114:117], v[38:39], off offset:48
	global_load_b128 v[118:121], v[38:39], off offset:32
	global_load_b128 v[122:125], v[38:39], off
	global_load_b128 v[126:129], v[38:39], off offset:16
	v_add_co_u32 v146, vcc_lo, 0x4000, v6
	global_load_b128 v[130:133], v[134:135], off
	v_add_co_ci_u32_e32 v147, vcc_lo, 0, v7, vcc_lo
	s_waitcnt vmcnt(20)
	v_fma_f64 v[21:22], v[46:47], v[50:51], v[21:22]
	v_fma_f64 v[12:13], v[48:49], v[50:51], v[12:13]
	v_fma_f64 v[27:28], v[42:43], v[50:51], v[27:28]
	v_fma_f64 v[14:15], v[44:45], v[50:51], v[14:15]
	v_fma_f64 v[23:24], v[34:35], v[50:51], v[23:24]
	v_fma_f64 v[25:26], v[36:37], v[50:51], v[25:26]
	v_fma_f64 v[10:11], v[29:30], v[50:51], v[10:11]
	v_fma_f64 v[8:9], v[31:32], v[50:51], v[8:9]
	v_fma_f64 v[48:49], -v[48:49], v[52:53], v[21:22]
	v_fma_f64 v[46:47], v[46:47], v[52:53], v[12:13]
	v_fma_f64 v[44:45], -v[44:45], v[52:53], v[27:28]
	v_fma_f64 v[42:43], v[42:43], v[52:53], v[14:15]
	v_fma_f64 v[36:37], -v[36:37], v[52:53], v[23:24]
	v_fma_f64 v[34:35], v[34:35], v[52:53], v[25:26]
	v_fma_f64 v[50:51], -v[31:32], v[52:53], v[10:11]
	v_fma_f64 v[52:53], v[29:30], v[52:53], v[8:9]
	s_clause 0x3
	global_load_b128 v[8:11], v[38:39], off offset:112
	global_load_b128 v[12:15], v[38:39], off offset:96
	global_load_b128 v[21:24], v[38:39], off offset:80
	global_load_b128 v[25:28], v[38:39], off offset:64
	global_load_b128 v[29:32], v[134:135], off offset:16
	s_waitcnt vmcnt(20)
	v_fma_f64 v[48:49], v[66:67], v[70:71], v[48:49]
	v_fma_f64 v[46:47], v[68:69], v[70:71], v[46:47]
	v_fma_f64 v[44:45], v[62:63], v[70:71], v[44:45]
	v_fma_f64 v[42:43], v[64:65], v[70:71], v[42:43]
	v_fma_f64 v[36:37], v[58:59], v[70:71], v[36:37]
	v_fma_f64 v[34:35], v[60:61], v[70:71], v[34:35]
	v_fma_f64 v[50:51], v[54:55], v[70:71], v[50:51]
	v_fma_f64 v[52:53], v[56:57], v[70:71], v[52:53]
	v_fma_f64 v[68:69], -v[68:69], v[72:73], v[48:49]
	v_fma_f64 v[66:67], v[66:67], v[72:73], v[46:47]
	v_fma_f64 v[64:65], -v[64:65], v[72:73], v[44:45]
	v_fma_f64 v[62:63], v[62:63], v[72:73], v[42:43]
	v_fma_f64 v[60:61], -v[60:61], v[72:73], v[36:37]
	v_fma_f64 v[58:59], v[58:59], v[72:73], v[34:35]
	v_fma_f64 v[70:71], -v[56:57], v[72:73], v[50:51]
	v_fma_f64 v[72:73], v[54:55], v[72:73], v[52:53]
	s_clause 0x3
	global_load_b128 v[34:37], v[38:39], off offset:176
	global_load_b128 v[42:45], v[38:39], off offset:160
	global_load_b128 v[46:49], v[38:39], off offset:144
	global_load_b128 v[50:53], v[38:39], off offset:128
	global_load_b128 v[54:57], v[134:135], off offset:32
	s_waitcnt vmcnt(20)
	v_fma_f64 v[68:69], v[86:87], v[90:91], v[68:69]
	v_fma_f64 v[66:67], v[88:89], v[90:91], v[66:67]
	v_fma_f64 v[64:65], v[82:83], v[90:91], v[64:65]
	v_fma_f64 v[62:63], v[84:85], v[90:91], v[62:63]
	v_fma_f64 v[60:61], v[78:79], v[90:91], v[60:61]
	v_fma_f64 v[58:59], v[80:81], v[90:91], v[58:59]
	v_fma_f64 v[70:71], v[74:75], v[90:91], v[70:71]
	v_fma_f64 v[72:73], v[76:77], v[90:91], v[72:73]
	v_fma_f64 v[88:89], -v[88:89], v[92:93], v[68:69]
	v_fma_f64 v[86:87], v[86:87], v[92:93], v[66:67]
	v_fma_f64 v[84:85], -v[84:85], v[92:93], v[64:65]
	v_fma_f64 v[82:83], v[82:83], v[92:93], v[62:63]
	v_fma_f64 v[80:81], -v[80:81], v[92:93], v[60:61]
	v_fma_f64 v[78:79], v[78:79], v[92:93], v[58:59]
	v_fma_f64 v[90:91], -v[76:77], v[92:93], v[70:71]
	v_fma_f64 v[92:93], v[74:75], v[92:93], v[72:73]
	s_clause 0x3
	global_load_b128 v[58:61], v[38:39], off offset:240
	global_load_b128 v[62:65], v[38:39], off offset:224
	global_load_b128 v[66:69], v[38:39], off offset:208
	global_load_b128 v[70:73], v[38:39], off offset:192
	global_load_b128 v[74:77], v[134:135], off offset:48
	s_waitcnt vmcnt(20)
	v_fma_f64 v[38:39], v[106:107], v[110:111], v[88:89]
	v_fma_f64 v[134:135], v[108:109], v[110:111], v[86:87]
	v_fma_f64 v[136:137], v[102:103], v[110:111], v[84:85]
	v_fma_f64 v[138:139], v[104:105], v[110:111], v[82:83]
	v_fma_f64 v[140:141], v[98:99], v[110:111], v[80:81]
	v_fma_f64 v[142:143], v[100:101], v[110:111], v[78:79]
	v_fma_f64 v[144:145], v[94:95], v[110:111], v[90:91]
	v_fma_f64 v[110:111], v[96:97], v[110:111], v[92:93]
	s_clause 0x3
	global_load_b128 v[78:81], v[146:147], off offset:48
	global_load_b128 v[82:85], v[146:147], off offset:32
	global_load_b128 v[86:89], v[146:147], off
	global_load_b128 v[90:93], v[146:147], off offset:16
	v_fma_f64 v[38:39], -v[108:109], v[112:113], v[38:39]
	v_fma_f64 v[106:107], v[106:107], v[112:113], v[134:135]
	v_fma_f64 v[104:105], -v[104:105], v[112:113], v[136:137]
	v_fma_f64 v[102:103], v[102:103], v[112:113], v[138:139]
	;; [unrolled: 2-line block ×4, first 2 shown]
	v_lshlrev_b64 v[94:95], 4, v[148:149]
	v_lshlrev_b32_e32 v148, 2, v5
	s_delay_alu instid0(VALU_DEP_2) | instskip(NEXT) | instid1(VALU_DEP_3)
	v_add_co_u32 v134, vcc_lo, s4, v94
	v_add_co_ci_u32_e32 v135, vcc_lo, s5, v95, vcc_lo
	s_delay_alu instid0(VALU_DEP_3)
	v_ashrrev_i32_e32 v149, 31, v148
	global_load_b128 v[94:97], v[134:135], off
	s_waitcnt vmcnt(20)
	v_fma_f64 v[38:39], v[122:123], v[130:131], v[38:39]
	v_fma_f64 v[106:107], v[124:125], v[130:131], v[106:107]
	v_fma_f64 v[104:105], v[126:127], v[130:131], v[104:105]
	v_fma_f64 v[102:103], v[128:129], v[130:131], v[102:103]
	v_fma_f64 v[100:101], v[118:119], v[130:131], v[100:101]
	v_fma_f64 v[98:99], v[120:121], v[130:131], v[98:99]
	v_fma_f64 v[108:109], v[114:115], v[130:131], v[108:109]
	v_fma_f64 v[110:111], v[116:117], v[130:131], v[110:111]
	v_fma_f64 v[38:39], -v[124:125], v[132:133], v[38:39]
	v_fma_f64 v[122:123], v[122:123], v[132:133], v[106:107]
	v_fma_f64 v[124:125], -v[128:129], v[132:133], v[104:105]
	v_fma_f64 v[126:127], v[126:127], v[132:133], v[102:103]
	v_fma_f64 v[120:121], -v[120:121], v[132:133], v[100:101]
	v_fma_f64 v[118:119], v[118:119], v[132:133], v[98:99]
	v_fma_f64 v[128:129], -v[116:117], v[132:133], v[108:109]
	v_fma_f64 v[130:131], v[114:115], v[132:133], v[110:111]
	s_clause 0x3
	global_load_b128 v[98:101], v[146:147], off offset:112
	global_load_b128 v[102:105], v[146:147], off offset:96
	global_load_b128 v[106:109], v[146:147], off offset:80
	global_load_b128 v[110:113], v[146:147], off offset:64
	global_load_b128 v[114:117], v[134:135], off offset:16
	s_waitcnt vmcnt(20)
	v_fma_f64 v[38:39], v[25:26], v[29:30], v[38:39]
	v_fma_f64 v[122:123], v[27:28], v[29:30], v[122:123]
	v_fma_f64 v[124:125], v[21:22], v[29:30], v[124:125]
	v_fma_f64 v[126:127], v[23:24], v[29:30], v[126:127]
	v_fma_f64 v[120:121], v[12:13], v[29:30], v[120:121]
	v_fma_f64 v[118:119], v[14:15], v[29:30], v[118:119]
	v_fma_f64 v[128:129], v[8:9], v[29:30], v[128:129]
	v_fma_f64 v[29:30], v[10:11], v[29:30], v[130:131]
	v_fma_f64 v[38:39], -v[27:28], v[31:32], v[38:39]
	v_fma_f64 v[122:123], v[25:26], v[31:32], v[122:123]
	v_fma_f64 v[124:125], -v[23:24], v[31:32], v[124:125]
	v_fma_f64 v[126:127], v[21:22], v[31:32], v[126:127]
	v_fma_f64 v[120:121], -v[14:15], v[31:32], v[120:121]
	v_fma_f64 v[118:119], v[12:13], v[31:32], v[118:119]
	v_fma_f64 v[128:129], -v[10:11], v[31:32], v[128:129]
	v_fma_f64 v[130:131], v[8:9], v[31:32], v[29:30]
	s_clause 0x3
	global_load_b128 v[8:11], v[146:147], off offset:176
	global_load_b128 v[12:15], v[146:147], off offset:160
	global_load_b128 v[21:24], v[146:147], off offset:144
	global_load_b128 v[25:28], v[146:147], off offset:128
	global_load_b128 v[29:32], v[134:135], off offset:32
	;; [unrolled: 23-line block ×3, first 2 shown]
	v_add_co_u32 v146, vcc_lo, 0x6000, v6
	v_add_co_ci_u32_e32 v147, vcc_lo, 0, v7, vcc_lo
	v_add_co_u32 v6, s0, 0x8000, v6
	s_delay_alu instid0(VALU_DEP_1)
	v_add_co_ci_u32_e64 v7, s0, 0, v7, s0
	s_waitcnt vmcnt(20)
	v_fma_f64 v[38:39], v[70:71], v[74:75], v[38:39]
	v_fma_f64 v[134:135], v[72:73], v[74:75], v[122:123]
	;; [unrolled: 1-line block ×8, first 2 shown]
	s_clause 0x3
	global_load_b128 v[118:121], v[146:147], off offset:48
	global_load_b128 v[122:125], v[146:147], off offset:32
	global_load_b128 v[126:129], v[146:147], off
	global_load_b128 v[130:133], v[146:147], off offset:16
	v_fma_f64 v[38:39], -v[72:73], v[76:77], v[38:39]
	v_fma_f64 v[70:71], v[70:71], v[76:77], v[134:135]
	v_fma_f64 v[68:69], -v[68:69], v[76:77], v[136:137]
	v_fma_f64 v[66:67], v[66:67], v[76:77], v[138:139]
	;; [unrolled: 2-line block ×4, first 2 shown]
	v_lshlrev_b64 v[58:59], 4, v[148:149]
	s_delay_alu instid0(VALU_DEP_1) | instskip(NEXT) | instid1(VALU_DEP_2)
	v_add_co_u32 v138, vcc_lo, s4, v58
	v_add_co_ci_u32_e32 v139, vcc_lo, s5, v59, vcc_lo
	s_clause 0x1
	global_load_b128 v[58:61], v[138:139], off
	global_load_b128 v[62:65], v[138:139], off offset:16
	v_cmp_ge_i32_e32 vcc_lo, v4, v33
	s_or_b32 s7, vcc_lo, s7
	s_waitcnt vmcnt(21)
	v_fma_f64 v[38:39], v[86:87], v[94:95], v[38:39]
	v_fma_f64 v[70:71], v[88:89], v[94:95], v[70:71]
	;; [unrolled: 1-line block ×8, first 2 shown]
	v_fma_f64 v[38:39], -v[88:89], v[96:97], v[38:39]
	v_fma_f64 v[86:87], v[86:87], v[96:97], v[70:71]
	v_fma_f64 v[88:89], -v[92:93], v[96:97], v[68:69]
	v_fma_f64 v[90:91], v[90:91], v[96:97], v[66:67]
	;; [unrolled: 2-line block ×4, first 2 shown]
	s_clause 0x3
	global_load_b128 v[66:69], v[146:147], off offset:64
	global_load_b128 v[70:73], v[146:147], off offset:80
	;; [unrolled: 1-line block ×4, first 2 shown]
	s_waitcnt vmcnt(20)
	v_fma_f64 v[38:39], v[110:111], v[114:115], v[38:39]
	v_fma_f64 v[86:87], v[112:113], v[114:115], v[86:87]
	;; [unrolled: 1-line block ×8, first 2 shown]
	v_fma_f64 v[38:39], -v[112:113], v[116:117], v[38:39]
	v_fma_f64 v[110:111], v[110:111], v[116:117], v[86:87]
	v_fma_f64 v[108:109], -v[108:109], v[116:117], v[88:89]
	v_fma_f64 v[106:107], v[106:107], v[116:117], v[90:91]
	;; [unrolled: 2-line block ×4, first 2 shown]
	s_clause 0x3
	global_load_b128 v[82:85], v[146:147], off offset:176
	global_load_b128 v[86:89], v[146:147], off offset:160
	;; [unrolled: 1-line block ×4, first 2 shown]
	s_clause 0x1
	global_load_b128 v[98:101], v[138:139], off offset:32
	global_load_b128 v[102:105], v[138:139], off offset:48
	s_waitcnt vmcnt(21)
	v_fma_f64 v[38:39], v[25:26], v[29:30], v[38:39]
	v_fma_f64 v[110:111], v[27:28], v[29:30], v[110:111]
	;; [unrolled: 1-line block ×8, first 2 shown]
	v_fma_f64 v[27:28], -v[27:28], v[31:32], v[38:39]
	v_fma_f64 v[38:39], v[25:26], v[31:32], v[110:111]
	v_fma_f64 v[110:111], -v[23:24], v[31:32], v[108:109]
	v_fma_f64 v[21:22], v[21:22], v[31:32], v[106:107]
	;; [unrolled: 2-line block ×4, first 2 shown]
	s_clause 0x3
	global_load_b128 v[8:11], v[146:147], off offset:192
	global_load_b128 v[23:26], v[146:147], off offset:208
	;; [unrolled: 1-line block ×4, first 2 shown]
	s_waitcnt vmcnt(20)
	v_fma_f64 v[27:28], v[50:51], v[54:55], v[27:28]
	v_fma_f64 v[38:39], v[52:53], v[54:55], v[38:39]
	;; [unrolled: 1-line block ×8, first 2 shown]
	v_fma_f64 v[27:28], -v[52:53], v[56:57], v[27:28]
	v_fma_f64 v[38:39], v[50:51], v[56:57], v[38:39]
	v_fma_f64 v[48:49], -v[48:49], v[56:57], v[110:111]
	v_fma_f64 v[21:22], v[46:47], v[56:57], v[21:22]
	;; [unrolled: 2-line block ×4, first 2 shown]
	s_waitcnt vmcnt(15)
	v_fma_f64 v[27:28], v[126:127], v[58:59], v[27:28]
	v_fma_f64 v[38:39], v[128:129], v[58:59], v[38:39]
	v_fma_f64 v[42:43], v[130:131], v[58:59], v[48:49]
	v_fma_f64 v[21:22], v[132:133], v[58:59], v[21:22]
	v_fma_f64 v[14:15], v[122:123], v[58:59], v[14:15]
	v_fma_f64 v[12:13], v[124:125], v[58:59], v[12:13]
	v_fma_f64 v[36:37], v[118:119], v[58:59], v[36:37]
	v_fma_f64 v[34:35], v[120:121], v[58:59], v[34:35]
	v_fma_f64 v[27:28], -v[128:129], v[60:61], v[27:28]
	v_fma_f64 v[38:39], v[126:127], v[60:61], v[38:39]
	v_fma_f64 v[42:43], -v[132:133], v[60:61], v[42:43]
	v_fma_f64 v[21:22], v[130:131], v[60:61], v[21:22]
	;; [unrolled: 2-line block ×4, first 2 shown]
	s_waitcnt vmcnt(13)
	v_fma_f64 v[27:28], v[66:67], v[62:63], v[27:28]
	v_fma_f64 v[38:39], v[68:69], v[62:63], v[38:39]
	s_waitcnt vmcnt(12)
	v_fma_f64 v[42:43], v[70:71], v[62:63], v[42:43]
	v_fma_f64 v[21:22], v[72:73], v[62:63], v[21:22]
	s_waitcnt vmcnt(11)
	v_fma_f64 v[14:15], v[74:75], v[62:63], v[14:15]
	v_fma_f64 v[12:13], v[76:77], v[62:63], v[12:13]
	s_waitcnt vmcnt(10)
	v_fma_f64 v[36:37], v[78:79], v[62:63], v[36:37]
	v_fma_f64 v[34:35], v[80:81], v[62:63], v[34:35]
	v_fma_f64 v[27:28], -v[68:69], v[64:65], v[27:28]
	v_fma_f64 v[38:39], v[66:67], v[64:65], v[38:39]
	v_fma_f64 v[42:43], -v[72:73], v[64:65], v[42:43]
	v_fma_f64 v[21:22], v[70:71], v[64:65], v[21:22]
	;; [unrolled: 2-line block ×4, first 2 shown]
	s_waitcnt vmcnt(5)
	v_fma_f64 v[27:28], v[94:95], v[98:99], v[27:28]
	v_fma_f64 v[38:39], v[96:97], v[98:99], v[38:39]
	;; [unrolled: 1-line block ×8, first 2 shown]
	v_fma_f64 v[27:28], -v[96:97], v[100:101], v[27:28]
	v_fma_f64 v[38:39], v[94:95], v[100:101], v[38:39]
	v_fma_f64 v[42:43], -v[92:93], v[100:101], v[42:43]
	v_fma_f64 v[21:22], v[90:91], v[100:101], v[21:22]
	v_fma_f64 v[14:15], -v[88:89], v[100:101], v[14:15]
	v_fma_f64 v[12:13], v[86:87], v[100:101], v[12:13]
	v_fma_f64 v[36:37], -v[84:85], v[100:101], v[36:37]
	v_fma_f64 v[34:35], v[82:83], v[100:101], v[34:35]
	s_waitcnt vmcnt(3)
	v_fma_f64 v[27:28], v[8:9], v[102:103], v[27:28]
	v_fma_f64 v[38:39], v[10:11], v[102:103], v[38:39]
	s_waitcnt vmcnt(2)
	v_fma_f64 v[42:43], v[23:24], v[102:103], v[42:43]
	v_fma_f64 v[44:45], v[25:26], v[102:103], v[21:22]
	s_waitcnt vmcnt(1)
	v_fma_f64 v[46:47], v[29:30], v[102:103], v[14:15]
	v_fma_f64 v[48:49], v[31:32], v[102:103], v[12:13]
	s_waitcnt vmcnt(0)
	v_fma_f64 v[36:37], v[106:107], v[102:103], v[36:37]
	v_fma_f64 v[34:35], v[108:109], v[102:103], v[34:35]
	v_fma_f64 v[21:22], -v[10:11], v[104:105], v[27:28]
	v_fma_f64 v[12:13], v[8:9], v[104:105], v[38:39]
	v_fma_f64 v[27:28], -v[25:26], v[104:105], v[42:43]
	v_fma_f64 v[14:15], v[23:24], v[104:105], v[44:45]
	;; [unrolled: 2-line block ×4, first 2 shown]
	s_and_not1_b32 exec_lo, exec_lo, s7
	s_cbranch_execnz .LBB18_35
; %bb.36:
	s_or_b32 exec_lo, exec_lo, s7
.LBB18_37:
	s_delay_alu instid0(SALU_CYCLE_1)
	s_or_b32 exec_lo, exec_lo, s6
.LBB18_38:
	s_delay_alu instid0(SALU_CYCLE_1)
	s_or_b32 exec_lo, exec_lo, s1
.LBB18_39:
	v_mbcnt_lo_u32_b32 v44, -1, 0
	s_delay_alu instid0(VALU_DEP_1) | instskip(NEXT) | instid1(VALU_DEP_1)
	v_xor_b32_e32 v4, 16, v44
	v_cmp_gt_i32_e32 vcc_lo, 32, v4
	v_cndmask_b32_e32 v4, v44, v4, vcc_lo
	s_delay_alu instid0(VALU_DEP_1)
	v_lshlrev_b32_e32 v40, 2, v4
	ds_bpermute_b32 v4, v40, v21
	ds_bpermute_b32 v5, v40, v22
	;; [unrolled: 1-line block ×6, first 2 shown]
	s_waitcnt lgkmcnt(0)
	v_add_f64 v[4:5], v[21:22], v[4:5]
	v_add_f64 v[21:22], v[23:24], v[33:34]
	v_add_f64 v[23:24], v[25:26], v[35:36]
	v_xor_b32_e32 v25, 8, v44
	s_delay_alu instid0(VALU_DEP_1)
	v_cmp_gt_i32_e32 vcc_lo, 32, v25
	v_cndmask_b32_e32 v25, v44, v25, vcc_lo
	ds_bpermute_b32 v6, v40, v12
	ds_bpermute_b32 v7, v40, v13
	;; [unrolled: 1-line block ×10, first 2 shown]
	s_waitcnt lgkmcnt(8)
	v_add_f64 v[6:7], v[12:13], v[6:7]
	s_waitcnt lgkmcnt(6)
	v_add_f64 v[12:13], v[27:28], v[29:30]
	;; [unrolled: 2-line block ×5, first 2 shown]
	v_lshlrev_b32_e32 v40, 2, v25
	ds_bpermute_b32 v25, v40, v4
	ds_bpermute_b32 v26, v40, v5
	;; [unrolled: 1-line block ×6, first 2 shown]
	s_waitcnt lgkmcnt(4)
	v_add_f64 v[4:5], v[4:5], v[25:26]
	v_xor_b32_e32 v25, 4, v44
	s_waitcnt lgkmcnt(2)
	v_add_f64 v[21:22], v[21:22], v[33:34]
	ds_bpermute_b32 v27, v40, v6
	ds_bpermute_b32 v28, v40, v7
	;; [unrolled: 1-line block ×10, first 2 shown]
	s_waitcnt lgkmcnt(10)
	v_add_f64 v[23:24], v[23:24], v[35:36]
	v_cmp_gt_i32_e32 vcc_lo, 32, v25
	v_cndmask_b32_e32 v25, v44, v25, vcc_lo
	s_waitcnt lgkmcnt(8)
	v_add_f64 v[6:7], v[6:7], v[27:28]
	s_waitcnt lgkmcnt(6)
	v_add_f64 v[12:13], v[12:13], v[29:30]
	;; [unrolled: 2-line block ×5, first 2 shown]
	v_lshlrev_b32_e32 v40, 2, v25
	ds_bpermute_b32 v25, v40, v4
	ds_bpermute_b32 v26, v40, v5
	;; [unrolled: 1-line block ×6, first 2 shown]
	s_waitcnt lgkmcnt(4)
	v_add_f64 v[4:5], v[4:5], v[25:26]
	s_waitcnt lgkmcnt(2)
	v_add_f64 v[21:22], v[21:22], v[33:34]
	ds_bpermute_b32 v27, v40, v6
	ds_bpermute_b32 v28, v40, v7
	ds_bpermute_b32 v29, v40, v12
	ds_bpermute_b32 v30, v40, v13
	ds_bpermute_b32 v31, v40, v14
	ds_bpermute_b32 v32, v40, v15
	ds_bpermute_b32 v37, v40, v10
	ds_bpermute_b32 v38, v40, v11
	ds_bpermute_b32 v39, v40, v8
	ds_bpermute_b32 v40, v40, v9
	s_waitcnt lgkmcnt(10)
	v_add_f64 v[25:26], v[23:24], v[35:36]
	s_waitcnt lgkmcnt(8)
	v_add_f64 v[6:7], v[6:7], v[27:28]
	;; [unrolled: 2-line block ×6, first 2 shown]
	v_xor_b32_e32 v8, 2, v44
	s_delay_alu instid0(VALU_DEP_1) | instskip(SKIP_1) | instid1(VALU_DEP_1)
	v_cmp_gt_i32_e32 vcc_lo, 32, v8
	v_cndmask_b32_e32 v8, v44, v8, vcc_lo
	v_lshlrev_b32_e32 v27, 2, v8
	ds_bpermute_b32 v8, v27, v4
	ds_bpermute_b32 v9, v27, v5
	;; [unrolled: 1-line block ×16, first 2 shown]
	s_waitcnt lgkmcnt(14)
	v_add_f64 v[4:5], v[4:5], v[8:9]
	s_waitcnt lgkmcnt(12)
	v_add_f64 v[8:9], v[21:22], v[35:36]
	v_xor_b32_e32 v21, 1, v44
	s_delay_alu instid0(VALU_DEP_1)
	v_cmp_gt_i32_e32 vcc_lo, 32, v21
	s_waitcnt lgkmcnt(8)
	v_add_f64 v[27:28], v[6:7], v[23:24]
	s_waitcnt lgkmcnt(6)
	v_add_f64 v[6:7], v[12:13], v[31:32]
	;; [unrolled: 2-line block ×3, first 2 shown]
	v_add_f64 v[14:15], v[25:26], v[37:38]
	s_waitcnt lgkmcnt(2)
	v_add_f64 v[10:11], v[10:11], v[39:40]
	v_cndmask_b32_e32 v21, v44, v21, vcc_lo
	s_waitcnt lgkmcnt(0)
	v_add_f64 v[12:13], v[29:30], v[42:43]
	v_cmp_eq_u32_e32 vcc_lo, 31, v41
	s_delay_alu instid0(VALU_DEP_3)
	v_lshlrev_b32_e32 v34, 2, v21
	ds_bpermute_b32 v21, v34, v4
	ds_bpermute_b32 v22, v34, v5
	;; [unrolled: 1-line block ×16, first 2 shown]
	s_and_b32 exec_lo, exec_lo, vcc_lo
	s_cbranch_execz .LBB18_12
; %bb.40:
	s_waitcnt lgkmcnt(10)
	v_add_f64 v[27:28], v[27:28], v[39:40]
	s_waitcnt lgkmcnt(6)
	v_add_f64 v[23:24], v[23:24], v[37:38]
	;; [unrolled: 2-line block ×4, first 2 shown]
	v_add_f64 v[4:5], v[4:5], v[21:22]
	v_add_f64 v[6:7], v[6:7], v[25:26]
	;; [unrolled: 1-line block ×4, first 2 shown]
	v_cmp_eq_f64_e32 vcc_lo, 0, v[16:17]
	v_cmp_eq_f64_e64 s0, 0, v[18:19]
	s_load_b64 s[2:3], s[2:3], 0x60
	v_lshlrev_b32_e32 v20, 2, v20
	v_mul_f64 v[8:9], v[27:28], -v[2:3]
	v_mul_f64 v[10:11], v[0:1], v[27:28]
	v_mul_f64 v[27:28], v[23:24], -v[2:3]
	v_mul_f64 v[23:24], v[0:1], v[23:24]
	;; [unrolled: 2-line block ×4, first 2 shown]
	s_and_b32 s0, vcc_lo, s0
	v_fma_f64 v[12:13], v[0:1], v[4:5], v[8:9]
	v_fma_f64 v[14:15], v[2:3], v[4:5], v[10:11]
	;; [unrolled: 1-line block ×8, first 2 shown]
	s_and_saveexec_b32 s1, s0
	s_delay_alu instid0(SALU_CYCLE_1)
	s_xor_b32 s0, exec_lo, s1
	s_cbranch_execz .LBB18_42
; %bb.41:
	v_ashrrev_i32_e32 v21, 31, v20
                                        ; implicit-def: $vgpr18_vgpr19
	s_delay_alu instid0(VALU_DEP_1) | instskip(SKIP_1) | instid1(VALU_DEP_1)
	v_lshlrev_b64 v[16:17], 4, v[20:21]
                                        ; implicit-def: $vgpr20
	s_waitcnt lgkmcnt(0)
	v_add_co_u32 v16, vcc_lo, s2, v16
	s_delay_alu instid0(VALU_DEP_2)
	v_add_co_ci_u32_e32 v17, vcc_lo, s3, v17, vcc_lo
	s_clause 0x3
	global_store_b128 v[16:17], v[12:15], off
	global_store_b128 v[16:17], v[8:11], off offset:16
	global_store_b128 v[16:17], v[4:7], off offset:32
	;; [unrolled: 1-line block ×3, first 2 shown]
                                        ; implicit-def: $vgpr16_vgpr17
                                        ; implicit-def: $vgpr12_vgpr13
                                        ; implicit-def: $vgpr8_vgpr9
                                        ; implicit-def: $vgpr4_vgpr5
                                        ; implicit-def: $vgpr0_vgpr1
.LBB18_42:
	s_and_not1_saveexec_b32 s0, s0
	s_cbranch_execz .LBB18_12
; %bb.43:
	v_ashrrev_i32_e32 v21, 31, v20
	s_delay_alu instid0(VALU_DEP_1) | instskip(SKIP_1) | instid1(VALU_DEP_1)
	v_lshlrev_b64 v[20:21], 4, v[20:21]
	s_waitcnt lgkmcnt(0)
	v_add_co_u32 v36, vcc_lo, s2, v20
	s_delay_alu instid0(VALU_DEP_2)
	v_add_co_ci_u32_e32 v37, vcc_lo, s3, v21, vcc_lo
	s_clause 0x3
	global_load_b128 v[20:23], v[36:37], off
	global_load_b128 v[24:27], v[36:37], off offset:16
	global_load_b128 v[28:31], v[36:37], off offset:32
	;; [unrolled: 1-line block ×3, first 2 shown]
	s_waitcnt vmcnt(3)
	v_fma_f64 v[12:13], v[16:17], v[20:21], v[12:13]
	v_fma_f64 v[14:15], v[18:19], v[20:21], v[14:15]
	s_waitcnt vmcnt(2)
	v_fma_f64 v[8:9], v[16:17], v[24:25], v[8:9]
	v_fma_f64 v[10:11], v[18:19], v[24:25], v[10:11]
	;; [unrolled: 3-line block ×4, first 2 shown]
	v_fma_f64 v[0:1], -v[18:19], v[22:23], v[12:13]
	v_fma_f64 v[2:3], v[16:17], v[22:23], v[14:15]
	v_fma_f64 v[4:5], -v[18:19], v[26:27], v[8:9]
	v_fma_f64 v[6:7], v[16:17], v[26:27], v[10:11]
	;; [unrolled: 2-line block ×4, first 2 shown]
	s_clause 0x3
	global_store_b128 v[36:37], v[0:3], off
	global_store_b128 v[36:37], v[4:7], off offset:16
	global_store_b128 v[36:37], v[8:11], off offset:32
	;; [unrolled: 1-line block ×3, first 2 shown]
	s_nop 0
	s_sendmsg sendmsg(MSG_DEALLOC_VGPRS)
	s_endpgm
	.section	.rodata,"a",@progbits
	.p2align	6, 0x0
	.amdhsa_kernel _ZN9rocsparseL18bsrxmvn_4x4_kernelILj128ELj32E21rocsparse_complex_numIdEiiS2_S2_S2_EEvT3_20rocsparse_direction_NS_24const_host_device_scalarIT1_EES3_PKS3_PKT2_SC_S9_PKT4_PKT5_S7_PT6_21rocsparse_index_base_b
		.amdhsa_group_segment_fixed_size 2048
		.amdhsa_private_segment_fixed_size 0
		.amdhsa_kernarg_size 112
		.amdhsa_user_sgpr_count 15
		.amdhsa_user_sgpr_dispatch_ptr 1
		.amdhsa_user_sgpr_queue_ptr 0
		.amdhsa_user_sgpr_kernarg_segment_ptr 1
		.amdhsa_user_sgpr_dispatch_id 0
		.amdhsa_user_sgpr_private_segment_size 0
		.amdhsa_wavefront_size32 1
		.amdhsa_uses_dynamic_stack 0
		.amdhsa_enable_private_segment 0
		.amdhsa_system_sgpr_workgroup_id_x 1
		.amdhsa_system_sgpr_workgroup_id_y 0
		.amdhsa_system_sgpr_workgroup_id_z 0
		.amdhsa_system_sgpr_workgroup_info 0
		.amdhsa_system_vgpr_workitem_id 2
		.amdhsa_next_free_vgpr 155
		.amdhsa_next_free_sgpr 18
		.amdhsa_reserve_vcc 1
		.amdhsa_float_round_mode_32 0
		.amdhsa_float_round_mode_16_64 0
		.amdhsa_float_denorm_mode_32 3
		.amdhsa_float_denorm_mode_16_64 3
		.amdhsa_dx10_clamp 1
		.amdhsa_ieee_mode 1
		.amdhsa_fp16_overflow 0
		.amdhsa_workgroup_processor_mode 1
		.amdhsa_memory_ordered 1
		.amdhsa_forward_progress 0
		.amdhsa_shared_vgpr_count 0
		.amdhsa_exception_fp_ieee_invalid_op 0
		.amdhsa_exception_fp_denorm_src 0
		.amdhsa_exception_fp_ieee_div_zero 0
		.amdhsa_exception_fp_ieee_overflow 0
		.amdhsa_exception_fp_ieee_underflow 0
		.amdhsa_exception_fp_ieee_inexact 0
		.amdhsa_exception_int_div_zero 0
	.end_amdhsa_kernel
	.section	.text._ZN9rocsparseL18bsrxmvn_4x4_kernelILj128ELj32E21rocsparse_complex_numIdEiiS2_S2_S2_EEvT3_20rocsparse_direction_NS_24const_host_device_scalarIT1_EES3_PKS3_PKT2_SC_S9_PKT4_PKT5_S7_PT6_21rocsparse_index_base_b,"axG",@progbits,_ZN9rocsparseL18bsrxmvn_4x4_kernelILj128ELj32E21rocsparse_complex_numIdEiiS2_S2_S2_EEvT3_20rocsparse_direction_NS_24const_host_device_scalarIT1_EES3_PKS3_PKT2_SC_S9_PKT4_PKT5_S7_PT6_21rocsparse_index_base_b,comdat
.Lfunc_end18:
	.size	_ZN9rocsparseL18bsrxmvn_4x4_kernelILj128ELj32E21rocsparse_complex_numIdEiiS2_S2_S2_EEvT3_20rocsparse_direction_NS_24const_host_device_scalarIT1_EES3_PKS3_PKT2_SC_S9_PKT4_PKT5_S7_PT6_21rocsparse_index_base_b, .Lfunc_end18-_ZN9rocsparseL18bsrxmvn_4x4_kernelILj128ELj32E21rocsparse_complex_numIdEiiS2_S2_S2_EEvT3_20rocsparse_direction_NS_24const_host_device_scalarIT1_EES3_PKS3_PKT2_SC_S9_PKT4_PKT5_S7_PT6_21rocsparse_index_base_b
                                        ; -- End function
	.section	.AMDGPU.csdata,"",@progbits
; Kernel info:
; codeLenInByte = 11256
; NumSgprs: 20
; NumVgprs: 155
; ScratchSize: 0
; MemoryBound: 1
; FloatMode: 240
; IeeeMode: 1
; LDSByteSize: 2048 bytes/workgroup (compile time only)
; SGPRBlocks: 2
; VGPRBlocks: 19
; NumSGPRsForWavesPerEU: 20
; NumVGPRsForWavesPerEU: 155
; Occupancy: 9
; WaveLimiterHint : 1
; COMPUTE_PGM_RSRC2:SCRATCH_EN: 0
; COMPUTE_PGM_RSRC2:USER_SGPR: 15
; COMPUTE_PGM_RSRC2:TRAP_HANDLER: 0
; COMPUTE_PGM_RSRC2:TGID_X_EN: 1
; COMPUTE_PGM_RSRC2:TGID_Y_EN: 0
; COMPUTE_PGM_RSRC2:TGID_Z_EN: 0
; COMPUTE_PGM_RSRC2:TIDIG_COMP_CNT: 2
	.section	.text._ZN9rocsparseL18bsrxmvn_4x4_kernelILj128ELj64E21rocsparse_complex_numIdEiiS2_S2_S2_EEvT3_20rocsparse_direction_NS_24const_host_device_scalarIT1_EES3_PKS3_PKT2_SC_S9_PKT4_PKT5_S7_PT6_21rocsparse_index_base_b,"axG",@progbits,_ZN9rocsparseL18bsrxmvn_4x4_kernelILj128ELj64E21rocsparse_complex_numIdEiiS2_S2_S2_EEvT3_20rocsparse_direction_NS_24const_host_device_scalarIT1_EES3_PKS3_PKT2_SC_S9_PKT4_PKT5_S7_PT6_21rocsparse_index_base_b,comdat
	.globl	_ZN9rocsparseL18bsrxmvn_4x4_kernelILj128ELj64E21rocsparse_complex_numIdEiiS2_S2_S2_EEvT3_20rocsparse_direction_NS_24const_host_device_scalarIT1_EES3_PKS3_PKT2_SC_S9_PKT4_PKT5_S7_PT6_21rocsparse_index_base_b ; -- Begin function _ZN9rocsparseL18bsrxmvn_4x4_kernelILj128ELj64E21rocsparse_complex_numIdEiiS2_S2_S2_EEvT3_20rocsparse_direction_NS_24const_host_device_scalarIT1_EES3_PKS3_PKT2_SC_S9_PKT4_PKT5_S7_PT6_21rocsparse_index_base_b
	.p2align	8
	.type	_ZN9rocsparseL18bsrxmvn_4x4_kernelILj128ELj64E21rocsparse_complex_numIdEiiS2_S2_S2_EEvT3_20rocsparse_direction_NS_24const_host_device_scalarIT1_EES3_PKS3_PKT2_SC_S9_PKT4_PKT5_S7_PT6_21rocsparse_index_base_b,@function
_ZN9rocsparseL18bsrxmvn_4x4_kernelILj128ELj64E21rocsparse_complex_numIdEiiS2_S2_S2_EEvT3_20rocsparse_direction_NS_24const_host_device_scalarIT1_EES3_PKS3_PKT2_SC_S9_PKT4_PKT5_S7_PT6_21rocsparse_index_base_b: ; @_ZN9rocsparseL18bsrxmvn_4x4_kernelILj128ELj64E21rocsparse_complex_numIdEiiS2_S2_S2_EEvT3_20rocsparse_direction_NS_24const_host_device_scalarIT1_EES3_PKS3_PKT2_SC_S9_PKT4_PKT5_S7_PT6_21rocsparse_index_base_b
; %bb.0:
	s_load_b64 s[12:13], s[2:3], 0x68
	s_load_b64 s[16:17], s[0:1], 0x4
	s_load_b128 s[8:11], s[2:3], 0x8
	v_bfe_u32 v1, v0, 10, 10
	s_mov_b64 s[0:1], src_shared_base
	s_load_b128 s[4:7], s[2:3], 0x50
	v_and_b32_e32 v4, 0x3ff, v0
	v_bfe_u32 v0, v0, 20, 10
	s_waitcnt lgkmcnt(0)
	s_bitcmp1_b32 s13, 0
	v_mul_u32_u24_e32 v1, s17, v1
	s_cselect_b32 s0, -1, 0
	s_delay_alu instid0(SALU_CYCLE_1)
	s_and_b32 vcc_lo, s0, exec_lo
	s_cselect_b32 s13, s1, s9
	s_lshr_b32 s14, s16, 16
	v_mov_b32_e32 v2, s4
	s_mul_i32 s14, s14, s17
	v_mov_b32_e32 v7, s13
	v_mad_u32_u24 v1, s14, v4, v1
	v_mov_b32_e32 v3, s5
	s_delay_alu instid0(VALU_DEP_2) | instskip(SKIP_1) | instid1(VALU_DEP_2)
	v_add_lshl_u32 v5, v1, v0, 3
	v_dual_mov_b32 v0, s8 :: v_dual_mov_b32 v1, s9
	v_add_nc_u32_e32 v6, 0x400, v5
	ds_store_2addr_stride64_b64 v5, v[2:3], v[0:1] offset1:2
	v_dual_mov_b32 v2, s10 :: v_dual_mov_b32 v3, s11
	v_cndmask_b32_e64 v6, s8, v6, s0
	s_xor_b32 s10, s0, -1
	flat_load_b64 v[0:1], v[6:7]
	s_cbranch_vccnz .LBB19_2
; %bb.1:
	v_dual_mov_b32 v2, s8 :: v_dual_mov_b32 v3, s9
	flat_load_b64 v[2:3], v[2:3] offset:8
.LBB19_2:
	s_and_b32 s8, s0, exec_lo
	s_cselect_b32 s1, s1, s5
	v_cndmask_b32_e64 v5, s4, v5, s0
	v_dual_mov_b32 v6, s1 :: v_dual_mov_b32 v19, s7
	v_mov_b32_e32 v18, s6
	s_and_not1_b32 vcc_lo, exec_lo, s10
	flat_load_b64 v[16:17], v[5:6]
	s_cbranch_vccnz .LBB19_4
; %bb.3:
	v_dual_mov_b32 v6, s5 :: v_dual_mov_b32 v5, s4
	flat_load_b64 v[18:19], v[5:6] offset:8
.LBB19_4:
	s_waitcnt vmcnt(1) lgkmcnt(1)
	v_cmp_eq_f64_e32 vcc_lo, 0, v[0:1]
	v_cmp_eq_f64_e64 s0, 0, v[2:3]
	s_delay_alu instid0(VALU_DEP_1)
	s_and_b32 s4, vcc_lo, s0
	s_mov_b32 s0, -1
	s_and_saveexec_b32 s1, s4
	s_cbranch_execz .LBB19_6
; %bb.5:
	s_waitcnt vmcnt(0) lgkmcnt(0)
	v_cmp_neq_f64_e32 vcc_lo, 1.0, v[16:17]
	v_cmp_neq_f64_e64 s0, 0, v[18:19]
	s_delay_alu instid0(VALU_DEP_1) | instskip(NEXT) | instid1(SALU_CYCLE_1)
	s_or_b32 s0, vcc_lo, s0
	s_or_not1_b32 s0, s0, exec_lo
.LBB19_6:
	s_or_b32 exec_lo, exec_lo, s1
	s_and_saveexec_b32 s1, s0
	s_cbranch_execz .LBB19_12
; %bb.7:
	s_clause 0x1
	s_load_b64 s[4:5], s[2:3], 0x20
	s_load_b64 s[0:1], s[2:3], 0x0
	v_lshrrev_b32_e32 v5, 6, v4
	s_delay_alu instid0(VALU_DEP_1)
	v_lshl_or_b32 v20, s15, 1, v5
	s_waitcnt lgkmcnt(0)
	s_cmp_lg_u64 s[4:5], 0
	s_cbranch_scc0 .LBB19_13
; %bb.8:
	s_load_b32 s6, s[2:3], 0x18
	s_mov_b32 s7, 0
                                        ; implicit-def: $vgpr5
	s_waitcnt lgkmcnt(0)
	v_cmp_gt_i32_e32 vcc_lo, s6, v20
	s_mov_b32 s6, 0
	s_and_saveexec_b32 s8, vcc_lo
	s_delay_alu instid0(SALU_CYCLE_1)
	s_xor_b32 s8, exec_lo, s8
	s_cbranch_execz .LBB19_10
; %bb.9:
	v_ashrrev_i32_e32 v21, 31, v20
	s_mov_b32 s6, exec_lo
	s_delay_alu instid0(VALU_DEP_1) | instskip(NEXT) | instid1(VALU_DEP_1)
	v_lshlrev_b64 v[5:6], 2, v[20:21]
	v_add_co_u32 v5, vcc_lo, s4, v5
	s_delay_alu instid0(VALU_DEP_2)
	v_add_co_ci_u32_e32 v6, vcc_lo, s5, v6, vcc_lo
	global_load_b32 v5, v[5:6], off
	s_waitcnt vmcnt(0)
	v_subrev_nc_u32_e32 v5, s12, v5
.LBB19_10:
	s_or_b32 exec_lo, exec_lo, s8
	s_delay_alu instid0(SALU_CYCLE_1)
	s_and_b32 vcc_lo, exec_lo, s7
	s_cbranch_vccz .LBB19_14
.LBB19_11:
	v_cmp_gt_i32_e32 vcc_lo, s0, v20
	s_and_not1_b32 s0, s6, exec_lo
	s_and_b32 s4, vcc_lo, exec_lo
	s_delay_alu instid0(SALU_CYCLE_1) | instskip(NEXT) | instid1(SALU_CYCLE_1)
	s_or_b32 s6, s0, s4
	s_and_b32 exec_lo, exec_lo, s6
	s_cbranch_execnz .LBB19_15
.LBB19_12:
	s_nop 0
	s_sendmsg sendmsg(MSG_DEALLOC_VGPRS)
	s_endpgm
.LBB19_13:
	s_mov_b32 s6, 0
                                        ; implicit-def: $vgpr5
	s_cbranch_execnz .LBB19_11
.LBB19_14:
	s_delay_alu instid0(VALU_DEP_1)
	v_mov_b32_e32 v20, v5
	s_and_b32 exec_lo, exec_lo, s6
	s_cbranch_execz .LBB19_12
.LBB19_15:
	s_load_b256 s[4:11], s[2:3], 0x28
	s_delay_alu instid0(VALU_DEP_1) | instskip(SKIP_1) | instid1(VALU_DEP_2)
	v_ashrrev_i32_e32 v21, 31, v20
	v_and_b32_e32 v41, 63, v4
	v_lshlrev_b64 v[5:6], 2, v[20:21]
	s_waitcnt lgkmcnt(0)
	s_delay_alu instid0(VALU_DEP_1) | instskip(NEXT) | instid1(VALU_DEP_2)
	v_add_co_u32 v7, vcc_lo, s4, v5
	v_add_co_ci_u32_e32 v8, vcc_lo, s5, v6, vcc_lo
	v_add_co_u32 v5, vcc_lo, s6, v5
	v_add_co_ci_u32_e32 v6, vcc_lo, s7, v6, vcc_lo
	global_load_b32 v34, v[7:8], off
	v_add_co_u32 v7, vcc_lo, v7, 4
	v_add_co_ci_u32_e32 v8, vcc_lo, 0, v8, vcc_lo
	s_cmp_eq_u64 s[6:7], 0
	s_load_b64 s[4:5], s[2:3], 0x48
	s_cselect_b32 vcc_lo, -1, 0
	s_cmp_eq_u32 s1, 1
	v_dual_cndmask_b32 v6, v6, v8 :: v_dual_cndmask_b32 v5, v5, v7
	global_load_b32 v8, v[5:6], off
	s_waitcnt vmcnt(1)
	v_subrev_nc_u32_e32 v4, s12, v34
	s_delay_alu instid0(VALU_DEP_1) | instskip(NEXT) | instid1(VALU_DEP_1)
	v_add_nc_u32_e32 v4, v4, v41
	v_ashrrev_i32_e32 v5, 31, v4
	s_waitcnt vmcnt(0)
	v_subrev_nc_u32_e32 v33, s12, v8
	s_delay_alu instid0(VALU_DEP_2) | instskip(NEXT) | instid1(VALU_DEP_2)
	v_lshlrev_b64 v[6:7], 8, v[4:5]
	v_cmp_lt_i32_e64 s0, v4, v33
	s_delay_alu instid0(VALU_DEP_2) | instskip(NEXT) | instid1(VALU_DEP_3)
	v_add_co_u32 v6, vcc_lo, s10, v6
	v_add_co_ci_u32_e32 v7, vcc_lo, s11, v7, vcc_lo
	s_cbranch_scc1 .LBB19_27
; %bb.16:
	v_mov_b32_e32 v12, 0
	v_mov_b32_e32 v13, 0
	s_delay_alu instid0(VALU_DEP_2) | instskip(NEXT) | instid1(VALU_DEP_2)
	v_mov_b32_e32 v10, v12
	v_dual_mov_b32 v8, v12 :: v_dual_mov_b32 v9, v13
	v_dual_mov_b32 v22, v13 :: v_dual_mov_b32 v21, v12
	v_mov_b32_e32 v11, v13
	v_dual_mov_b32 v24, v13 :: v_dual_mov_b32 v23, v12
	v_dual_mov_b32 v26, v13 :: v_dual_mov_b32 v25, v12
	;; [unrolled: 1-line block ×4, first 2 shown]
	s_and_saveexec_b32 s6, s0
	s_cbranch_execz .LBB19_26
; %bb.17:
	v_dual_mov_b32 v14, 0 :: v_dual_add_nc_u32 v5, v34, v41
	v_not_b32_e32 v8, v34
	v_mov_b32_e32 v31, v4
	s_mov_b32 s10, 0
	s_delay_alu instid0(VALU_DEP_3) | instskip(SKIP_1) | instid1(VALU_DEP_1)
	v_subrev_nc_u32_e32 v5, s12, v5
	s_mov_b32 s7, exec_lo
	v_dual_mov_b32 v30, v7 :: v_dual_add_nc_u32 v5, 64, v5
	s_delay_alu instid0(VALU_DEP_1) | instskip(NEXT) | instid1(VALU_DEP_1)
	v_max_i32_e32 v5, v5, v33
	v_add3_u32 v5, v5, s12, v8
	s_delay_alu instid0(VALU_DEP_1) | instskip(NEXT) | instid1(VALU_DEP_1)
	v_sub_nc_u32_e32 v5, v5, v41
	v_lshrrev_b32_e32 v8, 6, v5
	s_delay_alu instid0(VALU_DEP_1) | instskip(NEXT) | instid1(VALU_DEP_1)
	v_dual_mov_b32 v15, 0 :: v_dual_add_nc_u32 v8, 1, v8
	v_dual_mov_b32 v29, v6 :: v_dual_mov_b32 v28, v15
	v_dual_mov_b32 v27, v14 :: v_dual_mov_b32 v26, v15
	v_dual_mov_b32 v25, v14 :: v_dual_mov_b32 v24, v15
	s_delay_alu instid0(VALU_DEP_4)
	v_dual_mov_b32 v23, v14 :: v_dual_and_b32 v32, 3, v8
	v_dual_mov_b32 v8, v14 :: v_dual_mov_b32 v9, v15
	v_dual_mov_b32 v10, v14 :: v_dual_mov_b32 v11, v15
	;; [unrolled: 1-line block ×4, first 2 shown]
	v_cmpx_ne_u32_e32 0, v32
	s_cbranch_execz .LBB19_21
; %bb.18:
	v_dual_mov_b32 v12, 0 :: v_dual_lshlrev_b32 v35, 8, v32
	v_dual_mov_b32 v13, 0 :: v_dual_mov_b32 v30, v7
	v_mov_b32_e32 v31, v4
	s_delay_alu instid0(VALU_DEP_3) | instskip(NEXT) | instid1(VALU_DEP_3)
	v_dual_mov_b32 v29, v6 :: v_dual_mov_b32 v10, v12
	v_dual_mov_b32 v22, v13 :: v_dual_mov_b32 v21, v12
	;; [unrolled: 1-line block ×3, first 2 shown]
	v_mov_b32_e32 v26, v13
	v_dual_mov_b32 v11, v13 :: v_dual_mov_b32 v8, v12
	v_dual_mov_b32 v25, v12 :: v_dual_mov_b32 v28, v13
	v_mov_b32_e32 v15, v13
	v_dual_mov_b32 v9, v13 :: v_dual_mov_b32 v14, v12
	v_mov_b32_e32 v27, v12
.LBB19_19:                              ; =>This Inner Loop Header: Depth=1
	v_ashrrev_i32_e32 v32, 31, v31
	v_add_nc_u32_e32 v35, 0xffffff00, v35
	s_delay_alu instid0(VALU_DEP_2) | instskip(NEXT) | instid1(VALU_DEP_2)
	v_lshlrev_b64 v[36:37], 2, v[31:32]
	v_cmp_eq_u32_e64 s1, 0, v35
	v_add_nc_u32_e32 v31, 64, v31
	s_delay_alu instid0(VALU_DEP_2) | instskip(NEXT) | instid1(VALU_DEP_3)
	s_or_b32 s10, s1, s10
	v_add_co_u32 v36, vcc_lo, s8, v36
	s_delay_alu instid0(VALU_DEP_4)
	v_add_co_ci_u32_e32 v37, vcc_lo, s9, v37, vcc_lo
	global_load_b32 v32, v[36:37], off
	s_clause 0x7
	global_load_b128 v[36:39], v[29:30], off offset:16
	global_load_b128 v[42:45], v[29:30], off
	global_load_b128 v[46:49], v[29:30], off offset:80
	global_load_b128 v[50:53], v[29:30], off offset:64
	;; [unrolled: 1-line block ×6, first 2 shown]
	s_waitcnt vmcnt(8)
	v_subrev_nc_u32_e32 v32, s12, v32
	s_delay_alu instid0(VALU_DEP_1) | instskip(NEXT) | instid1(VALU_DEP_1)
	v_lshlrev_b32_e32 v70, 2, v32
	v_ashrrev_i32_e32 v71, 31, v70
	s_delay_alu instid0(VALU_DEP_1) | instskip(SKIP_1) | instid1(VALU_DEP_1)
	v_lshlrev_b64 v[70:71], 4, v[70:71]
	s_waitcnt lgkmcnt(0)
	v_add_co_u32 v114, vcc_lo, s4, v70
	s_delay_alu instid0(VALU_DEP_2)
	v_add_co_ci_u32_e32 v115, vcc_lo, s5, v71, vcc_lo
	s_clause 0x1
	global_load_b128 v[70:73], v[114:115], off
	global_load_b128 v[74:77], v[114:115], off offset:16
	s_clause 0x7
	global_load_b128 v[78:81], v[29:30], off offset:48
	global_load_b128 v[82:85], v[29:30], off offset:32
	;; [unrolled: 1-line block ×8, first 2 shown]
	s_clause 0x1
	global_load_b128 v[110:113], v[114:115], off offset:32
	global_load_b128 v[114:117], v[114:115], off offset:48
	v_add_co_u32 v29, vcc_lo, 0x4000, v29
	v_add_co_ci_u32_e32 v30, vcc_lo, 0, v30, vcc_lo
	s_waitcnt vmcnt(11)
	v_fma_f64 v[21:22], v[42:43], v[70:71], v[21:22]
	v_fma_f64 v[12:13], v[44:45], v[70:71], v[12:13]
	v_fma_f64 v[27:28], v[50:51], v[70:71], v[27:28]
	v_fma_f64 v[14:15], v[52:53], v[70:71], v[14:15]
	v_fma_f64 v[23:24], v[58:59], v[70:71], v[23:24]
	v_fma_f64 v[25:26], v[60:61], v[70:71], v[25:26]
	v_fma_f64 v[10:11], v[66:67], v[70:71], v[10:11]
	v_fma_f64 v[8:9], v[68:69], v[70:71], v[8:9]
	v_fma_f64 v[21:22], -v[44:45], v[72:73], v[21:22]
	v_fma_f64 v[12:13], v[42:43], v[72:73], v[12:13]
	v_fma_f64 v[27:28], -v[52:53], v[72:73], v[27:28]
	v_fma_f64 v[14:15], v[50:51], v[72:73], v[14:15]
	v_fma_f64 v[23:24], -v[60:61], v[72:73], v[23:24]
	v_fma_f64 v[25:26], v[58:59], v[72:73], v[25:26]
	v_fma_f64 v[10:11], -v[68:69], v[72:73], v[10:11]
	v_fma_f64 v[8:9], v[66:67], v[72:73], v[8:9]
	s_waitcnt vmcnt(10)
	v_fma_f64 v[21:22], v[36:37], v[74:75], v[21:22]
	v_fma_f64 v[12:13], v[38:39], v[74:75], v[12:13]
	v_fma_f64 v[27:28], v[46:47], v[74:75], v[27:28]
	v_fma_f64 v[14:15], v[48:49], v[74:75], v[14:15]
	v_fma_f64 v[23:24], v[54:55], v[74:75], v[23:24]
	v_fma_f64 v[25:26], v[56:57], v[74:75], v[25:26]
	v_fma_f64 v[10:11], v[62:63], v[74:75], v[10:11]
	v_fma_f64 v[8:9], v[64:65], v[74:75], v[8:9]
	v_fma_f64 v[21:22], -v[38:39], v[76:77], v[21:22]
	v_fma_f64 v[12:13], v[36:37], v[76:77], v[12:13]
	v_fma_f64 v[27:28], -v[48:49], v[76:77], v[27:28]
	v_fma_f64 v[14:15], v[46:47], v[76:77], v[14:15]
	v_fma_f64 v[23:24], -v[56:57], v[76:77], v[23:24]
	v_fma_f64 v[25:26], v[54:55], v[76:77], v[25:26]
	v_fma_f64 v[10:11], -v[64:65], v[76:77], v[10:11]
	v_fma_f64 v[8:9], v[62:63], v[76:77], v[8:9]
	;; [unrolled: 17-line block ×4, first 2 shown]
	s_and_not1_b32 exec_lo, exec_lo, s10
	s_cbranch_execnz .LBB19_19
; %bb.20:
	s_or_b32 exec_lo, exec_lo, s10
.LBB19_21:
	s_delay_alu instid0(SALU_CYCLE_1) | instskip(NEXT) | instid1(SALU_CYCLE_1)
	s_or_b32 exec_lo, exec_lo, s7
	s_mov_b32 s7, exec_lo
	v_cmpx_lt_u32_e32 0xbf, v5
	s_cbranch_execz .LBB19_25
; %bb.22:
	s_mov_b32 s10, 0
.LBB19_23:                              ; =>This Inner Loop Header: Depth=1
	v_ashrrev_i32_e32 v32, 31, v31
	s_delay_alu instid0(VALU_DEP_1) | instskip(SKIP_1) | instid1(VALU_DEP_2)
	v_lshlrev_b64 v[35:36], 2, v[31:32]
	v_add_nc_u32_e32 v31, 0x100, v31
	v_add_co_u32 v39, vcc_lo, s8, v35
	s_delay_alu instid0(VALU_DEP_3)
	v_add_co_ci_u32_e32 v40, vcc_lo, s9, v36, vcc_lo
	global_load_b32 v5, v[39:40], off
	s_clause 0x3
	global_load_b128 v[35:38], v[29:30], off
	global_load_b128 v[42:45], v[29:30], off offset:64
	global_load_b128 v[46:49], v[29:30], off offset:128
	;; [unrolled: 1-line block ×3, first 2 shown]
	s_clause 0x2
	global_load_b32 v32, v[39:40], off offset:256
	global_load_b32 v152, v[39:40], off offset:512
	;; [unrolled: 1-line block ×3, first 2 shown]
	s_waitcnt vmcnt(7)
	v_subrev_nc_u32_e32 v5, s12, v5
	s_delay_alu instid0(VALU_DEP_1) | instskip(SKIP_2) | instid1(VALU_DEP_2)
	v_lshlrev_b32_e32 v39, 2, v5
	s_waitcnt vmcnt(2)
	v_subrev_nc_u32_e32 v5, s12, v32
	v_ashrrev_i32_e32 v40, 31, v39
	s_delay_alu instid0(VALU_DEP_2) | instskip(SKIP_2) | instid1(VALU_DEP_3)
	v_lshlrev_b32_e32 v134, 2, v5
	s_waitcnt vmcnt(1)
	v_subrev_nc_u32_e32 v5, s12, v152
	v_lshlrev_b64 v[39:40], 4, v[39:40]
	s_delay_alu instid0(VALU_DEP_3) | instskip(NEXT) | instid1(VALU_DEP_3)
	v_ashrrev_i32_e32 v135, 31, v134
	v_lshlrev_b32_e32 v152, 2, v5
	s_waitcnt vmcnt(0)
	v_subrev_nc_u32_e32 v5, s12, v154
	s_delay_alu instid0(VALU_DEP_3)
	v_lshlrev_b64 v[134:135], 4, v[134:135]
	s_waitcnt lgkmcnt(0)
	v_add_co_u32 v39, vcc_lo, s4, v39
	v_add_co_ci_u32_e32 v40, vcc_lo, s5, v40, vcc_lo
	v_ashrrev_i32_e32 v153, 31, v152
	global_load_b128 v[54:57], v[39:40], off
	s_clause 0x3
	global_load_b128 v[58:61], v[29:30], off offset:16
	global_load_b128 v[62:65], v[29:30], off offset:80
	global_load_b128 v[66:69], v[29:30], off offset:144
	global_load_b128 v[70:73], v[29:30], off offset:208
	global_load_b128 v[74:77], v[39:40], off offset:16
	s_clause 0x3
	global_load_b128 v[78:81], v[29:30], off offset:96
	global_load_b128 v[82:85], v[29:30], off offset:160
	global_load_b128 v[86:89], v[29:30], off offset:224
	global_load_b128 v[90:93], v[29:30], off offset:32
	global_load_b128 v[94:97], v[39:40], off offset:32
	;; [unrolled: 6-line block ×3, first 2 shown]
	v_add_co_u32 v39, vcc_lo, 0x4000, v29
	v_add_co_ci_u32_e32 v40, vcc_lo, 0, v30, vcc_lo
	v_add_co_u32 v138, vcc_lo, s4, v134
	v_add_co_ci_u32_e32 v139, vcc_lo, s5, v135, vcc_lo
	s_clause 0x3
	global_load_b128 v[118:121], v[39:40], off
	global_load_b128 v[122:125], v[39:40], off offset:64
	global_load_b128 v[126:129], v[39:40], off offset:128
	;; [unrolled: 1-line block ×3, first 2 shown]
	v_add_co_u32 v150, vcc_lo, 0x8000, v29
	global_load_b128 v[134:137], v[138:139], off
	v_add_co_ci_u32_e32 v151, vcc_lo, 0, v30, vcc_lo
	s_waitcnt vmcnt(20)
	v_fma_f64 v[21:22], v[35:36], v[54:55], v[21:22]
	v_fma_f64 v[12:13], v[37:38], v[54:55], v[12:13]
	v_fma_f64 v[27:28], v[42:43], v[54:55], v[27:28]
	v_fma_f64 v[14:15], v[44:45], v[54:55], v[14:15]
	v_fma_f64 v[23:24], v[46:47], v[54:55], v[23:24]
	v_fma_f64 v[25:26], v[48:49], v[54:55], v[25:26]
	v_fma_f64 v[10:11], v[50:51], v[54:55], v[10:11]
	v_fma_f64 v[8:9], v[52:53], v[54:55], v[8:9]
	v_fma_f64 v[54:55], -v[37:38], v[56:57], v[21:22]
	v_fma_f64 v[140:141], v[35:36], v[56:57], v[12:13]
	v_fma_f64 v[44:45], -v[44:45], v[56:57], v[27:28]
	v_fma_f64 v[42:43], v[42:43], v[56:57], v[14:15]
	v_fma_f64 v[48:49], -v[48:49], v[56:57], v[23:24]
	v_fma_f64 v[46:47], v[46:47], v[56:57], v[25:26]
	v_fma_f64 v[52:53], -v[52:53], v[56:57], v[10:11]
	v_fma_f64 v[50:51], v[50:51], v[56:57], v[8:9]
	s_clause 0x3
	global_load_b128 v[8:11], v[39:40], off offset:16
	global_load_b128 v[12:15], v[39:40], off offset:80
	global_load_b128 v[21:24], v[39:40], off offset:144
	global_load_b128 v[25:28], v[39:40], off offset:208
	global_load_b128 v[35:38], v[138:139], off offset:16
	s_waitcnt vmcnt(20)
	v_fma_f64 v[54:55], v[58:59], v[74:75], v[54:55]
	v_fma_f64 v[56:57], v[60:61], v[74:75], v[140:141]
	v_fma_f64 v[44:45], v[62:63], v[74:75], v[44:45]
	v_fma_f64 v[42:43], v[64:65], v[74:75], v[42:43]
	v_fma_f64 v[48:49], v[66:67], v[74:75], v[48:49]
	v_fma_f64 v[46:47], v[68:69], v[74:75], v[46:47]
	v_fma_f64 v[52:53], v[70:71], v[74:75], v[52:53]
	v_fma_f64 v[50:51], v[72:73], v[74:75], v[50:51]
	v_fma_f64 v[74:75], -v[60:61], v[76:77], v[54:55]
	v_fma_f64 v[140:141], v[58:59], v[76:77], v[56:57]
	v_fma_f64 v[64:65], -v[64:65], v[76:77], v[44:45]
	v_fma_f64 v[62:63], v[62:63], v[76:77], v[42:43]
	v_fma_f64 v[68:69], -v[68:69], v[76:77], v[48:49]
	v_fma_f64 v[66:67], v[66:67], v[76:77], v[46:47]
	v_fma_f64 v[72:73], -v[72:73], v[76:77], v[52:53]
	v_fma_f64 v[70:71], v[70:71], v[76:77], v[50:51]
	s_clause 0x3
	global_load_b128 v[42:45], v[39:40], off offset:96
	global_load_b128 v[46:49], v[39:40], off offset:160
	global_load_b128 v[50:53], v[39:40], off offset:224
	global_load_b128 v[54:57], v[39:40], off offset:32
	global_load_b128 v[58:61], v[138:139], off offset:32
	;; [unrolled: 23-line block ×3, first 2 shown]
	s_waitcnt vmcnt(20)
	v_fma_f64 v[39:40], v[98:99], v[114:115], v[92:93]
	v_fma_f64 v[138:139], v[100:101], v[114:115], v[90:91]
	v_fma_f64 v[142:143], v[102:103], v[114:115], v[94:95]
	v_fma_f64 v[140:141], v[104:105], v[114:115], v[140:141]
	v_fma_f64 v[144:145], v[106:107], v[114:115], v[84:85]
	v_fma_f64 v[146:147], v[108:109], v[114:115], v[82:83]
	v_fma_f64 v[148:149], v[110:111], v[114:115], v[88:89]
	v_fma_f64 v[114:115], v[112:113], v[114:115], v[86:87]
	s_clause 0x3
	global_load_b128 v[82:85], v[150:151], off
	global_load_b128 v[86:89], v[150:151], off offset:64
	global_load_b128 v[90:93], v[150:151], off offset:128
	global_load_b128 v[94:97], v[150:151], off offset:192
	v_fma_f64 v[39:40], -v[100:101], v[116:117], v[39:40]
	v_fma_f64 v[138:139], v[98:99], v[116:117], v[138:139]
	v_fma_f64 v[104:105], -v[104:105], v[116:117], v[142:143]
	v_fma_f64 v[102:103], v[102:103], v[116:117], v[140:141]
	;; [unrolled: 2-line block ×4, first 2 shown]
	v_lshlrev_b64 v[98:99], 4, v[152:153]
	v_lshlrev_b32_e32 v152, 2, v5
	s_delay_alu instid0(VALU_DEP_2) | instskip(NEXT) | instid1(VALU_DEP_3)
	v_add_co_u32 v140, vcc_lo, s4, v98
	v_add_co_ci_u32_e32 v141, vcc_lo, s5, v99, vcc_lo
	s_delay_alu instid0(VALU_DEP_3)
	v_ashrrev_i32_e32 v153, 31, v152
	global_load_b128 v[98:101], v[140:141], off
	s_waitcnt vmcnt(20)
	v_fma_f64 v[39:40], v[118:119], v[134:135], v[39:40]
	v_fma_f64 v[114:115], v[120:121], v[134:135], v[138:139]
	v_fma_f64 v[104:105], v[122:123], v[134:135], v[104:105]
	v_fma_f64 v[102:103], v[124:125], v[134:135], v[102:103]
	v_fma_f64 v[108:109], v[126:127], v[134:135], v[108:109]
	v_fma_f64 v[106:107], v[128:129], v[134:135], v[106:107]
	v_fma_f64 v[112:113], v[130:131], v[134:135], v[112:113]
	v_fma_f64 v[110:111], v[132:133], v[134:135], v[110:111]
	v_fma_f64 v[39:40], -v[120:121], v[136:137], v[39:40]
	v_fma_f64 v[134:135], v[118:119], v[136:137], v[114:115]
	v_fma_f64 v[124:125], -v[124:125], v[136:137], v[104:105]
	v_fma_f64 v[122:123], v[122:123], v[136:137], v[102:103]
	v_fma_f64 v[128:129], -v[128:129], v[136:137], v[108:109]
	v_fma_f64 v[126:127], v[126:127], v[136:137], v[106:107]
	v_fma_f64 v[132:133], -v[132:133], v[136:137], v[112:113]
	v_fma_f64 v[130:131], v[130:131], v[136:137], v[110:111]
	s_clause 0x3
	global_load_b128 v[102:105], v[150:151], off offset:16
	global_load_b128 v[106:109], v[150:151], off offset:80
	global_load_b128 v[110:113], v[150:151], off offset:144
	global_load_b128 v[114:117], v[150:151], off offset:208
	global_load_b128 v[118:121], v[140:141], off offset:16
	s_waitcnt vmcnt(20)
	v_fma_f64 v[39:40], v[8:9], v[35:36], v[39:40]
	v_fma_f64 v[134:135], v[10:11], v[35:36], v[134:135]
	v_fma_f64 v[124:125], v[12:13], v[35:36], v[124:125]
	v_fma_f64 v[122:123], v[14:15], v[35:36], v[122:123]
	v_fma_f64 v[128:129], v[21:22], v[35:36], v[128:129]
	v_fma_f64 v[126:127], v[23:24], v[35:36], v[126:127]
	v_fma_f64 v[132:133], v[25:26], v[35:36], v[132:133]
	v_fma_f64 v[35:36], v[27:28], v[35:36], v[130:131]
	v_fma_f64 v[39:40], -v[10:11], v[37:38], v[39:40]
	v_fma_f64 v[130:131], v[8:9], v[37:38], v[134:135]
	v_fma_f64 v[124:125], -v[14:15], v[37:38], v[124:125]
	v_fma_f64 v[122:123], v[12:13], v[37:38], v[122:123]
	v_fma_f64 v[128:129], -v[23:24], v[37:38], v[128:129]
	v_fma_f64 v[126:127], v[21:22], v[37:38], v[126:127]
	v_fma_f64 v[132:133], -v[27:28], v[37:38], v[132:133]
	v_fma_f64 v[134:135], v[25:26], v[37:38], v[35:36]
	s_clause 0x3
	global_load_b128 v[8:11], v[150:151], off offset:96
	global_load_b128 v[12:15], v[150:151], off offset:160
	global_load_b128 v[21:24], v[150:151], off offset:224
	global_load_b128 v[25:28], v[150:151], off offset:32
	global_load_b128 v[35:38], v[140:141], off offset:32
	;; [unrolled: 23-line block ×3, first 2 shown]
	v_add_co_u32 v150, vcc_lo, 0xc000, v29
	v_add_co_ci_u32_e32 v151, vcc_lo, 0, v30, vcc_lo
	v_add_co_u32 v29, s1, 0x10000, v29
	s_delay_alu instid0(VALU_DEP_1)
	v_add_co_ci_u32_e64 v30, s1, 0, v30, s1
	s_waitcnt vmcnt(20)
	v_fma_f64 v[39:40], v[62:63], v[78:79], v[39:40]
	v_fma_f64 v[138:139], v[64:65], v[78:79], v[130:131]
	v_fma_f64 v[140:141], v[66:67], v[78:79], v[124:125]
	v_fma_f64 v[142:143], v[68:69], v[78:79], v[122:123]
	v_fma_f64 v[144:145], v[70:71], v[78:79], v[128:129]
	v_fma_f64 v[146:147], v[72:73], v[78:79], v[126:127]
	v_fma_f64 v[148:149], v[74:75], v[78:79], v[132:133]
	v_fma_f64 v[78:79], v[76:77], v[78:79], v[134:135]
	s_clause 0x3
	global_load_b128 v[122:125], v[150:151], off
	global_load_b128 v[126:129], v[150:151], off offset:64
	global_load_b128 v[130:133], v[150:151], off offset:128
	;; [unrolled: 1-line block ×3, first 2 shown]
	v_fma_f64 v[39:40], -v[64:65], v[80:81], v[39:40]
	v_fma_f64 v[138:139], v[62:63], v[80:81], v[138:139]
	v_fma_f64 v[68:69], -v[68:69], v[80:81], v[140:141]
	v_fma_f64 v[66:67], v[66:67], v[80:81], v[142:143]
	;; [unrolled: 2-line block ×4, first 2 shown]
	v_lshlrev_b64 v[62:63], 4, v[152:153]
	s_delay_alu instid0(VALU_DEP_1) | instskip(NEXT) | instid1(VALU_DEP_2)
	v_add_co_u32 v140, vcc_lo, s4, v62
	v_add_co_ci_u32_e32 v141, vcc_lo, s5, v63, vcc_lo
	v_cmp_ge_i32_e32 vcc_lo, v31, v33
	global_load_b128 v[62:65], v[140:141], off
	s_or_b32 s10, vcc_lo, s10
	s_waitcnt vmcnt(20)
	v_fma_f64 v[39:40], v[82:83], v[98:99], v[39:40]
	v_fma_f64 v[78:79], v[84:85], v[98:99], v[138:139]
	v_fma_f64 v[68:69], v[86:87], v[98:99], v[68:69]
	v_fma_f64 v[66:67], v[88:89], v[98:99], v[66:67]
	v_fma_f64 v[72:73], v[90:91], v[98:99], v[72:73]
	v_fma_f64 v[70:71], v[92:93], v[98:99], v[70:71]
	v_fma_f64 v[76:77], v[94:95], v[98:99], v[76:77]
	v_fma_f64 v[74:75], v[96:97], v[98:99], v[74:75]
	v_fma_f64 v[39:40], -v[84:85], v[100:101], v[39:40]
	v_fma_f64 v[98:99], v[82:83], v[100:101], v[78:79]
	v_fma_f64 v[88:89], -v[88:89], v[100:101], v[68:69]
	v_fma_f64 v[86:87], v[86:87], v[100:101], v[66:67]
	v_fma_f64 v[92:93], -v[92:93], v[100:101], v[72:73]
	v_fma_f64 v[90:91], v[90:91], v[100:101], v[70:71]
	v_fma_f64 v[96:97], -v[96:97], v[100:101], v[76:77]
	v_fma_f64 v[94:95], v[94:95], v[100:101], v[74:75]
	s_clause 0x3
	global_load_b128 v[66:69], v[150:151], off offset:80
	global_load_b128 v[70:73], v[150:151], off offset:144
	global_load_b128 v[74:77], v[150:151], off offset:208
	global_load_b128 v[78:81], v[150:151], off offset:16
	global_load_b128 v[82:85], v[140:141], off offset:16
	s_waitcnt vmcnt(20)
	v_fma_f64 v[39:40], v[102:103], v[118:119], v[39:40]
	v_fma_f64 v[98:99], v[104:105], v[118:119], v[98:99]
	v_fma_f64 v[88:89], v[106:107], v[118:119], v[88:89]
	v_fma_f64 v[86:87], v[108:109], v[118:119], v[86:87]
	v_fma_f64 v[92:93], v[110:111], v[118:119], v[92:93]
	v_fma_f64 v[90:91], v[112:113], v[118:119], v[90:91]
	v_fma_f64 v[96:97], v[114:115], v[118:119], v[96:97]
	v_fma_f64 v[94:95], v[116:117], v[118:119], v[94:95]
	v_fma_f64 v[39:40], -v[104:105], v[120:121], v[39:40]
	v_fma_f64 v[118:119], v[102:103], v[120:121], v[98:99]
	v_fma_f64 v[108:109], -v[108:109], v[120:121], v[88:89]
	v_fma_f64 v[106:107], v[106:107], v[120:121], v[86:87]
	v_fma_f64 v[112:113], -v[112:113], v[120:121], v[92:93]
	v_fma_f64 v[110:111], v[110:111], v[120:121], v[90:91]
	v_fma_f64 v[116:117], -v[116:117], v[120:121], v[96:97]
	v_fma_f64 v[114:115], v[114:115], v[120:121], v[94:95]
	s_clause 0x3
	global_load_b128 v[86:89], v[150:151], off offset:96
	global_load_b128 v[90:93], v[150:151], off offset:160
	global_load_b128 v[94:97], v[150:151], off offset:224
	global_load_b128 v[98:101], v[150:151], off offset:32
	global_load_b128 v[102:105], v[140:141], off offset:32
	;; [unrolled: 23-line block ×3, first 2 shown]
	s_waitcnt vmcnt(20)
	v_fma_f64 v[27:28], v[42:43], v[58:59], v[27:28]
	v_fma_f64 v[39:40], v[44:45], v[58:59], v[39:40]
	v_fma_f64 v[114:115], v[46:47], v[58:59], v[114:115]
	v_fma_f64 v[118:119], v[48:49], v[58:59], v[118:119]
	v_fma_f64 v[14:15], v[50:51], v[58:59], v[14:15]
	v_fma_f64 v[12:13], v[52:53], v[58:59], v[12:13]
	v_fma_f64 v[116:117], v[54:55], v[58:59], v[116:117]
	v_fma_f64 v[21:22], v[56:57], v[58:59], v[21:22]
	v_fma_f64 v[27:28], -v[44:45], v[60:61], v[27:28]
	v_fma_f64 v[39:40], v[42:43], v[60:61], v[39:40]
	v_fma_f64 v[42:43], -v[48:49], v[60:61], v[114:115]
	v_fma_f64 v[44:45], v[46:47], v[60:61], v[118:119]
	v_fma_f64 v[14:15], -v[52:53], v[60:61], v[14:15]
	v_fma_f64 v[12:13], v[50:51], v[60:61], v[12:13]
	v_fma_f64 v[46:47], -v[56:57], v[60:61], v[116:117]
	v_fma_f64 v[21:22], v[54:55], v[60:61], v[21:22]
	s_waitcnt vmcnt(15)
	v_fma_f64 v[27:28], v[122:123], v[62:63], v[27:28]
	v_fma_f64 v[39:40], v[124:125], v[62:63], v[39:40]
	v_fma_f64 v[42:43], v[126:127], v[62:63], v[42:43]
	v_fma_f64 v[44:45], v[128:129], v[62:63], v[44:45]
	v_fma_f64 v[14:15], v[130:131], v[62:63], v[14:15]
	v_fma_f64 v[12:13], v[132:133], v[62:63], v[12:13]
	v_fma_f64 v[46:47], v[134:135], v[62:63], v[46:47]
	v_fma_f64 v[21:22], v[136:137], v[62:63], v[21:22]
	v_fma_f64 v[27:28], -v[124:125], v[64:65], v[27:28]
	v_fma_f64 v[39:40], v[122:123], v[64:65], v[39:40]
	v_fma_f64 v[42:43], -v[128:129], v[64:65], v[42:43]
	v_fma_f64 v[44:45], v[126:127], v[64:65], v[44:45]
	v_fma_f64 v[14:15], -v[132:133], v[64:65], v[14:15]
	v_fma_f64 v[12:13], v[130:131], v[64:65], v[12:13]
	v_fma_f64 v[46:47], -v[136:137], v[64:65], v[46:47]
	v_fma_f64 v[21:22], v[134:135], v[64:65], v[21:22]
	;; [unrolled: 17-line block ×5, first 2 shown]
	s_and_not1_b32 exec_lo, exec_lo, s10
	s_cbranch_execnz .LBB19_23
; %bb.24:
	s_or_b32 exec_lo, exec_lo, s10
.LBB19_25:
	s_delay_alu instid0(SALU_CYCLE_1)
	s_or_b32 exec_lo, exec_lo, s7
.LBB19_26:
	s_delay_alu instid0(SALU_CYCLE_1)
	s_or_b32 exec_lo, exec_lo, s6
	s_cbranch_execz .LBB19_28
	s_branch .LBB19_39
.LBB19_27:
                                        ; implicit-def: $vgpr12_vgpr13
                                        ; implicit-def: $vgpr21_vgpr22
                                        ; implicit-def: $vgpr10_vgpr11
                                        ; implicit-def: $vgpr8_vgpr9
                                        ; implicit-def: $vgpr23_vgpr24
                                        ; implicit-def: $vgpr25_vgpr26
                                        ; implicit-def: $vgpr27_vgpr28
                                        ; implicit-def: $vgpr14_vgpr15
.LBB19_28:
	v_mov_b32_e32 v12, 0
	v_mov_b32_e32 v13, 0
	s_delay_alu instid0(VALU_DEP_2) | instskip(NEXT) | instid1(VALU_DEP_2)
	v_mov_b32_e32 v10, v12
	v_dual_mov_b32 v8, v12 :: v_dual_mov_b32 v9, v13
	v_dual_mov_b32 v22, v13 :: v_dual_mov_b32 v21, v12
	v_mov_b32_e32 v11, v13
	v_dual_mov_b32 v24, v13 :: v_dual_mov_b32 v23, v12
	v_dual_mov_b32 v26, v13 :: v_dual_mov_b32 v25, v12
	;; [unrolled: 1-line block ×4, first 2 shown]
	s_and_saveexec_b32 s1, s0
	s_cbranch_execz .LBB19_38
; %bb.29:
	v_dual_mov_b32 v14, 0 :: v_dual_add_nc_u32 v5, v34, v41
	v_mov_b32_e32 v15, 0
	v_not_b32_e32 v8, v34
	s_mov_b32 s7, 0
	s_delay_alu instid0(VALU_DEP_3) | instskip(SKIP_2) | instid1(VALU_DEP_2)
	v_subrev_nc_u32_e32 v5, s12, v5
	s_mov_b32 s6, exec_lo
	v_dual_mov_b32 v28, v15 :: v_dual_mov_b32 v27, v14
	v_dual_mov_b32 v24, v15 :: v_dual_add_nc_u32 v5, 64, v5
	v_dual_mov_b32 v23, v14 :: v_dual_mov_b32 v26, v15
	v_dual_mov_b32 v25, v14 :: v_dual_mov_b32 v22, v15
	s_delay_alu instid0(VALU_DEP_3) | instskip(SKIP_3) | instid1(VALU_DEP_4)
	v_max_i32_e32 v5, v5, v33
	v_mov_b32_e32 v21, v14
	v_dual_mov_b32 v10, v14 :: v_dual_mov_b32 v11, v15
	v_mov_b32_e32 v12, v14
	v_add3_u32 v5, v5, s12, v8
	v_dual_mov_b32 v8, v14 :: v_dual_mov_b32 v9, v15
	v_mov_b32_e32 v13, v15
	s_delay_alu instid0(VALU_DEP_3) | instskip(NEXT) | instid1(VALU_DEP_1)
	v_sub_nc_u32_e32 v29, v5, v41
	v_lshrrev_b32_e32 v5, 6, v29
	s_delay_alu instid0(VALU_DEP_1) | instskip(NEXT) | instid1(VALU_DEP_1)
	v_add_nc_u32_e32 v5, 1, v5
	v_and_b32_e32 v5, 3, v5
	s_delay_alu instid0(VALU_DEP_1)
	v_cmpx_ne_u32_e32 0, v5
	s_cbranch_execz .LBB19_33
; %bb.30:
	v_mov_b32_e32 v12, 0
	v_dual_mov_b32 v13, 0 :: v_dual_lshlrev_b32 v30, 8, v5
	s_delay_alu instid0(VALU_DEP_2) | instskip(NEXT) | instid1(VALU_DEP_2)
	v_mov_b32_e32 v10, v12
	v_dual_mov_b32 v8, v12 :: v_dual_mov_b32 v9, v13
	v_dual_mov_b32 v22, v13 :: v_dual_mov_b32 v21, v12
	v_mov_b32_e32 v11, v13
	v_dual_mov_b32 v24, v13 :: v_dual_mov_b32 v23, v12
	v_dual_mov_b32 v26, v13 :: v_dual_mov_b32 v25, v12
	v_dual_mov_b32 v28, v13 :: v_dual_mov_b32 v27, v12
	v_dual_mov_b32 v15, v13 :: v_dual_mov_b32 v14, v12
.LBB19_31:                              ; =>This Inner Loop Header: Depth=1
	v_ashrrev_i32_e32 v5, 31, v4
	v_add_nc_u32_e32 v30, 0xffffff00, v30
	s_delay_alu instid0(VALU_DEP_2) | instskip(NEXT) | instid1(VALU_DEP_2)
	v_lshlrev_b64 v[31:32], 2, v[4:5]
	v_cmp_eq_u32_e64 s0, 0, v30
	v_add_nc_u32_e32 v4, 64, v4
	s_delay_alu instid0(VALU_DEP_2) | instskip(NEXT) | instid1(VALU_DEP_3)
	s_or_b32 s7, s0, s7
	v_add_co_u32 v31, vcc_lo, s8, v31
	s_delay_alu instid0(VALU_DEP_4)
	v_add_co_ci_u32_e32 v32, vcc_lo, s9, v32, vcc_lo
	global_load_b32 v5, v[31:32], off
	s_clause 0x3
	global_load_b128 v[34:37], v[6:7], off offset:48
	global_load_b128 v[42:45], v[6:7], off offset:32
	;; [unrolled: 1-line block ×3, first 2 shown]
	global_load_b128 v[50:53], v[6:7], off
	s_waitcnt vmcnt(4)
	v_subrev_nc_u32_e32 v5, s12, v5
	s_delay_alu instid0(VALU_DEP_1) | instskip(NEXT) | instid1(VALU_DEP_1)
	v_lshlrev_b32_e32 v31, 2, v5
	v_ashrrev_i32_e32 v32, 31, v31
	s_delay_alu instid0(VALU_DEP_1) | instskip(SKIP_1) | instid1(VALU_DEP_1)
	v_lshlrev_b64 v[31:32], 4, v[31:32]
	s_waitcnt lgkmcnt(0)
	v_add_co_u32 v31, vcc_lo, s4, v31
	s_delay_alu instid0(VALU_DEP_2)
	v_add_co_ci_u32_e32 v32, vcc_lo, s5, v32, vcc_lo
	s_clause 0x1
	global_load_b128 v[54:57], v[31:32], off
	global_load_b128 v[58:61], v[31:32], off offset:16
	s_clause 0x7
	global_load_b128 v[62:65], v[6:7], off offset:64
	global_load_b128 v[66:69], v[6:7], off offset:80
	;; [unrolled: 1-line block ×8, first 2 shown]
	s_clause 0x1
	global_load_b128 v[94:97], v[31:32], off offset:32
	global_load_b128 v[98:101], v[31:32], off offset:48
	s_clause 0x3
	global_load_b128 v[102:105], v[6:7], off offset:192
	global_load_b128 v[106:109], v[6:7], off offset:208
	;; [unrolled: 1-line block ×4, first 2 shown]
	v_add_co_u32 v6, vcc_lo, 0x4000, v6
	v_add_co_ci_u32_e32 v7, vcc_lo, 0, v7, vcc_lo
	s_waitcnt vmcnt(15)
	v_fma_f64 v[21:22], v[50:51], v[54:55], v[21:22]
	v_fma_f64 v[12:13], v[52:53], v[54:55], v[12:13]
	;; [unrolled: 1-line block ×8, first 2 shown]
	v_fma_f64 v[21:22], -v[52:53], v[56:57], v[21:22]
	v_fma_f64 v[12:13], v[50:51], v[56:57], v[12:13]
	v_fma_f64 v[27:28], -v[48:49], v[56:57], v[27:28]
	v_fma_f64 v[14:15], v[46:47], v[56:57], v[14:15]
	;; [unrolled: 2-line block ×4, first 2 shown]
	s_waitcnt vmcnt(13)
	v_fma_f64 v[21:22], v[62:63], v[58:59], v[21:22]
	v_fma_f64 v[12:13], v[64:65], v[58:59], v[12:13]
	s_waitcnt vmcnt(12)
	v_fma_f64 v[27:28], v[66:67], v[58:59], v[27:28]
	v_fma_f64 v[14:15], v[68:69], v[58:59], v[14:15]
	;; [unrolled: 3-line block ×4, first 2 shown]
	v_fma_f64 v[21:22], -v[64:65], v[60:61], v[21:22]
	v_fma_f64 v[12:13], v[62:63], v[60:61], v[12:13]
	v_fma_f64 v[27:28], -v[68:69], v[60:61], v[27:28]
	v_fma_f64 v[14:15], v[66:67], v[60:61], v[14:15]
	v_fma_f64 v[23:24], -v[72:73], v[60:61], v[23:24]
	v_fma_f64 v[25:26], v[70:71], v[60:61], v[25:26]
	v_fma_f64 v[10:11], -v[76:77], v[60:61], v[10:11]
	v_fma_f64 v[8:9], v[74:75], v[60:61], v[8:9]
	s_waitcnt vmcnt(5)
	v_fma_f64 v[21:22], v[90:91], v[94:95], v[21:22]
	v_fma_f64 v[12:13], v[92:93], v[94:95], v[12:13]
	;; [unrolled: 1-line block ×8, first 2 shown]
	v_fma_f64 v[21:22], -v[92:93], v[96:97], v[21:22]
	v_fma_f64 v[12:13], v[90:91], v[96:97], v[12:13]
	v_fma_f64 v[27:28], -v[88:89], v[96:97], v[27:28]
	v_fma_f64 v[14:15], v[86:87], v[96:97], v[14:15]
	;; [unrolled: 2-line block ×4, first 2 shown]
	s_waitcnt vmcnt(3)
	v_fma_f64 v[21:22], v[102:103], v[98:99], v[21:22]
	v_fma_f64 v[12:13], v[104:105], v[98:99], v[12:13]
	s_waitcnt vmcnt(2)
	v_fma_f64 v[27:28], v[106:107], v[98:99], v[27:28]
	v_fma_f64 v[14:15], v[108:109], v[98:99], v[14:15]
	;; [unrolled: 3-line block ×4, first 2 shown]
	v_fma_f64 v[21:22], -v[104:105], v[100:101], v[21:22]
	v_fma_f64 v[12:13], v[102:103], v[100:101], v[12:13]
	v_fma_f64 v[27:28], -v[108:109], v[100:101], v[27:28]
	v_fma_f64 v[14:15], v[106:107], v[100:101], v[14:15]
	;; [unrolled: 2-line block ×4, first 2 shown]
	s_and_not1_b32 exec_lo, exec_lo, s7
	s_cbranch_execnz .LBB19_31
; %bb.32:
	s_or_b32 exec_lo, exec_lo, s7
.LBB19_33:
	s_delay_alu instid0(SALU_CYCLE_1) | instskip(NEXT) | instid1(SALU_CYCLE_1)
	s_or_b32 exec_lo, exec_lo, s6
	s_mov_b32 s6, exec_lo
	v_cmpx_lt_u32_e32 0xbf, v29
	s_cbranch_execz .LBB19_37
; %bb.34:
	s_mov_b32 s7, 0
.LBB19_35:                              ; =>This Inner Loop Header: Depth=1
	v_ashrrev_i32_e32 v5, 31, v4
	s_delay_alu instid0(VALU_DEP_1) | instskip(SKIP_1) | instid1(VALU_DEP_2)
	v_lshlrev_b64 v[29:30], 2, v[4:5]
	v_add_nc_u32_e32 v4, 0x100, v4
	v_add_co_u32 v38, vcc_lo, s8, v29
	s_delay_alu instid0(VALU_DEP_3)
	v_add_co_ci_u32_e32 v39, vcc_lo, s9, v30, vcc_lo
	global_load_b32 v40, v[38:39], off
	s_clause 0x3
	global_load_b128 v[29:32], v[6:7], off offset:48
	global_load_b128 v[34:37], v[6:7], off offset:32
	;; [unrolled: 1-line block ×3, first 2 shown]
	global_load_b128 v[46:49], v[6:7], off
	s_clause 0x2
	global_load_b32 v130, v[38:39], off offset:256
	global_load_b32 v148, v[38:39], off offset:512
	;; [unrolled: 1-line block ×3, first 2 shown]
	s_waitcnt vmcnt(7)
	v_subrev_nc_u32_e32 v38, s12, v40
	s_delay_alu instid0(VALU_DEP_1)
	v_lshlrev_b32_e32 v38, 2, v38
	s_waitcnt vmcnt(2)
	v_subrev_nc_u32_e32 v40, s12, v130
	s_waitcnt vmcnt(0)
	v_subrev_nc_u32_e32 v5, s12, v5
	v_ashrrev_i32_e32 v39, 31, v38
	s_delay_alu instid0(VALU_DEP_3) | instskip(SKIP_1) | instid1(VALU_DEP_3)
	v_lshlrev_b32_e32 v130, 2, v40
	v_subrev_nc_u32_e32 v40, s12, v148
	v_lshlrev_b64 v[38:39], 4, v[38:39]
	s_delay_alu instid0(VALU_DEP_3) | instskip(NEXT) | instid1(VALU_DEP_3)
	v_ashrrev_i32_e32 v131, 31, v130
	v_lshlrev_b32_e32 v148, 2, v40
	s_delay_alu instid0(VALU_DEP_2) | instskip(SKIP_1) | instid1(VALU_DEP_4)
	v_lshlrev_b64 v[130:131], 4, v[130:131]
	s_waitcnt lgkmcnt(0)
	v_add_co_u32 v38, vcc_lo, s4, v38
	v_add_co_ci_u32_e32 v39, vcc_lo, s5, v39, vcc_lo
	v_ashrrev_i32_e32 v149, 31, v148
	global_load_b128 v[50:53], v[38:39], off
	s_clause 0x3
	global_load_b128 v[54:57], v[6:7], off offset:112
	global_load_b128 v[58:61], v[6:7], off offset:96
	global_load_b128 v[62:65], v[6:7], off offset:80
	global_load_b128 v[66:69], v[6:7], off offset:64
	global_load_b128 v[70:73], v[38:39], off offset:16
	s_clause 0x3
	global_load_b128 v[74:77], v[6:7], off offset:176
	global_load_b128 v[78:81], v[6:7], off offset:160
	global_load_b128 v[82:85], v[6:7], off offset:144
	global_load_b128 v[86:89], v[6:7], off offset:128
	global_load_b128 v[90:93], v[38:39], off offset:32
	s_clause 0x3
	global_load_b128 v[94:97], v[6:7], off offset:240
	global_load_b128 v[98:101], v[6:7], off offset:224
	global_load_b128 v[102:105], v[6:7], off offset:208
	global_load_b128 v[106:109], v[6:7], off offset:192
	global_load_b128 v[110:113], v[38:39], off offset:48
	v_add_co_u32 v38, vcc_lo, 0x4000, v6
	v_add_co_ci_u32_e32 v39, vcc_lo, 0, v7, vcc_lo
	v_add_co_u32 v134, vcc_lo, s4, v130
	v_add_co_ci_u32_e32 v135, vcc_lo, s5, v131, vcc_lo
	s_clause 0x3
	global_load_b128 v[114:117], v[38:39], off offset:48
	global_load_b128 v[118:121], v[38:39], off offset:32
	global_load_b128 v[122:125], v[38:39], off
	global_load_b128 v[126:129], v[38:39], off offset:16
	v_add_co_u32 v146, vcc_lo, 0x8000, v6
	global_load_b128 v[130:133], v[134:135], off
	v_add_co_ci_u32_e32 v147, vcc_lo, 0, v7, vcc_lo
	s_waitcnt vmcnt(20)
	v_fma_f64 v[21:22], v[46:47], v[50:51], v[21:22]
	v_fma_f64 v[12:13], v[48:49], v[50:51], v[12:13]
	v_fma_f64 v[27:28], v[42:43], v[50:51], v[27:28]
	v_fma_f64 v[14:15], v[44:45], v[50:51], v[14:15]
	v_fma_f64 v[23:24], v[34:35], v[50:51], v[23:24]
	v_fma_f64 v[25:26], v[36:37], v[50:51], v[25:26]
	v_fma_f64 v[10:11], v[29:30], v[50:51], v[10:11]
	v_fma_f64 v[8:9], v[31:32], v[50:51], v[8:9]
	v_fma_f64 v[48:49], -v[48:49], v[52:53], v[21:22]
	v_fma_f64 v[46:47], v[46:47], v[52:53], v[12:13]
	v_fma_f64 v[44:45], -v[44:45], v[52:53], v[27:28]
	v_fma_f64 v[42:43], v[42:43], v[52:53], v[14:15]
	v_fma_f64 v[36:37], -v[36:37], v[52:53], v[23:24]
	v_fma_f64 v[34:35], v[34:35], v[52:53], v[25:26]
	v_fma_f64 v[50:51], -v[31:32], v[52:53], v[10:11]
	v_fma_f64 v[52:53], v[29:30], v[52:53], v[8:9]
	s_clause 0x3
	global_load_b128 v[8:11], v[38:39], off offset:112
	global_load_b128 v[12:15], v[38:39], off offset:96
	global_load_b128 v[21:24], v[38:39], off offset:80
	global_load_b128 v[25:28], v[38:39], off offset:64
	global_load_b128 v[29:32], v[134:135], off offset:16
	s_waitcnt vmcnt(20)
	v_fma_f64 v[48:49], v[66:67], v[70:71], v[48:49]
	v_fma_f64 v[46:47], v[68:69], v[70:71], v[46:47]
	v_fma_f64 v[44:45], v[62:63], v[70:71], v[44:45]
	v_fma_f64 v[42:43], v[64:65], v[70:71], v[42:43]
	v_fma_f64 v[36:37], v[58:59], v[70:71], v[36:37]
	v_fma_f64 v[34:35], v[60:61], v[70:71], v[34:35]
	v_fma_f64 v[50:51], v[54:55], v[70:71], v[50:51]
	v_fma_f64 v[52:53], v[56:57], v[70:71], v[52:53]
	v_fma_f64 v[68:69], -v[68:69], v[72:73], v[48:49]
	v_fma_f64 v[66:67], v[66:67], v[72:73], v[46:47]
	v_fma_f64 v[64:65], -v[64:65], v[72:73], v[44:45]
	v_fma_f64 v[62:63], v[62:63], v[72:73], v[42:43]
	v_fma_f64 v[60:61], -v[60:61], v[72:73], v[36:37]
	v_fma_f64 v[58:59], v[58:59], v[72:73], v[34:35]
	v_fma_f64 v[70:71], -v[56:57], v[72:73], v[50:51]
	v_fma_f64 v[72:73], v[54:55], v[72:73], v[52:53]
	s_clause 0x3
	global_load_b128 v[34:37], v[38:39], off offset:176
	global_load_b128 v[42:45], v[38:39], off offset:160
	global_load_b128 v[46:49], v[38:39], off offset:144
	global_load_b128 v[50:53], v[38:39], off offset:128
	global_load_b128 v[54:57], v[134:135], off offset:32
	;; [unrolled: 23-line block ×3, first 2 shown]
	s_waitcnt vmcnt(20)
	v_fma_f64 v[38:39], v[106:107], v[110:111], v[88:89]
	v_fma_f64 v[134:135], v[108:109], v[110:111], v[86:87]
	;; [unrolled: 1-line block ×8, first 2 shown]
	s_clause 0x3
	global_load_b128 v[78:81], v[146:147], off offset:48
	global_load_b128 v[82:85], v[146:147], off offset:32
	global_load_b128 v[86:89], v[146:147], off
	global_load_b128 v[90:93], v[146:147], off offset:16
	v_fma_f64 v[38:39], -v[108:109], v[112:113], v[38:39]
	v_fma_f64 v[106:107], v[106:107], v[112:113], v[134:135]
	v_fma_f64 v[104:105], -v[104:105], v[112:113], v[136:137]
	v_fma_f64 v[102:103], v[102:103], v[112:113], v[138:139]
	;; [unrolled: 2-line block ×4, first 2 shown]
	v_lshlrev_b64 v[94:95], 4, v[148:149]
	v_lshlrev_b32_e32 v148, 2, v5
	s_delay_alu instid0(VALU_DEP_2) | instskip(NEXT) | instid1(VALU_DEP_3)
	v_add_co_u32 v134, vcc_lo, s4, v94
	v_add_co_ci_u32_e32 v135, vcc_lo, s5, v95, vcc_lo
	s_delay_alu instid0(VALU_DEP_3)
	v_ashrrev_i32_e32 v149, 31, v148
	global_load_b128 v[94:97], v[134:135], off
	s_waitcnt vmcnt(20)
	v_fma_f64 v[38:39], v[122:123], v[130:131], v[38:39]
	v_fma_f64 v[106:107], v[124:125], v[130:131], v[106:107]
	v_fma_f64 v[104:105], v[126:127], v[130:131], v[104:105]
	v_fma_f64 v[102:103], v[128:129], v[130:131], v[102:103]
	v_fma_f64 v[100:101], v[118:119], v[130:131], v[100:101]
	v_fma_f64 v[98:99], v[120:121], v[130:131], v[98:99]
	v_fma_f64 v[108:109], v[114:115], v[130:131], v[108:109]
	v_fma_f64 v[110:111], v[116:117], v[130:131], v[110:111]
	v_fma_f64 v[38:39], -v[124:125], v[132:133], v[38:39]
	v_fma_f64 v[122:123], v[122:123], v[132:133], v[106:107]
	v_fma_f64 v[124:125], -v[128:129], v[132:133], v[104:105]
	v_fma_f64 v[126:127], v[126:127], v[132:133], v[102:103]
	v_fma_f64 v[120:121], -v[120:121], v[132:133], v[100:101]
	v_fma_f64 v[118:119], v[118:119], v[132:133], v[98:99]
	v_fma_f64 v[128:129], -v[116:117], v[132:133], v[108:109]
	v_fma_f64 v[130:131], v[114:115], v[132:133], v[110:111]
	s_clause 0x3
	global_load_b128 v[98:101], v[146:147], off offset:112
	global_load_b128 v[102:105], v[146:147], off offset:96
	global_load_b128 v[106:109], v[146:147], off offset:80
	global_load_b128 v[110:113], v[146:147], off offset:64
	global_load_b128 v[114:117], v[134:135], off offset:16
	s_waitcnt vmcnt(20)
	v_fma_f64 v[38:39], v[25:26], v[29:30], v[38:39]
	v_fma_f64 v[122:123], v[27:28], v[29:30], v[122:123]
	v_fma_f64 v[124:125], v[21:22], v[29:30], v[124:125]
	v_fma_f64 v[126:127], v[23:24], v[29:30], v[126:127]
	v_fma_f64 v[120:121], v[12:13], v[29:30], v[120:121]
	v_fma_f64 v[118:119], v[14:15], v[29:30], v[118:119]
	v_fma_f64 v[128:129], v[8:9], v[29:30], v[128:129]
	v_fma_f64 v[29:30], v[10:11], v[29:30], v[130:131]
	v_fma_f64 v[38:39], -v[27:28], v[31:32], v[38:39]
	v_fma_f64 v[122:123], v[25:26], v[31:32], v[122:123]
	v_fma_f64 v[124:125], -v[23:24], v[31:32], v[124:125]
	v_fma_f64 v[126:127], v[21:22], v[31:32], v[126:127]
	v_fma_f64 v[120:121], -v[14:15], v[31:32], v[120:121]
	v_fma_f64 v[118:119], v[12:13], v[31:32], v[118:119]
	v_fma_f64 v[128:129], -v[10:11], v[31:32], v[128:129]
	v_fma_f64 v[130:131], v[8:9], v[31:32], v[29:30]
	s_clause 0x3
	global_load_b128 v[8:11], v[146:147], off offset:176
	global_load_b128 v[12:15], v[146:147], off offset:160
	global_load_b128 v[21:24], v[146:147], off offset:144
	global_load_b128 v[25:28], v[146:147], off offset:128
	global_load_b128 v[29:32], v[134:135], off offset:32
	;; [unrolled: 23-line block ×3, first 2 shown]
	v_add_co_u32 v146, vcc_lo, 0xc000, v6
	v_add_co_ci_u32_e32 v147, vcc_lo, 0, v7, vcc_lo
	v_add_co_u32 v6, s0, 0x10000, v6
	s_delay_alu instid0(VALU_DEP_1)
	v_add_co_ci_u32_e64 v7, s0, 0, v7, s0
	s_waitcnt vmcnt(20)
	v_fma_f64 v[38:39], v[70:71], v[74:75], v[38:39]
	v_fma_f64 v[134:135], v[72:73], v[74:75], v[122:123]
	v_fma_f64 v[136:137], v[66:67], v[74:75], v[124:125]
	v_fma_f64 v[138:139], v[68:69], v[74:75], v[126:127]
	v_fma_f64 v[140:141], v[62:63], v[74:75], v[120:121]
	v_fma_f64 v[142:143], v[64:65], v[74:75], v[118:119]
	v_fma_f64 v[144:145], v[58:59], v[74:75], v[128:129]
	v_fma_f64 v[74:75], v[60:61], v[74:75], v[130:131]
	s_clause 0x3
	global_load_b128 v[118:121], v[146:147], off offset:48
	global_load_b128 v[122:125], v[146:147], off offset:32
	global_load_b128 v[126:129], v[146:147], off
	global_load_b128 v[130:133], v[146:147], off offset:16
	v_fma_f64 v[38:39], -v[72:73], v[76:77], v[38:39]
	v_fma_f64 v[70:71], v[70:71], v[76:77], v[134:135]
	v_fma_f64 v[68:69], -v[68:69], v[76:77], v[136:137]
	v_fma_f64 v[66:67], v[66:67], v[76:77], v[138:139]
	;; [unrolled: 2-line block ×4, first 2 shown]
	v_lshlrev_b64 v[58:59], 4, v[148:149]
	s_delay_alu instid0(VALU_DEP_1) | instskip(NEXT) | instid1(VALU_DEP_2)
	v_add_co_u32 v138, vcc_lo, s4, v58
	v_add_co_ci_u32_e32 v139, vcc_lo, s5, v59, vcc_lo
	s_clause 0x1
	global_load_b128 v[58:61], v[138:139], off
	global_load_b128 v[62:65], v[138:139], off offset:16
	v_cmp_ge_i32_e32 vcc_lo, v4, v33
	s_or_b32 s7, vcc_lo, s7
	s_waitcnt vmcnt(21)
	v_fma_f64 v[38:39], v[86:87], v[94:95], v[38:39]
	v_fma_f64 v[70:71], v[88:89], v[94:95], v[70:71]
	;; [unrolled: 1-line block ×8, first 2 shown]
	v_fma_f64 v[38:39], -v[88:89], v[96:97], v[38:39]
	v_fma_f64 v[86:87], v[86:87], v[96:97], v[70:71]
	v_fma_f64 v[88:89], -v[92:93], v[96:97], v[68:69]
	v_fma_f64 v[90:91], v[90:91], v[96:97], v[66:67]
	;; [unrolled: 2-line block ×4, first 2 shown]
	s_clause 0x3
	global_load_b128 v[66:69], v[146:147], off offset:64
	global_load_b128 v[70:73], v[146:147], off offset:80
	;; [unrolled: 1-line block ×4, first 2 shown]
	s_waitcnt vmcnt(20)
	v_fma_f64 v[38:39], v[110:111], v[114:115], v[38:39]
	v_fma_f64 v[86:87], v[112:113], v[114:115], v[86:87]
	;; [unrolled: 1-line block ×8, first 2 shown]
	v_fma_f64 v[38:39], -v[112:113], v[116:117], v[38:39]
	v_fma_f64 v[110:111], v[110:111], v[116:117], v[86:87]
	v_fma_f64 v[108:109], -v[108:109], v[116:117], v[88:89]
	v_fma_f64 v[106:107], v[106:107], v[116:117], v[90:91]
	;; [unrolled: 2-line block ×4, first 2 shown]
	s_clause 0x3
	global_load_b128 v[82:85], v[146:147], off offset:176
	global_load_b128 v[86:89], v[146:147], off offset:160
	;; [unrolled: 1-line block ×4, first 2 shown]
	s_clause 0x1
	global_load_b128 v[98:101], v[138:139], off offset:32
	global_load_b128 v[102:105], v[138:139], off offset:48
	s_waitcnt vmcnt(21)
	v_fma_f64 v[38:39], v[25:26], v[29:30], v[38:39]
	v_fma_f64 v[110:111], v[27:28], v[29:30], v[110:111]
	;; [unrolled: 1-line block ×8, first 2 shown]
	v_fma_f64 v[27:28], -v[27:28], v[31:32], v[38:39]
	v_fma_f64 v[38:39], v[25:26], v[31:32], v[110:111]
	v_fma_f64 v[110:111], -v[23:24], v[31:32], v[108:109]
	v_fma_f64 v[21:22], v[21:22], v[31:32], v[106:107]
	;; [unrolled: 2-line block ×4, first 2 shown]
	s_clause 0x3
	global_load_b128 v[8:11], v[146:147], off offset:192
	global_load_b128 v[23:26], v[146:147], off offset:208
	;; [unrolled: 1-line block ×4, first 2 shown]
	s_waitcnt vmcnt(20)
	v_fma_f64 v[27:28], v[50:51], v[54:55], v[27:28]
	v_fma_f64 v[38:39], v[52:53], v[54:55], v[38:39]
	;; [unrolled: 1-line block ×8, first 2 shown]
	v_fma_f64 v[27:28], -v[52:53], v[56:57], v[27:28]
	v_fma_f64 v[38:39], v[50:51], v[56:57], v[38:39]
	v_fma_f64 v[48:49], -v[48:49], v[56:57], v[110:111]
	v_fma_f64 v[21:22], v[46:47], v[56:57], v[21:22]
	;; [unrolled: 2-line block ×4, first 2 shown]
	s_waitcnt vmcnt(15)
	v_fma_f64 v[27:28], v[126:127], v[58:59], v[27:28]
	v_fma_f64 v[38:39], v[128:129], v[58:59], v[38:39]
	;; [unrolled: 1-line block ×8, first 2 shown]
	v_fma_f64 v[27:28], -v[128:129], v[60:61], v[27:28]
	v_fma_f64 v[38:39], v[126:127], v[60:61], v[38:39]
	v_fma_f64 v[42:43], -v[132:133], v[60:61], v[42:43]
	v_fma_f64 v[21:22], v[130:131], v[60:61], v[21:22]
	;; [unrolled: 2-line block ×4, first 2 shown]
	s_waitcnt vmcnt(13)
	v_fma_f64 v[27:28], v[66:67], v[62:63], v[27:28]
	v_fma_f64 v[38:39], v[68:69], v[62:63], v[38:39]
	s_waitcnt vmcnt(12)
	v_fma_f64 v[42:43], v[70:71], v[62:63], v[42:43]
	v_fma_f64 v[21:22], v[72:73], v[62:63], v[21:22]
	;; [unrolled: 3-line block ×4, first 2 shown]
	v_fma_f64 v[27:28], -v[68:69], v[64:65], v[27:28]
	v_fma_f64 v[38:39], v[66:67], v[64:65], v[38:39]
	v_fma_f64 v[42:43], -v[72:73], v[64:65], v[42:43]
	v_fma_f64 v[21:22], v[70:71], v[64:65], v[21:22]
	;; [unrolled: 2-line block ×4, first 2 shown]
	s_waitcnt vmcnt(5)
	v_fma_f64 v[27:28], v[94:95], v[98:99], v[27:28]
	v_fma_f64 v[38:39], v[96:97], v[98:99], v[38:39]
	;; [unrolled: 1-line block ×8, first 2 shown]
	v_fma_f64 v[27:28], -v[96:97], v[100:101], v[27:28]
	v_fma_f64 v[38:39], v[94:95], v[100:101], v[38:39]
	v_fma_f64 v[42:43], -v[92:93], v[100:101], v[42:43]
	v_fma_f64 v[21:22], v[90:91], v[100:101], v[21:22]
	;; [unrolled: 2-line block ×4, first 2 shown]
	s_waitcnt vmcnt(3)
	v_fma_f64 v[27:28], v[8:9], v[102:103], v[27:28]
	v_fma_f64 v[38:39], v[10:11], v[102:103], v[38:39]
	s_waitcnt vmcnt(2)
	v_fma_f64 v[42:43], v[23:24], v[102:103], v[42:43]
	v_fma_f64 v[44:45], v[25:26], v[102:103], v[21:22]
	;; [unrolled: 3-line block ×4, first 2 shown]
	v_fma_f64 v[21:22], -v[10:11], v[104:105], v[27:28]
	v_fma_f64 v[12:13], v[8:9], v[104:105], v[38:39]
	v_fma_f64 v[27:28], -v[25:26], v[104:105], v[42:43]
	v_fma_f64 v[14:15], v[23:24], v[104:105], v[44:45]
	;; [unrolled: 2-line block ×4, first 2 shown]
	s_and_not1_b32 exec_lo, exec_lo, s7
	s_cbranch_execnz .LBB19_35
; %bb.36:
	s_or_b32 exec_lo, exec_lo, s7
.LBB19_37:
	s_delay_alu instid0(SALU_CYCLE_1)
	s_or_b32 exec_lo, exec_lo, s6
.LBB19_38:
	s_delay_alu instid0(SALU_CYCLE_1)
	s_or_b32 exec_lo, exec_lo, s1
.LBB19_39:
	v_mbcnt_lo_u32_b32 v44, -1, 0
	s_delay_alu instid0(VALU_DEP_1) | instskip(NEXT) | instid1(VALU_DEP_1)
	v_or_b32_e32 v4, 32, v44
	v_cmp_gt_i32_e32 vcc_lo, 32, v4
	v_cndmask_b32_e32 v4, v44, v4, vcc_lo
	s_delay_alu instid0(VALU_DEP_1)
	v_lshlrev_b32_e32 v40, 2, v4
	ds_bpermute_b32 v4, v40, v21
	ds_bpermute_b32 v5, v40, v22
	;; [unrolled: 1-line block ×6, first 2 shown]
	s_waitcnt lgkmcnt(0)
	v_add_f64 v[4:5], v[21:22], v[4:5]
	v_add_f64 v[21:22], v[23:24], v[33:34]
	;; [unrolled: 1-line block ×3, first 2 shown]
	v_xor_b32_e32 v25, 16, v44
	s_delay_alu instid0(VALU_DEP_1)
	v_cmp_gt_i32_e32 vcc_lo, 32, v25
	v_cndmask_b32_e32 v25, v44, v25, vcc_lo
	ds_bpermute_b32 v6, v40, v12
	ds_bpermute_b32 v7, v40, v13
	ds_bpermute_b32 v29, v40, v27
	ds_bpermute_b32 v30, v40, v28
	ds_bpermute_b32 v31, v40, v14
	ds_bpermute_b32 v32, v40, v15
	ds_bpermute_b32 v37, v40, v10
	ds_bpermute_b32 v38, v40, v11
	ds_bpermute_b32 v39, v40, v8
	ds_bpermute_b32 v40, v40, v9
	s_waitcnt lgkmcnt(8)
	v_add_f64 v[6:7], v[12:13], v[6:7]
	s_waitcnt lgkmcnt(6)
	v_add_f64 v[12:13], v[27:28], v[29:30]
	;; [unrolled: 2-line block ×5, first 2 shown]
	v_lshlrev_b32_e32 v40, 2, v25
	ds_bpermute_b32 v25, v40, v4
	ds_bpermute_b32 v26, v40, v5
	;; [unrolled: 1-line block ×6, first 2 shown]
	s_waitcnt lgkmcnt(4)
	v_add_f64 v[4:5], v[4:5], v[25:26]
	v_xor_b32_e32 v25, 8, v44
	s_waitcnt lgkmcnt(2)
	v_add_f64 v[21:22], v[21:22], v[33:34]
	ds_bpermute_b32 v27, v40, v6
	ds_bpermute_b32 v28, v40, v7
	;; [unrolled: 1-line block ×10, first 2 shown]
	s_waitcnt lgkmcnt(10)
	v_add_f64 v[23:24], v[23:24], v[35:36]
	v_cmp_gt_i32_e32 vcc_lo, 32, v25
	v_cndmask_b32_e32 v25, v44, v25, vcc_lo
	s_waitcnt lgkmcnt(8)
	v_add_f64 v[6:7], v[6:7], v[27:28]
	s_waitcnt lgkmcnt(6)
	v_add_f64 v[12:13], v[12:13], v[29:30]
	;; [unrolled: 2-line block ×5, first 2 shown]
	v_lshlrev_b32_e32 v40, 2, v25
	ds_bpermute_b32 v25, v40, v4
	ds_bpermute_b32 v26, v40, v5
	;; [unrolled: 1-line block ×6, first 2 shown]
	s_waitcnt lgkmcnt(4)
	v_add_f64 v[4:5], v[4:5], v[25:26]
	v_xor_b32_e32 v25, 4, v44
	s_waitcnt lgkmcnt(2)
	v_add_f64 v[21:22], v[21:22], v[33:34]
	ds_bpermute_b32 v27, v40, v6
	ds_bpermute_b32 v28, v40, v7
	;; [unrolled: 1-line block ×10, first 2 shown]
	s_waitcnt lgkmcnt(10)
	v_add_f64 v[23:24], v[23:24], v[35:36]
	v_cmp_gt_i32_e32 vcc_lo, 32, v25
	v_cndmask_b32_e32 v25, v44, v25, vcc_lo
	s_waitcnt lgkmcnt(8)
	v_add_f64 v[6:7], v[6:7], v[27:28]
	s_waitcnt lgkmcnt(6)
	v_add_f64 v[12:13], v[12:13], v[29:30]
	;; [unrolled: 2-line block ×5, first 2 shown]
	v_lshlrev_b32_e32 v40, 2, v25
	ds_bpermute_b32 v25, v40, v4
	ds_bpermute_b32 v26, v40, v5
	;; [unrolled: 1-line block ×6, first 2 shown]
	s_waitcnt lgkmcnt(4)
	v_add_f64 v[4:5], v[4:5], v[25:26]
	s_waitcnt lgkmcnt(2)
	v_add_f64 v[21:22], v[21:22], v[33:34]
	ds_bpermute_b32 v27, v40, v6
	ds_bpermute_b32 v28, v40, v7
	;; [unrolled: 1-line block ×10, first 2 shown]
	s_waitcnt lgkmcnt(10)
	v_add_f64 v[25:26], v[23:24], v[35:36]
	s_waitcnt lgkmcnt(8)
	v_add_f64 v[6:7], v[6:7], v[27:28]
	;; [unrolled: 2-line block ×6, first 2 shown]
	v_xor_b32_e32 v8, 2, v44
	s_delay_alu instid0(VALU_DEP_1) | instskip(SKIP_1) | instid1(VALU_DEP_1)
	v_cmp_gt_i32_e32 vcc_lo, 32, v8
	v_cndmask_b32_e32 v8, v44, v8, vcc_lo
	v_lshlrev_b32_e32 v27, 2, v8
	ds_bpermute_b32 v8, v27, v4
	ds_bpermute_b32 v9, v27, v5
	;; [unrolled: 1-line block ×16, first 2 shown]
	s_waitcnt lgkmcnt(14)
	v_add_f64 v[4:5], v[4:5], v[8:9]
	s_waitcnt lgkmcnt(12)
	v_add_f64 v[8:9], v[21:22], v[35:36]
	v_xor_b32_e32 v21, 1, v44
	s_delay_alu instid0(VALU_DEP_1)
	v_cmp_gt_i32_e32 vcc_lo, 32, v21
	s_waitcnt lgkmcnt(8)
	v_add_f64 v[27:28], v[6:7], v[23:24]
	s_waitcnt lgkmcnt(6)
	v_add_f64 v[6:7], v[12:13], v[31:32]
	;; [unrolled: 2-line block ×3, first 2 shown]
	v_add_f64 v[14:15], v[25:26], v[37:38]
	s_waitcnt lgkmcnt(2)
	v_add_f64 v[10:11], v[10:11], v[39:40]
	v_cndmask_b32_e32 v21, v44, v21, vcc_lo
	s_waitcnt lgkmcnt(0)
	v_add_f64 v[12:13], v[29:30], v[42:43]
	v_cmp_eq_u32_e32 vcc_lo, 63, v41
	s_delay_alu instid0(VALU_DEP_3)
	v_lshlrev_b32_e32 v34, 2, v21
	ds_bpermute_b32 v21, v34, v4
	ds_bpermute_b32 v22, v34, v5
	;; [unrolled: 1-line block ×16, first 2 shown]
	s_and_b32 exec_lo, exec_lo, vcc_lo
	s_cbranch_execz .LBB19_12
; %bb.40:
	s_waitcnt lgkmcnt(10)
	v_add_f64 v[27:28], v[27:28], v[39:40]
	s_waitcnt lgkmcnt(6)
	v_add_f64 v[23:24], v[23:24], v[37:38]
	;; [unrolled: 2-line block ×4, first 2 shown]
	v_add_f64 v[4:5], v[4:5], v[21:22]
	v_add_f64 v[6:7], v[6:7], v[25:26]
	v_add_f64 v[21:22], v[8:9], v[29:30]
	v_add_f64 v[25:26], v[10:11], v[31:32]
	v_cmp_eq_f64_e32 vcc_lo, 0, v[16:17]
	v_cmp_eq_f64_e64 s0, 0, v[18:19]
	s_load_b64 s[2:3], s[2:3], 0x60
	v_lshlrev_b32_e32 v20, 2, v20
	v_mul_f64 v[8:9], v[27:28], -v[2:3]
	v_mul_f64 v[10:11], v[0:1], v[27:28]
	v_mul_f64 v[27:28], v[23:24], -v[2:3]
	v_mul_f64 v[23:24], v[0:1], v[23:24]
	;; [unrolled: 2-line block ×4, first 2 shown]
	s_and_b32 s0, vcc_lo, s0
	v_fma_f64 v[12:13], v[0:1], v[4:5], v[8:9]
	v_fma_f64 v[14:15], v[2:3], v[4:5], v[10:11]
	;; [unrolled: 1-line block ×8, first 2 shown]
	s_and_saveexec_b32 s1, s0
	s_delay_alu instid0(SALU_CYCLE_1)
	s_xor_b32 s0, exec_lo, s1
	s_cbranch_execz .LBB19_42
; %bb.41:
	v_ashrrev_i32_e32 v21, 31, v20
                                        ; implicit-def: $vgpr18_vgpr19
	s_delay_alu instid0(VALU_DEP_1) | instskip(SKIP_1) | instid1(VALU_DEP_1)
	v_lshlrev_b64 v[16:17], 4, v[20:21]
                                        ; implicit-def: $vgpr20
	s_waitcnt lgkmcnt(0)
	v_add_co_u32 v16, vcc_lo, s2, v16
	s_delay_alu instid0(VALU_DEP_2)
	v_add_co_ci_u32_e32 v17, vcc_lo, s3, v17, vcc_lo
	s_clause 0x3
	global_store_b128 v[16:17], v[12:15], off
	global_store_b128 v[16:17], v[8:11], off offset:16
	global_store_b128 v[16:17], v[4:7], off offset:32
	;; [unrolled: 1-line block ×3, first 2 shown]
                                        ; implicit-def: $vgpr16_vgpr17
                                        ; implicit-def: $vgpr12_vgpr13
                                        ; implicit-def: $vgpr8_vgpr9
                                        ; implicit-def: $vgpr4_vgpr5
                                        ; implicit-def: $vgpr0_vgpr1
.LBB19_42:
	s_and_not1_saveexec_b32 s0, s0
	s_cbranch_execz .LBB19_12
; %bb.43:
	v_ashrrev_i32_e32 v21, 31, v20
	s_delay_alu instid0(VALU_DEP_1) | instskip(SKIP_1) | instid1(VALU_DEP_1)
	v_lshlrev_b64 v[20:21], 4, v[20:21]
	s_waitcnt lgkmcnt(0)
	v_add_co_u32 v36, vcc_lo, s2, v20
	s_delay_alu instid0(VALU_DEP_2)
	v_add_co_ci_u32_e32 v37, vcc_lo, s3, v21, vcc_lo
	s_clause 0x3
	global_load_b128 v[20:23], v[36:37], off
	global_load_b128 v[24:27], v[36:37], off offset:16
	global_load_b128 v[28:31], v[36:37], off offset:32
	;; [unrolled: 1-line block ×3, first 2 shown]
	s_waitcnt vmcnt(3)
	v_fma_f64 v[12:13], v[16:17], v[20:21], v[12:13]
	v_fma_f64 v[14:15], v[18:19], v[20:21], v[14:15]
	s_waitcnt vmcnt(2)
	v_fma_f64 v[8:9], v[16:17], v[24:25], v[8:9]
	v_fma_f64 v[10:11], v[18:19], v[24:25], v[10:11]
	;; [unrolled: 3-line block ×4, first 2 shown]
	v_fma_f64 v[0:1], -v[18:19], v[22:23], v[12:13]
	v_fma_f64 v[2:3], v[16:17], v[22:23], v[14:15]
	v_fma_f64 v[4:5], -v[18:19], v[26:27], v[8:9]
	v_fma_f64 v[6:7], v[16:17], v[26:27], v[10:11]
	;; [unrolled: 2-line block ×4, first 2 shown]
	s_clause 0x3
	global_store_b128 v[36:37], v[0:3], off
	global_store_b128 v[36:37], v[4:7], off offset:16
	global_store_b128 v[36:37], v[8:11], off offset:32
	;; [unrolled: 1-line block ×3, first 2 shown]
	s_nop 0
	s_sendmsg sendmsg(MSG_DEALLOC_VGPRS)
	s_endpgm
	.section	.rodata,"a",@progbits
	.p2align	6, 0x0
	.amdhsa_kernel _ZN9rocsparseL18bsrxmvn_4x4_kernelILj128ELj64E21rocsparse_complex_numIdEiiS2_S2_S2_EEvT3_20rocsparse_direction_NS_24const_host_device_scalarIT1_EES3_PKS3_PKT2_SC_S9_PKT4_PKT5_S7_PT6_21rocsparse_index_base_b
		.amdhsa_group_segment_fixed_size 2048
		.amdhsa_private_segment_fixed_size 0
		.amdhsa_kernarg_size 112
		.amdhsa_user_sgpr_count 15
		.amdhsa_user_sgpr_dispatch_ptr 1
		.amdhsa_user_sgpr_queue_ptr 0
		.amdhsa_user_sgpr_kernarg_segment_ptr 1
		.amdhsa_user_sgpr_dispatch_id 0
		.amdhsa_user_sgpr_private_segment_size 0
		.amdhsa_wavefront_size32 1
		.amdhsa_uses_dynamic_stack 0
		.amdhsa_enable_private_segment 0
		.amdhsa_system_sgpr_workgroup_id_x 1
		.amdhsa_system_sgpr_workgroup_id_y 0
		.amdhsa_system_sgpr_workgroup_id_z 0
		.amdhsa_system_sgpr_workgroup_info 0
		.amdhsa_system_vgpr_workitem_id 2
		.amdhsa_next_free_vgpr 155
		.amdhsa_next_free_sgpr 18
		.amdhsa_reserve_vcc 1
		.amdhsa_float_round_mode_32 0
		.amdhsa_float_round_mode_16_64 0
		.amdhsa_float_denorm_mode_32 3
		.amdhsa_float_denorm_mode_16_64 3
		.amdhsa_dx10_clamp 1
		.amdhsa_ieee_mode 1
		.amdhsa_fp16_overflow 0
		.amdhsa_workgroup_processor_mode 1
		.amdhsa_memory_ordered 1
		.amdhsa_forward_progress 0
		.amdhsa_shared_vgpr_count 0
		.amdhsa_exception_fp_ieee_invalid_op 0
		.amdhsa_exception_fp_denorm_src 0
		.amdhsa_exception_fp_ieee_div_zero 0
		.amdhsa_exception_fp_ieee_overflow 0
		.amdhsa_exception_fp_ieee_underflow 0
		.amdhsa_exception_fp_ieee_inexact 0
		.amdhsa_exception_int_div_zero 0
	.end_amdhsa_kernel
	.section	.text._ZN9rocsparseL18bsrxmvn_4x4_kernelILj128ELj64E21rocsparse_complex_numIdEiiS2_S2_S2_EEvT3_20rocsparse_direction_NS_24const_host_device_scalarIT1_EES3_PKS3_PKT2_SC_S9_PKT4_PKT5_S7_PT6_21rocsparse_index_base_b,"axG",@progbits,_ZN9rocsparseL18bsrxmvn_4x4_kernelILj128ELj64E21rocsparse_complex_numIdEiiS2_S2_S2_EEvT3_20rocsparse_direction_NS_24const_host_device_scalarIT1_EES3_PKS3_PKT2_SC_S9_PKT4_PKT5_S7_PT6_21rocsparse_index_base_b,comdat
.Lfunc_end19:
	.size	_ZN9rocsparseL18bsrxmvn_4x4_kernelILj128ELj64E21rocsparse_complex_numIdEiiS2_S2_S2_EEvT3_20rocsparse_direction_NS_24const_host_device_scalarIT1_EES3_PKS3_PKT2_SC_S9_PKT4_PKT5_S7_PT6_21rocsparse_index_base_b, .Lfunc_end19-_ZN9rocsparseL18bsrxmvn_4x4_kernelILj128ELj64E21rocsparse_complex_numIdEiiS2_S2_S2_EEvT3_20rocsparse_direction_NS_24const_host_device_scalarIT1_EES3_PKS3_PKT2_SC_S9_PKT4_PKT5_S7_PT6_21rocsparse_index_base_b
                                        ; -- End function
	.section	.AMDGPU.csdata,"",@progbits
; Kernel info:
; codeLenInByte = 11496
; NumSgprs: 20
; NumVgprs: 155
; ScratchSize: 0
; MemoryBound: 1
; FloatMode: 240
; IeeeMode: 1
; LDSByteSize: 2048 bytes/workgroup (compile time only)
; SGPRBlocks: 2
; VGPRBlocks: 19
; NumSGPRsForWavesPerEU: 20
; NumVGPRsForWavesPerEU: 155
; Occupancy: 9
; WaveLimiterHint : 1
; COMPUTE_PGM_RSRC2:SCRATCH_EN: 0
; COMPUTE_PGM_RSRC2:USER_SGPR: 15
; COMPUTE_PGM_RSRC2:TRAP_HANDLER: 0
; COMPUTE_PGM_RSRC2:TGID_X_EN: 1
; COMPUTE_PGM_RSRC2:TGID_Y_EN: 0
; COMPUTE_PGM_RSRC2:TGID_Z_EN: 0
; COMPUTE_PGM_RSRC2:TIDIG_COMP_CNT: 2
	.section	.text._ZN9rocsparseL18bsrxmvn_4x4_kernelILj128ELj4EflifffEEvT3_20rocsparse_direction_NS_24const_host_device_scalarIT1_EES1_PKS1_PKT2_SA_S7_PKT4_PKT5_S5_PT6_21rocsparse_index_base_b,"axG",@progbits,_ZN9rocsparseL18bsrxmvn_4x4_kernelILj128ELj4EflifffEEvT3_20rocsparse_direction_NS_24const_host_device_scalarIT1_EES1_PKS1_PKT2_SA_S7_PKT4_PKT5_S5_PT6_21rocsparse_index_base_b,comdat
	.globl	_ZN9rocsparseL18bsrxmvn_4x4_kernelILj128ELj4EflifffEEvT3_20rocsparse_direction_NS_24const_host_device_scalarIT1_EES1_PKS1_PKT2_SA_S7_PKT4_PKT5_S5_PT6_21rocsparse_index_base_b ; -- Begin function _ZN9rocsparseL18bsrxmvn_4x4_kernelILj128ELj4EflifffEEvT3_20rocsparse_direction_NS_24const_host_device_scalarIT1_EES1_PKS1_PKT2_SA_S7_PKT4_PKT5_S5_PT6_21rocsparse_index_base_b
	.p2align	8
	.type	_ZN9rocsparseL18bsrxmvn_4x4_kernelILj128ELj4EflifffEEvT3_20rocsparse_direction_NS_24const_host_device_scalarIT1_EES1_PKS1_PKT2_SA_S7_PKT4_PKT5_S5_PT6_21rocsparse_index_base_b,@function
_ZN9rocsparseL18bsrxmvn_4x4_kernelILj128ELj4EflifffEEvT3_20rocsparse_direction_NS_24const_host_device_scalarIT1_EES1_PKS1_PKT2_SA_S7_PKT4_PKT5_S5_PT6_21rocsparse_index_base_b: ; @_ZN9rocsparseL18bsrxmvn_4x4_kernelILj128ELj4EflifffEEvT3_20rocsparse_direction_NS_24const_host_device_scalarIT1_EES1_PKS1_PKT2_SA_S7_PKT4_PKT5_S5_PT6_21rocsparse_index_base_b
; %bb.0:
	s_clause 0x2
	s_load_b64 s[18:19], s[0:1], 0x58
	s_load_b64 s[16:17], s[0:1], 0x8
	;; [unrolled: 1-line block ×3, first 2 shown]
	s_waitcnt lgkmcnt(0)
	s_bitcmp1_b32 s19, 0
	s_cselect_b32 s2, -1, 0
	s_delay_alu instid0(SALU_CYCLE_1)
	s_and_b32 vcc_lo, exec_lo, s2
	s_xor_b32 s2, s2, -1
	s_cbranch_vccnz .LBB20_2
; %bb.1:
	s_load_b32 s16, s[16:17], 0x0
.LBB20_2:
	s_and_not1_b32 vcc_lo, exec_lo, s2
	s_cbranch_vccnz .LBB20_4
; %bb.3:
	s_load_b32 s12, s[12:13], 0x0
.LBB20_4:
	s_waitcnt lgkmcnt(0)
	v_cmp_neq_f32_e64 s2, s16, 0
	v_cmp_neq_f32_e64 s3, s12, 1.0
	s_mov_b32 s6, 0
	s_delay_alu instid0(VALU_DEP_1) | instskip(NEXT) | instid1(SALU_CYCLE_1)
	s_or_b32 s2, s2, s3
	s_and_not1_b32 vcc_lo, exec_lo, s2
	s_cbranch_vccnz .LBB20_10
; %bb.5:
	s_clause 0x1
	s_load_b64 s[4:5], s[0:1], 0x18
	s_load_b64 s[2:3], s[0:1], 0x0
	v_lshrrev_b32_e32 v1, 2, v0
	s_delay_alu instid0(VALU_DEP_1)
	v_lshl_or_b32 v4, s15, 5, v1
	s_waitcnt lgkmcnt(0)
	s_cmp_lg_u64 s[4:5], 0
	s_cbranch_scc0 .LBB20_11
; %bb.6:
	s_load_b32 s6, s[0:1], 0x10
	s_mov_b32 s7, 0
                                        ; implicit-def: $vgpr1
	s_waitcnt lgkmcnt(0)
	v_cmp_gt_i32_e32 vcc_lo, s6, v4
	s_mov_b32 s6, 0
	s_and_saveexec_b32 s8, vcc_lo
	s_delay_alu instid0(SALU_CYCLE_1)
	s_xor_b32 s8, exec_lo, s8
	s_cbranch_execz .LBB20_8
; %bb.7:
	v_ashrrev_i32_e32 v5, 31, v4
	s_mov_b32 s6, exec_lo
	s_delay_alu instid0(VALU_DEP_1) | instskip(NEXT) | instid1(VALU_DEP_1)
	v_lshlrev_b64 v[1:2], 2, v[4:5]
	v_add_co_u32 v1, vcc_lo, s4, v1
	s_delay_alu instid0(VALU_DEP_2)
	v_add_co_ci_u32_e32 v2, vcc_lo, s5, v2, vcc_lo
	global_load_b32 v1, v[1:2], off
	s_waitcnt vmcnt(0)
	v_subrev_nc_u32_e32 v1, s18, v1
.LBB20_8:
	s_or_b32 exec_lo, exec_lo, s8
	s_delay_alu instid0(SALU_CYCLE_1)
	s_and_b32 vcc_lo, exec_lo, s7
	s_cbranch_vccz .LBB20_12
.LBB20_9:
	v_cmp_gt_i32_e32 vcc_lo, s2, v4
	s_and_not1_b32 s2, s6, exec_lo
	s_and_b32 s4, vcc_lo, exec_lo
	s_delay_alu instid0(SALU_CYCLE_1) | instskip(NEXT) | instid1(SALU_CYCLE_1)
	s_or_b32 s6, s2, s4
	s_and_saveexec_b32 s2, s6
	s_cbranch_execnz .LBB20_13
.LBB20_10:
	s_nop 0
	s_sendmsg sendmsg(MSG_DEALLOC_VGPRS)
	s_endpgm
.LBB20_11:
                                        ; implicit-def: $vgpr1
	s_cbranch_execnz .LBB20_9
.LBB20_12:
	s_delay_alu instid0(VALU_DEP_1)
	v_mov_b32_e32 v4, v1
	s_and_saveexec_b32 s2, s6
	s_cbranch_execz .LBB20_10
.LBB20_13:
	s_load_b256 s[4:11], s[0:1], 0x20
	s_delay_alu instid0(VALU_DEP_1) | instskip(SKIP_1) | instid1(VALU_DEP_2)
	v_ashrrev_i32_e32 v5, 31, v4
	v_dual_mov_b32 v20, 0 :: v_dual_and_b32 v19, 3, v0
	v_lshlrev_b64 v[1:2], 3, v[4:5]
	s_waitcnt lgkmcnt(0)
	s_delay_alu instid0(VALU_DEP_1) | instskip(NEXT) | instid1(VALU_DEP_2)
	v_add_co_u32 v5, vcc_lo, s4, v1
	v_add_co_ci_u32_e32 v6, vcc_lo, s5, v2, vcc_lo
	v_add_co_u32 v1, vcc_lo, s6, v1
	v_add_co_ci_u32_e32 v2, vcc_lo, s7, v2, vcc_lo
	s_delay_alu instid0(VALU_DEP_4)
	v_add_co_u32 v3, vcc_lo, v5, 8
	global_load_b64 v[7:8], v[5:6], off
	v_add_co_ci_u32_e32 v9, vcc_lo, 0, v6, vcc_lo
	s_cmp_eq_u64 s[6:7], 0
	s_load_b64 s[4:5], s[0:1], 0x40
	s_cselect_b32 vcc_lo, -1, 0
	s_cmp_eq_u32 s3, 1
	v_dual_cndmask_b32 v2, v2, v9 :: v_dual_cndmask_b32 v1, v1, v3
	s_mov_b32 s3, 0
	global_load_b64 v[2:3], v[1:2], off
	s_waitcnt vmcnt(1)
	v_sub_co_u32 v0, vcc_lo, v7, s18
	v_subrev_co_ci_u32_e32 v1, vcc_lo, 0, v8, vcc_lo
	s_delay_alu instid0(VALU_DEP_2) | instskip(NEXT) | instid1(VALU_DEP_2)
	v_add_co_u32 v0, vcc_lo, v0, v19
	v_add_co_ci_u32_e32 v1, vcc_lo, 0, v1, vcc_lo
	s_delay_alu instid0(VALU_DEP_1) | instskip(SKIP_3) | instid1(VALU_DEP_3)
	v_lshlrev_b64 v[5:6], 6, v[0:1]
	s_waitcnt vmcnt(0)
	v_sub_co_u32 v2, vcc_lo, v2, s18
	v_subrev_co_ci_u32_e32 v3, vcc_lo, 0, v3, vcc_lo
	v_add_co_u32 v5, vcc_lo, s10, v5
	s_delay_alu instid0(VALU_DEP_2)
	v_cmp_lt_i64_e64 s2, v[0:1], v[2:3]
	v_add_co_ci_u32_e32 v6, vcc_lo, s11, v6, vcc_lo
	s_cbranch_scc1 .LBB20_25
; %bb.14:
	v_dual_mov_b32 v22, 0 :: v_dual_mov_b32 v23, 0
	v_mov_b32_e32 v21, 0
	s_delay_alu instid0(VALU_DEP_4)
	s_and_saveexec_b32 s6, s2
	s_cbranch_execz .LBB20_24
; %bb.15:
	v_or_b32_e32 v9, 4, v19
	v_not_b32_e32 v12, v7
	v_not_b32_e32 v11, v8
	v_mov_b32_e32 v23, 0
	v_dual_mov_b32 v21, 0 :: v_dual_mov_b32 v20, 0
	v_sub_co_u32 v9, s7, v9, s18
	s_delay_alu instid0(VALU_DEP_1) | instskip(SKIP_1) | instid1(VALU_DEP_3)
	v_sub_co_ci_u32_e64 v10, null, 0, 0, s7
	v_sub_co_u32 v13, s7, s18, v19
	v_add_co_u32 v9, vcc_lo, v9, v7
	s_delay_alu instid0(VALU_DEP_3) | instskip(SKIP_2) | instid1(VALU_DEP_2)
	v_add_co_ci_u32_e32 v10, vcc_lo, v10, v8, vcc_lo
	v_sub_co_ci_u32_e64 v14, null, 0, 0, s7
	s_mov_b32 s7, exec_lo
	v_cmp_gt_i64_e32 vcc_lo, v[9:10], v[2:3]
	v_mov_b32_e32 v22, 0
	v_dual_cndmask_b32 v10, v3, v10 :: v_dual_cndmask_b32 v9, v2, v9
	v_add_co_u32 v12, vcc_lo, v13, v12
	v_add_co_ci_u32_e32 v11, vcc_lo, v14, v11, vcc_lo
	s_delay_alu instid0(VALU_DEP_2) | instskip(NEXT) | instid1(VALU_DEP_2)
	v_add_co_u32 v13, vcc_lo, v12, v9
	v_add_co_ci_u32_e32 v14, vcc_lo, v11, v10, vcc_lo
	v_mov_b32_e32 v12, v6
	s_delay_alu instid0(VALU_DEP_3) | instskip(SKIP_1) | instid1(VALU_DEP_2)
	v_lshrrev_b32_e32 v9, 2, v13
	v_mov_b32_e32 v11, v5
	v_add_nc_u32_e32 v9, 1, v9
	s_delay_alu instid0(VALU_DEP_1) | instskip(SKIP_1) | instid1(VALU_DEP_2)
	v_dual_mov_b32 v10, v1 :: v_dual_and_b32 v15, 3, v9
	v_mov_b32_e32 v9, v0
	v_cmpx_ne_u32_e32 0, v15
	s_cbranch_execz .LBB20_19
; %bb.16:
	v_lshlrev_b64 v[9:10], 2, v[0:1]
	v_dual_mov_b32 v16, 0 :: v_dual_lshlrev_b32 v15, 4, v15
	v_dual_mov_b32 v12, v6 :: v_dual_mov_b32 v11, v5
	s_mov_b32 s10, 0
	s_delay_alu instid0(VALU_DEP_3) | instskip(NEXT) | instid1(VALU_DEP_4)
	v_add_co_u32 v17, vcc_lo, s8, v9
	v_add_co_ci_u32_e32 v18, vcc_lo, s9, v10, vcc_lo
	v_dual_mov_b32 v10, v1 :: v_dual_mov_b32 v9, v0
	v_mov_b32_e32 v20, v16
	v_mov_b32_e32 v22, v16
	;; [unrolled: 1-line block ×4, first 2 shown]
.LBB20_17:                              ; =>This Inner Loop Header: Depth=1
	global_load_b32 v40, v[17:18], off
	s_clause 0x3
	global_load_b128 v[24:27], v[11:12], off offset:48
	global_load_b128 v[28:31], v[11:12], off offset:32
	global_load_b128 v[32:35], v[11:12], off offset:16
	global_load_b128 v[36:39], v[11:12], off
	s_waitcnt vmcnt(4)
	v_subrev_nc_u32_e32 v40, s18, v40
	s_delay_alu instid0(VALU_DEP_1) | instskip(NEXT) | instid1(VALU_DEP_1)
	v_lshlrev_b32_e32 v40, 2, v40
	v_ashrrev_i32_e32 v41, 31, v40
	s_delay_alu instid0(VALU_DEP_1) | instskip(SKIP_1) | instid1(VALU_DEP_1)
	v_lshlrev_b64 v[40:41], 2, v[40:41]
	s_waitcnt lgkmcnt(0)
	v_add_co_u32 v40, vcc_lo, s4, v40
	s_delay_alu instid0(VALU_DEP_2)
	v_add_co_ci_u32_e32 v41, vcc_lo, s5, v41, vcc_lo
	v_add_co_u32 v11, vcc_lo, 0x100, v11
	v_add_co_ci_u32_e32 v12, vcc_lo, 0, v12, vcc_lo
	global_load_b128 v[40:43], v[40:41], off
	v_add_co_u32 v9, vcc_lo, v9, 4
	v_add_co_ci_u32_e32 v10, vcc_lo, 0, v10, vcc_lo
	v_add_co_u32 v17, vcc_lo, v17, 16
	v_add_co_ci_u32_e32 v18, vcc_lo, 0, v18, vcc_lo
	v_add_co_u32 v15, vcc_lo, v15, -16
	v_add_co_ci_u32_e32 v16, vcc_lo, -1, v16, vcc_lo
	s_delay_alu instid0(VALU_DEP_1) | instskip(SKIP_3) | instid1(VALU_DEP_1)
	v_cmp_eq_u64_e32 vcc_lo, 0, v[15:16]
	s_or_b32 s10, vcc_lo, s10
	s_waitcnt vmcnt(0)
	v_fmac_f32_e32 v20, v24, v40
	v_dual_fmac_f32 v23, v32, v40 :: v_dual_fmac_f32 v20, v25, v41
	s_delay_alu instid0(VALU_DEP_1) | instskip(NEXT) | instid1(VALU_DEP_1)
	v_dual_fmac_f32 v22, v28, v40 :: v_dual_fmac_f32 v23, v33, v41
	v_dual_fmac_f32 v21, v36, v40 :: v_dual_fmac_f32 v22, v29, v41
	s_delay_alu instid0(VALU_DEP_1) | instskip(NEXT) | instid1(VALU_DEP_1)
	v_fmac_f32_e32 v21, v37, v41
	v_fmac_f32_e32 v21, v38, v42
	s_delay_alu instid0(VALU_DEP_1) | instskip(NEXT) | instid1(VALU_DEP_1)
	v_dual_fmac_f32 v22, v30, v42 :: v_dual_fmac_f32 v21, v39, v43
	v_dual_fmac_f32 v23, v34, v42 :: v_dual_fmac_f32 v22, v31, v43
	s_delay_alu instid0(VALU_DEP_1) | instskip(NEXT) | instid1(VALU_DEP_1)
	v_dual_fmac_f32 v20, v26, v42 :: v_dual_fmac_f32 v23, v35, v43
	v_fmac_f32_e32 v20, v27, v43
	s_and_not1_b32 exec_lo, exec_lo, s10
	s_cbranch_execnz .LBB20_17
; %bb.18:
	s_or_b32 exec_lo, exec_lo, s10
.LBB20_19:
	s_delay_alu instid0(SALU_CYCLE_1) | instskip(NEXT) | instid1(SALU_CYCLE_1)
	s_or_b32 exec_lo, exec_lo, s7
	s_mov_b32 s7, exec_lo
	v_cmpx_lt_u64_e32 11, v[13:14]
	s_cbranch_execz .LBB20_23
; %bb.20:
	v_lshlrev_b64 v[13:14], 2, v[9:10]
	s_mov_b32 s10, 0
	s_delay_alu instid0(VALU_DEP_1) | instskip(NEXT) | instid1(VALU_DEP_2)
	v_add_co_u32 v13, vcc_lo, v13, s8
	v_add_co_ci_u32_e32 v14, vcc_lo, s9, v14, vcc_lo
	s_delay_alu instid0(VALU_DEP_2) | instskip(NEXT) | instid1(VALU_DEP_2)
	v_add_co_u32 v13, vcc_lo, v13, 32
	v_add_co_ci_u32_e32 v14, vcc_lo, 0, v14, vcc_lo
.LBB20_21:                              ; =>This Inner Loop Header: Depth=1
	s_clause 0x3
	global_load_b32 v84, v[13:14], off offset:-32
	global_load_b32 v85, v[13:14], off offset:-16
	global_load_b32 v86, v[13:14], off
	global_load_b32 v87, v[13:14], off offset:16
	s_clause 0xf
	global_load_b128 v[15:18], v[11:12], off offset:48
	global_load_b128 v[24:27], v[11:12], off offset:32
	;; [unrolled: 1-line block ×3, first 2 shown]
	global_load_b128 v[32:35], v[11:12], off
	global_load_b128 v[36:39], v[11:12], off offset:304
	global_load_b128 v[40:43], v[11:12], off offset:288
	;; [unrolled: 1-line block ×12, first 2 shown]
	s_waitcnt vmcnt(19)
	v_subrev_nc_u32_e32 v84, s18, v84
	s_waitcnt vmcnt(18)
	v_subrev_nc_u32_e32 v85, s18, v85
	;; [unrolled: 2-line block ×4, first 2 shown]
	v_lshlrev_b32_e32 v84, 2, v84
	v_lshlrev_b32_e32 v88, 2, v85
	;; [unrolled: 1-line block ×3, first 2 shown]
	s_delay_alu instid0(VALU_DEP_4) | instskip(NEXT) | instid1(VALU_DEP_4)
	v_lshlrev_b32_e32 v96, 2, v87
	v_ashrrev_i32_e32 v85, 31, v84
	s_delay_alu instid0(VALU_DEP_4) | instskip(NEXT) | instid1(VALU_DEP_2)
	v_ashrrev_i32_e32 v89, 31, v88
	v_lshlrev_b64 v[84:85], 2, v[84:85]
	s_delay_alu instid0(VALU_DEP_2) | instskip(SKIP_1) | instid1(VALU_DEP_2)
	v_lshlrev_b64 v[88:89], 2, v[88:89]
	s_waitcnt lgkmcnt(0)
	v_add_co_u32 v84, vcc_lo, s4, v84
	s_delay_alu instid0(VALU_DEP_3) | instskip(NEXT) | instid1(VALU_DEP_3)
	v_add_co_ci_u32_e32 v85, vcc_lo, s5, v85, vcc_lo
	v_add_co_u32 v88, vcc_lo, s4, v88
	s_delay_alu instid0(VALU_DEP_4)
	v_add_co_ci_u32_e32 v89, vcc_lo, s5, v89, vcc_lo
	s_clause 0x1
	global_load_b128 v[84:87], v[84:85], off
	global_load_b128 v[88:91], v[88:89], off
	s_waitcnt vmcnt(1)
	v_fmac_f32_e32 v23, v28, v84
	v_ashrrev_i32_e32 v93, 31, v92
	v_fmac_f32_e32 v21, v32, v84
	s_delay_alu instid0(VALU_DEP_3) | instskip(NEXT) | instid1(VALU_DEP_3)
	v_fmac_f32_e32 v23, v29, v85
	v_lshlrev_b64 v[92:93], 2, v[92:93]
	v_ashrrev_i32_e32 v97, 31, v96
	s_delay_alu instid0(VALU_DEP_4) | instskip(NEXT) | instid1(VALU_DEP_4)
	v_dual_fmac_f32 v20, v15, v84 :: v_dual_fmac_f32 v21, v33, v85
	v_dual_fmac_f32 v23, v30, v86 :: v_dual_fmac_f32 v22, v24, v84
	s_delay_alu instid0(VALU_DEP_4) | instskip(NEXT) | instid1(VALU_DEP_3)
	v_add_co_u32 v92, vcc_lo, s4, v92
	v_fmac_f32_e32 v21, v34, v86
	v_add_co_ci_u32_e32 v93, vcc_lo, s5, v93, vcc_lo
	v_lshlrev_b64 v[96:97], 2, v[96:97]
	s_delay_alu instid0(VALU_DEP_3)
	v_dual_fmac_f32 v22, v25, v85 :: v_dual_fmac_f32 v21, v35, v87
	global_load_b128 v[92:95], v[92:93], off
	v_dual_fmac_f32 v20, v16, v85 :: v_dual_fmac_f32 v23, v31, v87
	v_add_co_u32 v96, vcc_lo, s4, v96
	v_add_co_ci_u32_e32 v97, vcc_lo, s5, v97, vcc_lo
	s_waitcnt vmcnt(1)
	v_dual_fmac_f32 v22, v26, v86 :: v_dual_fmac_f32 v21, v48, v88
	v_dual_fmac_f32 v20, v17, v86 :: v_dual_fmac_f32 v23, v44, v88
	global_load_b128 v[96:99], v[96:97], off
	v_dual_fmac_f32 v22, v27, v87 :: v_dual_fmac_f32 v21, v49, v89
	v_dual_fmac_f32 v20, v18, v87 :: v_dual_fmac_f32 v23, v45, v89
	v_add_co_u32 v11, vcc_lo, 0x400, v11
	s_delay_alu instid0(VALU_DEP_3) | instskip(NEXT) | instid1(VALU_DEP_3)
	v_dual_fmac_f32 v22, v40, v88 :: v_dual_fmac_f32 v21, v50, v90
	v_dual_fmac_f32 v20, v36, v88 :: v_dual_fmac_f32 v23, v46, v90
	v_add_co_ci_u32_e32 v12, vcc_lo, 0, v12, vcc_lo
	s_delay_alu instid0(VALU_DEP_3) | instskip(NEXT) | instid1(VALU_DEP_3)
	v_dual_fmac_f32 v22, v41, v89 :: v_dual_fmac_f32 v21, v51, v91
	v_dual_fmac_f32 v20, v37, v89 :: v_dual_fmac_f32 v23, v47, v91
	v_add_co_u32 v9, vcc_lo, v9, 16
	s_delay_alu instid0(VALU_DEP_3) | instskip(NEXT) | instid1(VALU_DEP_3)
	v_fmac_f32_e32 v22, v42, v90
	v_fmac_f32_e32 v20, v38, v90
	v_add_co_ci_u32_e32 v10, vcc_lo, 0, v10, vcc_lo
	v_add_co_u32 v13, vcc_lo, v13, 64
	v_add_co_ci_u32_e32 v14, vcc_lo, 0, v14, vcc_lo
	s_delay_alu instid0(VALU_DEP_3) | instskip(SKIP_4) | instid1(VALU_DEP_2)
	v_cmp_ge_i64_e32 vcc_lo, v[9:10], v[2:3]
	s_or_b32 s10, vcc_lo, s10
	s_waitcnt vmcnt(1)
	v_dual_fmac_f32 v23, v60, v92 :: v_dual_fmac_f32 v20, v39, v91
	v_dual_fmac_f32 v21, v64, v92 :: v_dual_fmac_f32 v22, v43, v91
	;; [unrolled: 1-line block ×3, first 2 shown]
	s_delay_alu instid0(VALU_DEP_2) | instskip(NEXT) | instid1(VALU_DEP_2)
	v_dual_fmac_f32 v21, v65, v93 :: v_dual_fmac_f32 v22, v56, v92
	v_dual_fmac_f32 v23, v62, v94 :: v_dual_fmac_f32 v20, v53, v93
	s_delay_alu instid0(VALU_DEP_2) | instskip(NEXT) | instid1(VALU_DEP_2)
	v_dual_fmac_f32 v21, v66, v94 :: v_dual_fmac_f32 v22, v57, v93
	v_dual_fmac_f32 v23, v63, v95 :: v_dual_fmac_f32 v20, v54, v94
	s_delay_alu instid0(VALU_DEP_2) | instskip(SKIP_1) | instid1(VALU_DEP_2)
	v_dual_fmac_f32 v21, v67, v95 :: v_dual_fmac_f32 v22, v58, v94
	s_waitcnt vmcnt(0)
	v_dual_fmac_f32 v23, v76, v96 :: v_dual_fmac_f32 v20, v55, v95
	s_delay_alu instid0(VALU_DEP_2) | instskip(NEXT) | instid1(VALU_DEP_2)
	v_dual_fmac_f32 v21, v80, v96 :: v_dual_fmac_f32 v22, v59, v95
	v_dual_fmac_f32 v23, v77, v97 :: v_dual_fmac_f32 v20, v68, v96
	s_delay_alu instid0(VALU_DEP_2) | instskip(NEXT) | instid1(VALU_DEP_2)
	v_dual_fmac_f32 v21, v81, v97 :: v_dual_fmac_f32 v22, v72, v96
	;; [unrolled: 3-line block ×4, first 2 shown]
	v_fmac_f32_e32 v20, v71, v99
	s_delay_alu instid0(VALU_DEP_2)
	v_fmac_f32_e32 v22, v75, v99
	s_and_not1_b32 exec_lo, exec_lo, s10
	s_cbranch_execnz .LBB20_21
; %bb.22:
	s_or_b32 exec_lo, exec_lo, s10
.LBB20_23:
	s_delay_alu instid0(SALU_CYCLE_1)
	s_or_b32 exec_lo, exec_lo, s7
.LBB20_24:
	s_delay_alu instid0(SALU_CYCLE_1) | instskip(NEXT) | instid1(SALU_CYCLE_1)
	s_or_b32 exec_lo, exec_lo, s6
	s_and_not1_b32 vcc_lo, exec_lo, s3
	s_cbranch_vccz .LBB20_26
	s_branch .LBB20_37
.LBB20_25:
                                        ; implicit-def: $vgpr20
                                        ; implicit-def: $vgpr22
                                        ; implicit-def: $vgpr23
                                        ; implicit-def: $vgpr21
.LBB20_26:
	v_dual_mov_b32 v20, 0 :: v_dual_mov_b32 v23, 0
	v_dual_mov_b32 v22, 0 :: v_dual_mov_b32 v21, 0
	s_delay_alu instid0(VALU_DEP_4)
	s_and_saveexec_b32 s3, s2
	s_cbranch_execz .LBB20_36
; %bb.27:
	v_or_b32_e32 v9, 4, v19
	v_mov_b32_e32 v21, 0
	v_dual_mov_b32 v23, 0 :: v_dual_mov_b32 v22, 0
	v_mov_b32_e32 v20, 0
	s_delay_alu instid0(VALU_DEP_4) | instskip(NEXT) | instid1(VALU_DEP_1)
	v_sub_co_u32 v9, s2, v9, s18
	v_sub_co_ci_u32_e64 v10, null, 0, 0, s2
	v_sub_co_u32 v11, s2, s18, v19
	s_delay_alu instid0(VALU_DEP_3) | instskip(NEXT) | instid1(VALU_DEP_3)
	v_add_co_u32 v9, vcc_lo, v9, v7
	v_add_co_ci_u32_e32 v10, vcc_lo, v10, v8, vcc_lo
	v_not_b32_e32 v7, v7
	v_not_b32_e32 v8, v8
	v_sub_co_ci_u32_e64 v12, null, 0, 0, s2
	s_delay_alu instid0(VALU_DEP_4) | instskip(SKIP_4) | instid1(VALU_DEP_2)
	v_cmp_gt_i64_e32 vcc_lo, v[9:10], v[2:3]
	s_mov_b32 s2, exec_lo
	v_dual_cndmask_b32 v10, v3, v10 :: v_dual_cndmask_b32 v9, v2, v9
	v_add_co_u32 v7, vcc_lo, v11, v7
	v_add_co_ci_u32_e32 v8, vcc_lo, v12, v8, vcc_lo
	v_add_co_u32 v7, vcc_lo, v7, v9
	s_delay_alu instid0(VALU_DEP_2) | instskip(NEXT) | instid1(VALU_DEP_2)
	v_add_co_ci_u32_e32 v8, vcc_lo, v8, v10, vcc_lo
	v_lshrrev_b32_e32 v9, 2, v7
	s_delay_alu instid0(VALU_DEP_1) | instskip(NEXT) | instid1(VALU_DEP_1)
	v_add_nc_u32_e32 v9, 1, v9
	v_and_b32_e32 v9, 3, v9
	s_delay_alu instid0(VALU_DEP_1)
	v_cmpx_ne_u32_e32 0, v9
	s_cbranch_execz .LBB20_31
; %bb.28:
	v_lshlrev_b64 v[11:12], 2, v[0:1]
	v_dual_mov_b32 v10, 0 :: v_dual_lshlrev_b32 v9, 4, v9
	s_mov_b32 s6, 0
	s_delay_alu instid0(VALU_DEP_1) | instskip(NEXT) | instid1(VALU_DEP_3)
	v_mov_b32_e32 v20, v10
	v_add_co_u32 v11, vcc_lo, s8, v11
	s_delay_alu instid0(VALU_DEP_4)
	v_add_co_ci_u32_e32 v12, vcc_lo, s9, v12, vcc_lo
	v_mov_b32_e32 v22, v10
	v_mov_b32_e32 v23, v10
	;; [unrolled: 1-line block ×3, first 2 shown]
.LBB20_29:                              ; =>This Inner Loop Header: Depth=1
	global_load_b32 v17, v[11:12], off
	s_clause 0x1
	global_load_b128 v[13:16], v[5:6], off offset:16
	global_load_b128 v[24:27], v[5:6], off
	s_waitcnt vmcnt(2)
	v_subrev_nc_u32_e32 v17, s18, v17
	s_delay_alu instid0(VALU_DEP_1) | instskip(NEXT) | instid1(VALU_DEP_1)
	v_lshlrev_b32_e32 v17, 2, v17
	v_ashrrev_i32_e32 v18, 31, v17
	s_delay_alu instid0(VALU_DEP_1) | instskip(SKIP_1) | instid1(VALU_DEP_1)
	v_lshlrev_b64 v[17:18], 2, v[17:18]
	s_waitcnt lgkmcnt(0)
	v_add_co_u32 v17, vcc_lo, s4, v17
	s_delay_alu instid0(VALU_DEP_2)
	v_add_co_ci_u32_e32 v18, vcc_lo, s5, v18, vcc_lo
	global_load_b128 v[28:31], v[17:18], off
	s_clause 0x1
	global_load_b128 v[32:35], v[5:6], off offset:32
	global_load_b128 v[36:39], v[5:6], off offset:48
	v_add_co_u32 v5, vcc_lo, 0x100, v5
	v_add_co_ci_u32_e32 v6, vcc_lo, 0, v6, vcc_lo
	v_add_co_u32 v0, vcc_lo, v0, 4
	v_add_co_ci_u32_e32 v1, vcc_lo, 0, v1, vcc_lo
	;; [unrolled: 2-line block ×3, first 2 shown]
	v_add_co_u32 v9, vcc_lo, v9, -16
	v_add_co_ci_u32_e32 v10, vcc_lo, -1, v10, vcc_lo
	s_delay_alu instid0(VALU_DEP_1) | instskip(SKIP_3) | instid1(VALU_DEP_1)
	v_cmp_eq_u64_e32 vcc_lo, 0, v[9:10]
	s_or_b32 s6, vcc_lo, s6
	s_waitcnt vmcnt(2)
	v_fmac_f32_e32 v22, v26, v28
	v_dual_fmac_f32 v21, v24, v28 :: v_dual_fmac_f32 v22, v15, v29
	s_delay_alu instid0(VALU_DEP_1) | instskip(SKIP_1) | instid1(VALU_DEP_2)
	v_dual_fmac_f32 v20, v27, v28 :: v_dual_fmac_f32 v21, v13, v29
	s_waitcnt vmcnt(1)
	v_dual_fmac_f32 v23, v25, v28 :: v_dual_fmac_f32 v22, v34, v30
	s_delay_alu instid0(VALU_DEP_2) | instskip(NEXT) | instid1(VALU_DEP_3)
	v_fmac_f32_e32 v20, v16, v29
	v_fmac_f32_e32 v21, v32, v30
	s_delay_alu instid0(VALU_DEP_3) | instskip(SKIP_2) | instid1(VALU_DEP_3)
	v_fmac_f32_e32 v23, v14, v29
	s_waitcnt vmcnt(0)
	v_fmac_f32_e32 v22, v38, v31
	v_dual_fmac_f32 v20, v35, v30 :: v_dual_fmac_f32 v21, v36, v31
	s_delay_alu instid0(VALU_DEP_1) | instskip(NEXT) | instid1(VALU_DEP_1)
	v_dual_fmac_f32 v23, v33, v30 :: v_dual_fmac_f32 v20, v39, v31
	v_fmac_f32_e32 v23, v37, v31
	s_and_not1_b32 exec_lo, exec_lo, s6
	s_cbranch_execnz .LBB20_29
; %bb.30:
	s_or_b32 exec_lo, exec_lo, s6
.LBB20_31:
	s_delay_alu instid0(SALU_CYCLE_1) | instskip(NEXT) | instid1(SALU_CYCLE_1)
	s_or_b32 exec_lo, exec_lo, s2
	s_mov_b32 s2, exec_lo
	v_cmpx_lt_u64_e32 11, v[7:8]
	s_cbranch_execz .LBB20_35
; %bb.32:
	v_lshlrev_b64 v[7:8], 2, v[0:1]
	s_mov_b32 s6, 0
	s_delay_alu instid0(VALU_DEP_1) | instskip(NEXT) | instid1(VALU_DEP_2)
	v_add_co_u32 v7, vcc_lo, v7, s8
	v_add_co_ci_u32_e32 v8, vcc_lo, s9, v8, vcc_lo
	s_delay_alu instid0(VALU_DEP_2) | instskip(NEXT) | instid1(VALU_DEP_2)
	v_add_co_u32 v7, vcc_lo, v7, 32
	v_add_co_ci_u32_e32 v8, vcc_lo, 0, v8, vcc_lo
.LBB20_33:                              ; =>This Inner Loop Header: Depth=1
	s_clause 0x3
	global_load_b32 v17, v[7:8], off offset:-32
	global_load_b32 v18, v[7:8], off offset:-16
	global_load_b32 v72, v[7:8], off
	global_load_b32 v73, v[7:8], off offset:16
	s_clause 0xd
	global_load_b128 v[9:12], v[5:6], off offset:48
	global_load_b128 v[13:16], v[5:6], off offset:32
	;; [unrolled: 1-line block ×3, first 2 shown]
	global_load_b128 v[28:31], v[5:6], off
	global_load_b128 v[32:35], v[5:6], off offset:304
	global_load_b128 v[36:39], v[5:6], off offset:288
	;; [unrolled: 1-line block ×10, first 2 shown]
	s_waitcnt vmcnt(17)
	v_subrev_nc_u32_e32 v17, s18, v17
	s_waitcnt vmcnt(16)
	v_subrev_nc_u32_e32 v18, s18, v18
	;; [unrolled: 2-line block ×4, first 2 shown]
	v_lshlrev_b32_e32 v17, 2, v17
	v_lshlrev_b32_e32 v76, 2, v18
	;; [unrolled: 1-line block ×3, first 2 shown]
	s_delay_alu instid0(VALU_DEP_4) | instskip(NEXT) | instid1(VALU_DEP_4)
	v_lshlrev_b32_e32 v84, 2, v73
	v_ashrrev_i32_e32 v18, 31, v17
	s_delay_alu instid0(VALU_DEP_1) | instskip(SKIP_1) | instid1(VALU_DEP_1)
	v_lshlrev_b64 v[17:18], 2, v[17:18]
	s_waitcnt lgkmcnt(0)
	v_add_co_u32 v17, vcc_lo, s4, v17
	s_delay_alu instid0(VALU_DEP_2)
	v_add_co_ci_u32_e32 v18, vcc_lo, s5, v18, vcc_lo
	global_load_b128 v[72:75], v[17:18], off
	s_waitcnt vmcnt(0)
	v_fmac_f32_e32 v23, v29, v72
	v_fmac_f32_e32 v21, v28, v72
	v_ashrrev_i32_e32 v77, 31, v76
	v_ashrrev_i32_e32 v85, 31, v84
	v_fmac_f32_e32 v22, v30, v72
	v_dual_fmac_f32 v20, v31, v72 :: v_dual_fmac_f32 v23, v25, v73
	s_delay_alu instid0(VALU_DEP_4)
	v_lshlrev_b64 v[17:18], 2, v[76:77]
	v_fmac_f32_e32 v21, v24, v73
	v_ashrrev_i32_e32 v81, 31, v80
	v_fmac_f32_e32 v22, v26, v73
	v_dual_fmac_f32 v20, v27, v73 :: v_dual_fmac_f32 v23, v14, v74
	v_add_co_u32 v17, vcc_lo, s4, v17
	v_add_co_ci_u32_e32 v18, vcc_lo, s5, v18, vcc_lo
	v_fmac_f32_e32 v21, v13, v74
	v_fmac_f32_e32 v22, v15, v74
	v_dual_fmac_f32 v20, v16, v74 :: v_dual_fmac_f32 v23, v10, v75
	global_load_b128 v[76:79], v[17:18], off
	v_lshlrev_b64 v[17:18], 2, v[80:81]
	v_fmac_f32_e32 v21, v9, v75
	v_fmac_f32_e32 v22, v11, v75
	;; [unrolled: 1-line block ×3, first 2 shown]
	s_delay_alu instid0(VALU_DEP_4) | instskip(SKIP_3) | instid1(VALU_DEP_1)
	v_add_co_u32 v17, vcc_lo, s4, v17
	v_add_co_ci_u32_e32 v18, vcc_lo, s5, v18, vcc_lo
	global_load_b128 v[80:83], v[17:18], off
	v_lshlrev_b64 v[17:18], 2, v[84:85]
	v_add_co_u32 v17, vcc_lo, s4, v17
	s_delay_alu instid0(VALU_DEP_2)
	v_add_co_ci_u32_e32 v18, vcc_lo, s5, v18, vcc_lo
	global_load_b128 v[84:87], v[17:18], off
	s_clause 0x1
	global_load_b128 v[88:91], v[5:6], off offset:800
	global_load_b128 v[92:95], v[5:6], off offset:816
	v_add_co_u32 v5, vcc_lo, 0x400, v5
	v_add_co_ci_u32_e32 v6, vcc_lo, 0, v6, vcc_lo
	v_add_co_u32 v0, vcc_lo, v0, 16
	v_add_co_ci_u32_e32 v1, vcc_lo, 0, v1, vcc_lo
	;; [unrolled: 2-line block ×3, first 2 shown]
	s_delay_alu instid0(VALU_DEP_3)
	v_cmp_ge_i64_e32 vcc_lo, v[0:1], v[2:3]
	s_or_b32 s6, vcc_lo, s6
	s_waitcnt vmcnt(4)
	v_fmac_f32_e32 v23, v45, v76
	v_fmac_f32_e32 v21, v44, v76
	;; [unrolled: 1-line block ×3, first 2 shown]
	s_delay_alu instid0(VALU_DEP_3) | instskip(NEXT) | instid1(VALU_DEP_3)
	v_dual_fmac_f32 v20, v47, v76 :: v_dual_fmac_f32 v23, v41, v77
	v_fmac_f32_e32 v21, v40, v77
	s_delay_alu instid0(VALU_DEP_3) | instskip(NEXT) | instid1(VALU_DEP_3)
	v_fmac_f32_e32 v22, v42, v77
	v_dual_fmac_f32 v20, v43, v77 :: v_dual_fmac_f32 v23, v37, v78
	s_delay_alu instid0(VALU_DEP_3) | instskip(NEXT) | instid1(VALU_DEP_3)
	v_fmac_f32_e32 v21, v36, v78
	v_fmac_f32_e32 v22, v38, v78
	s_delay_alu instid0(VALU_DEP_3) | instskip(NEXT) | instid1(VALU_DEP_3)
	v_dual_fmac_f32 v20, v39, v78 :: v_dual_fmac_f32 v23, v33, v79
	v_fmac_f32_e32 v21, v32, v79
	s_delay_alu instid0(VALU_DEP_3) | instskip(SKIP_1) | instid1(VALU_DEP_3)
	v_fmac_f32_e32 v22, v34, v79
	s_waitcnt vmcnt(3)
	v_dual_fmac_f32 v20, v35, v79 :: v_dual_fmac_f32 v23, v61, v80
	s_delay_alu instid0(VALU_DEP_3) | instskip(NEXT) | instid1(VALU_DEP_3)
	v_fmac_f32_e32 v21, v60, v80
	v_fmac_f32_e32 v22, v62, v80
	s_delay_alu instid0(VALU_DEP_3) | instskip(NEXT) | instid1(VALU_DEP_3)
	v_dual_fmac_f32 v20, v63, v80 :: v_dual_fmac_f32 v23, v57, v81
	v_fmac_f32_e32 v21, v56, v81
	s_delay_alu instid0(VALU_DEP_3) | instskip(NEXT) | instid1(VALU_DEP_3)
	v_fmac_f32_e32 v22, v58, v81
	v_dual_fmac_f32 v20, v59, v81 :: v_dual_fmac_f32 v23, v53, v82
	s_delay_alu instid0(VALU_DEP_3) | instskip(NEXT) | instid1(VALU_DEP_3)
	v_fmac_f32_e32 v21, v52, v82
	v_fmac_f32_e32 v22, v54, v82
	s_delay_alu instid0(VALU_DEP_3) | instskip(NEXT) | instid1(VALU_DEP_3)
	v_dual_fmac_f32 v20, v55, v82 :: v_dual_fmac_f32 v23, v49, v83
	v_fmac_f32_e32 v21, v48, v83
	s_delay_alu instid0(VALU_DEP_3) | instskip(SKIP_1) | instid1(VALU_DEP_3)
	v_fmac_f32_e32 v22, v50, v83
	s_waitcnt vmcnt(2)
	v_dual_fmac_f32 v20, v51, v83 :: v_dual_fmac_f32 v23, v69, v84
	s_delay_alu instid0(VALU_DEP_3) | instskip(NEXT) | instid1(VALU_DEP_3)
	v_fmac_f32_e32 v21, v68, v84
	v_fmac_f32_e32 v22, v70, v84
	s_delay_alu instid0(VALU_DEP_3) | instskip(NEXT) | instid1(VALU_DEP_3)
	v_dual_fmac_f32 v20, v71, v84 :: v_dual_fmac_f32 v23, v65, v85
	v_fmac_f32_e32 v21, v64, v85
	s_delay_alu instid0(VALU_DEP_3) | instskip(SKIP_1) | instid1(VALU_DEP_3)
	v_fmac_f32_e32 v22, v66, v85
	s_waitcnt vmcnt(1)
	v_dual_fmac_f32 v20, v67, v85 :: v_dual_fmac_f32 v23, v89, v86
	s_delay_alu instid0(VALU_DEP_3) | instskip(NEXT) | instid1(VALU_DEP_3)
	v_fmac_f32_e32 v21, v88, v86
	v_fmac_f32_e32 v22, v90, v86
	s_waitcnt vmcnt(0)
	s_delay_alu instid0(VALU_DEP_3) | instskip(NEXT) | instid1(VALU_DEP_3)
	v_dual_fmac_f32 v20, v91, v86 :: v_dual_fmac_f32 v23, v93, v87
	v_fmac_f32_e32 v21, v92, v87
	s_delay_alu instid0(VALU_DEP_3) | instskip(NEXT) | instid1(VALU_DEP_3)
	v_fmac_f32_e32 v22, v94, v87
	v_fmac_f32_e32 v20, v95, v87
	s_and_not1_b32 exec_lo, exec_lo, s6
	s_cbranch_execnz .LBB20_33
; %bb.34:
	s_or_b32 exec_lo, exec_lo, s6
.LBB20_35:
	s_delay_alu instid0(SALU_CYCLE_1)
	s_or_b32 exec_lo, exec_lo, s2
.LBB20_36:
	s_delay_alu instid0(SALU_CYCLE_1)
	s_or_b32 exec_lo, exec_lo, s3
.LBB20_37:
	v_mbcnt_lo_u32_b32 v0, -1, 0
	s_mov_b32 s2, -1
	s_delay_alu instid0(VALU_DEP_1) | instskip(NEXT) | instid1(VALU_DEP_1)
	v_xor_b32_e32 v1, 2, v0
	v_cmp_gt_i32_e32 vcc_lo, 32, v1
	v_cndmask_b32_e32 v1, v0, v1, vcc_lo
	s_delay_alu instid0(VALU_DEP_1)
	v_lshlrev_b32_e32 v1, 2, v1
	ds_bpermute_b32 v2, v1, v21
	ds_bpermute_b32 v3, v1, v23
	;; [unrolled: 1-line block ×4, first 2 shown]
	v_xor_b32_e32 v1, 1, v0
	s_delay_alu instid0(VALU_DEP_1) | instskip(SKIP_3) | instid1(VALU_DEP_2)
	v_cmp_gt_i32_e32 vcc_lo, 32, v1
	v_cndmask_b32_e32 v0, v0, v1, vcc_lo
	v_cmp_eq_u32_e32 vcc_lo, 3, v19
	s_waitcnt lgkmcnt(0)
	v_dual_add_f32 v1, v23, v3 :: v_dual_lshlrev_b32 v8, 2, v0
	v_add_f32_e32 v0, v21, v2
	v_dual_add_f32 v2, v22, v5 :: v_dual_add_f32 v3, v20, v6
	ds_bpermute_b32 v6, v8, v1
	ds_bpermute_b32 v5, v8, v0
	;; [unrolled: 1-line block ×4, first 2 shown]
	s_and_b32 exec_lo, exec_lo, vcc_lo
	s_cbranch_execz .LBB20_10
; %bb.38:
	s_load_b64 s[0:1], s[0:1], 0x50
	s_waitcnt lgkmcnt(0)
	v_dual_add_f32 v0, v0, v5 :: v_dual_add_f32 v1, v1, v6
	v_dual_add_f32 v2, v2, v7 :: v_dual_add_f32 v3, v3, v8
	v_cmp_eq_f32_e64 s3, s12, 0
	s_delay_alu instid0(VALU_DEP_3) | instskip(NEXT) | instid1(VALU_DEP_3)
	v_dual_mul_f32 v0, s16, v0 :: v_dual_mul_f32 v1, s16, v1
	v_dual_mul_f32 v2, s16, v2 :: v_dual_mul_f32 v3, s16, v3
	v_lshlrev_b32_e32 v4, 2, v4
	s_delay_alu instid0(VALU_DEP_4)
	s_and_b32 vcc_lo, exec_lo, s3
	s_cbranch_vccz .LBB20_40
; %bb.39:
	s_delay_alu instid0(VALU_DEP_1) | instskip(SKIP_1) | instid1(VALU_DEP_1)
	v_ashrrev_i32_e32 v5, 31, v4
	s_mov_b32 s2, 0
	v_lshlrev_b64 v[5:6], 2, v[4:5]
	s_delay_alu instid0(VALU_DEP_1) | instskip(NEXT) | instid1(VALU_DEP_2)
	v_add_co_u32 v5, vcc_lo, s0, v5
	v_add_co_ci_u32_e32 v6, vcc_lo, s1, v6, vcc_lo
	global_store_b128 v[5:6], v[0:3], off
.LBB20_40:
	s_and_not1_b32 vcc_lo, exec_lo, s2
	s_cbranch_vccnz .LBB20_10
; %bb.41:
	v_ashrrev_i32_e32 v5, 31, v4
	s_delay_alu instid0(VALU_DEP_1) | instskip(NEXT) | instid1(VALU_DEP_1)
	v_lshlrev_b64 v[4:5], 2, v[4:5]
	v_add_co_u32 v8, vcc_lo, s0, v4
	s_delay_alu instid0(VALU_DEP_2)
	v_add_co_ci_u32_e32 v9, vcc_lo, s1, v5, vcc_lo
	global_load_b128 v[4:7], v[8:9], off
	s_waitcnt vmcnt(0)
	v_dual_fmac_f32 v0, s12, v4 :: v_dual_fmac_f32 v1, s12, v5
	v_dual_fmac_f32 v2, s12, v6 :: v_dual_fmac_f32 v3, s12, v7
	global_store_b128 v[8:9], v[0:3], off
	s_nop 0
	s_sendmsg sendmsg(MSG_DEALLOC_VGPRS)
	s_endpgm
	.section	.rodata,"a",@progbits
	.p2align	6, 0x0
	.amdhsa_kernel _ZN9rocsparseL18bsrxmvn_4x4_kernelILj128ELj4EflifffEEvT3_20rocsparse_direction_NS_24const_host_device_scalarIT1_EES1_PKS1_PKT2_SA_S7_PKT4_PKT5_S5_PT6_21rocsparse_index_base_b
		.amdhsa_group_segment_fixed_size 0
		.amdhsa_private_segment_fixed_size 0
		.amdhsa_kernarg_size 96
		.amdhsa_user_sgpr_count 15
		.amdhsa_user_sgpr_dispatch_ptr 0
		.amdhsa_user_sgpr_queue_ptr 0
		.amdhsa_user_sgpr_kernarg_segment_ptr 1
		.amdhsa_user_sgpr_dispatch_id 0
		.amdhsa_user_sgpr_private_segment_size 0
		.amdhsa_wavefront_size32 1
		.amdhsa_uses_dynamic_stack 0
		.amdhsa_enable_private_segment 0
		.amdhsa_system_sgpr_workgroup_id_x 1
		.amdhsa_system_sgpr_workgroup_id_y 0
		.amdhsa_system_sgpr_workgroup_id_z 0
		.amdhsa_system_sgpr_workgroup_info 0
		.amdhsa_system_vgpr_workitem_id 0
		.amdhsa_next_free_vgpr 100
		.amdhsa_next_free_sgpr 20
		.amdhsa_reserve_vcc 1
		.amdhsa_float_round_mode_32 0
		.amdhsa_float_round_mode_16_64 0
		.amdhsa_float_denorm_mode_32 3
		.amdhsa_float_denorm_mode_16_64 3
		.amdhsa_dx10_clamp 1
		.amdhsa_ieee_mode 1
		.amdhsa_fp16_overflow 0
		.amdhsa_workgroup_processor_mode 1
		.amdhsa_memory_ordered 1
		.amdhsa_forward_progress 0
		.amdhsa_shared_vgpr_count 0
		.amdhsa_exception_fp_ieee_invalid_op 0
		.amdhsa_exception_fp_denorm_src 0
		.amdhsa_exception_fp_ieee_div_zero 0
		.amdhsa_exception_fp_ieee_overflow 0
		.amdhsa_exception_fp_ieee_underflow 0
		.amdhsa_exception_fp_ieee_inexact 0
		.amdhsa_exception_int_div_zero 0
	.end_amdhsa_kernel
	.section	.text._ZN9rocsparseL18bsrxmvn_4x4_kernelILj128ELj4EflifffEEvT3_20rocsparse_direction_NS_24const_host_device_scalarIT1_EES1_PKS1_PKT2_SA_S7_PKT4_PKT5_S5_PT6_21rocsparse_index_base_b,"axG",@progbits,_ZN9rocsparseL18bsrxmvn_4x4_kernelILj128ELj4EflifffEEvT3_20rocsparse_direction_NS_24const_host_device_scalarIT1_EES1_PKS1_PKT2_SA_S7_PKT4_PKT5_S5_PT6_21rocsparse_index_base_b,comdat
.Lfunc_end20:
	.size	_ZN9rocsparseL18bsrxmvn_4x4_kernelILj128ELj4EflifffEEvT3_20rocsparse_direction_NS_24const_host_device_scalarIT1_EES1_PKS1_PKT2_SA_S7_PKT4_PKT5_S5_PT6_21rocsparse_index_base_b, .Lfunc_end20-_ZN9rocsparseL18bsrxmvn_4x4_kernelILj128ELj4EflifffEEvT3_20rocsparse_direction_NS_24const_host_device_scalarIT1_EES1_PKS1_PKT2_SA_S7_PKT4_PKT5_S5_PT6_21rocsparse_index_base_b
                                        ; -- End function
	.section	.AMDGPU.csdata,"",@progbits
; Kernel info:
; codeLenInByte = 3676
; NumSgprs: 22
; NumVgprs: 100
; ScratchSize: 0
; MemoryBound: 0
; FloatMode: 240
; IeeeMode: 1
; LDSByteSize: 0 bytes/workgroup (compile time only)
; SGPRBlocks: 2
; VGPRBlocks: 12
; NumSGPRsForWavesPerEU: 22
; NumVGPRsForWavesPerEU: 100
; Occupancy: 12
; WaveLimiterHint : 1
; COMPUTE_PGM_RSRC2:SCRATCH_EN: 0
; COMPUTE_PGM_RSRC2:USER_SGPR: 15
; COMPUTE_PGM_RSRC2:TRAP_HANDLER: 0
; COMPUTE_PGM_RSRC2:TGID_X_EN: 1
; COMPUTE_PGM_RSRC2:TGID_Y_EN: 0
; COMPUTE_PGM_RSRC2:TGID_Z_EN: 0
; COMPUTE_PGM_RSRC2:TIDIG_COMP_CNT: 0
	.section	.text._ZN9rocsparseL18bsrxmvn_4x4_kernelILj128ELj8EflifffEEvT3_20rocsparse_direction_NS_24const_host_device_scalarIT1_EES1_PKS1_PKT2_SA_S7_PKT4_PKT5_S5_PT6_21rocsparse_index_base_b,"axG",@progbits,_ZN9rocsparseL18bsrxmvn_4x4_kernelILj128ELj8EflifffEEvT3_20rocsparse_direction_NS_24const_host_device_scalarIT1_EES1_PKS1_PKT2_SA_S7_PKT4_PKT5_S5_PT6_21rocsparse_index_base_b,comdat
	.globl	_ZN9rocsparseL18bsrxmvn_4x4_kernelILj128ELj8EflifffEEvT3_20rocsparse_direction_NS_24const_host_device_scalarIT1_EES1_PKS1_PKT2_SA_S7_PKT4_PKT5_S5_PT6_21rocsparse_index_base_b ; -- Begin function _ZN9rocsparseL18bsrxmvn_4x4_kernelILj128ELj8EflifffEEvT3_20rocsparse_direction_NS_24const_host_device_scalarIT1_EES1_PKS1_PKT2_SA_S7_PKT4_PKT5_S5_PT6_21rocsparse_index_base_b
	.p2align	8
	.type	_ZN9rocsparseL18bsrxmvn_4x4_kernelILj128ELj8EflifffEEvT3_20rocsparse_direction_NS_24const_host_device_scalarIT1_EES1_PKS1_PKT2_SA_S7_PKT4_PKT5_S5_PT6_21rocsparse_index_base_b,@function
_ZN9rocsparseL18bsrxmvn_4x4_kernelILj128ELj8EflifffEEvT3_20rocsparse_direction_NS_24const_host_device_scalarIT1_EES1_PKS1_PKT2_SA_S7_PKT4_PKT5_S5_PT6_21rocsparse_index_base_b: ; @_ZN9rocsparseL18bsrxmvn_4x4_kernelILj128ELj8EflifffEEvT3_20rocsparse_direction_NS_24const_host_device_scalarIT1_EES1_PKS1_PKT2_SA_S7_PKT4_PKT5_S5_PT6_21rocsparse_index_base_b
; %bb.0:
	s_clause 0x2
	s_load_b64 s[18:19], s[0:1], 0x58
	s_load_b64 s[16:17], s[0:1], 0x8
	;; [unrolled: 1-line block ×3, first 2 shown]
	s_waitcnt lgkmcnt(0)
	s_bitcmp1_b32 s19, 0
	s_cselect_b32 s2, -1, 0
	s_delay_alu instid0(SALU_CYCLE_1)
	s_and_b32 vcc_lo, exec_lo, s2
	s_xor_b32 s2, s2, -1
	s_cbranch_vccnz .LBB21_2
; %bb.1:
	s_load_b32 s16, s[16:17], 0x0
.LBB21_2:
	s_and_not1_b32 vcc_lo, exec_lo, s2
	s_cbranch_vccnz .LBB21_4
; %bb.3:
	s_load_b32 s12, s[12:13], 0x0
.LBB21_4:
	s_waitcnt lgkmcnt(0)
	v_cmp_neq_f32_e64 s2, s16, 0
	v_cmp_neq_f32_e64 s3, s12, 1.0
	s_mov_b32 s6, 0
	s_delay_alu instid0(VALU_DEP_1) | instskip(NEXT) | instid1(SALU_CYCLE_1)
	s_or_b32 s2, s2, s3
	s_and_not1_b32 vcc_lo, exec_lo, s2
	s_cbranch_vccnz .LBB21_10
; %bb.5:
	s_clause 0x1
	s_load_b64 s[4:5], s[0:1], 0x18
	s_load_b64 s[2:3], s[0:1], 0x0
	v_lshrrev_b32_e32 v1, 3, v0
	s_delay_alu instid0(VALU_DEP_1)
	v_lshl_or_b32 v4, s15, 4, v1
	s_waitcnt lgkmcnt(0)
	s_cmp_lg_u64 s[4:5], 0
	s_cbranch_scc0 .LBB21_11
; %bb.6:
	s_load_b32 s6, s[0:1], 0x10
	s_mov_b32 s7, 0
                                        ; implicit-def: $vgpr1
	s_waitcnt lgkmcnt(0)
	v_cmp_gt_i32_e32 vcc_lo, s6, v4
	s_mov_b32 s6, 0
	s_and_saveexec_b32 s8, vcc_lo
	s_delay_alu instid0(SALU_CYCLE_1)
	s_xor_b32 s8, exec_lo, s8
	s_cbranch_execz .LBB21_8
; %bb.7:
	v_ashrrev_i32_e32 v5, 31, v4
	s_mov_b32 s6, exec_lo
	s_delay_alu instid0(VALU_DEP_1) | instskip(NEXT) | instid1(VALU_DEP_1)
	v_lshlrev_b64 v[1:2], 2, v[4:5]
	v_add_co_u32 v1, vcc_lo, s4, v1
	s_delay_alu instid0(VALU_DEP_2)
	v_add_co_ci_u32_e32 v2, vcc_lo, s5, v2, vcc_lo
	global_load_b32 v1, v[1:2], off
	s_waitcnt vmcnt(0)
	v_subrev_nc_u32_e32 v1, s18, v1
.LBB21_8:
	s_or_b32 exec_lo, exec_lo, s8
	s_delay_alu instid0(SALU_CYCLE_1)
	s_and_b32 vcc_lo, exec_lo, s7
	s_cbranch_vccz .LBB21_12
.LBB21_9:
	v_cmp_gt_i32_e32 vcc_lo, s2, v4
	s_and_not1_b32 s2, s6, exec_lo
	s_and_b32 s4, vcc_lo, exec_lo
	s_delay_alu instid0(SALU_CYCLE_1) | instskip(NEXT) | instid1(SALU_CYCLE_1)
	s_or_b32 s6, s2, s4
	s_and_saveexec_b32 s2, s6
	s_cbranch_execnz .LBB21_13
.LBB21_10:
	s_nop 0
	s_sendmsg sendmsg(MSG_DEALLOC_VGPRS)
	s_endpgm
.LBB21_11:
                                        ; implicit-def: $vgpr1
	s_cbranch_execnz .LBB21_9
.LBB21_12:
	s_delay_alu instid0(VALU_DEP_1)
	v_mov_b32_e32 v4, v1
	s_and_saveexec_b32 s2, s6
	s_cbranch_execz .LBB21_10
.LBB21_13:
	s_load_b256 s[4:11], s[0:1], 0x20
	s_delay_alu instid0(VALU_DEP_1) | instskip(SKIP_1) | instid1(VALU_DEP_2)
	v_ashrrev_i32_e32 v5, 31, v4
	v_dual_mov_b32 v20, 0 :: v_dual_and_b32 v19, 7, v0
	v_lshlrev_b64 v[1:2], 3, v[4:5]
	s_waitcnt lgkmcnt(0)
	s_delay_alu instid0(VALU_DEP_1) | instskip(NEXT) | instid1(VALU_DEP_2)
	v_add_co_u32 v5, vcc_lo, s4, v1
	v_add_co_ci_u32_e32 v6, vcc_lo, s5, v2, vcc_lo
	v_add_co_u32 v1, vcc_lo, s6, v1
	v_add_co_ci_u32_e32 v2, vcc_lo, s7, v2, vcc_lo
	s_delay_alu instid0(VALU_DEP_4)
	v_add_co_u32 v3, vcc_lo, v5, 8
	global_load_b64 v[7:8], v[5:6], off
	v_add_co_ci_u32_e32 v9, vcc_lo, 0, v6, vcc_lo
	s_cmp_eq_u64 s[6:7], 0
	s_load_b64 s[4:5], s[0:1], 0x40
	s_cselect_b32 vcc_lo, -1, 0
	s_cmp_eq_u32 s3, 1
	v_dual_cndmask_b32 v2, v2, v9 :: v_dual_cndmask_b32 v1, v1, v3
	s_mov_b32 s3, 0
	global_load_b64 v[2:3], v[1:2], off
	s_waitcnt vmcnt(1)
	v_sub_co_u32 v0, vcc_lo, v7, s18
	v_subrev_co_ci_u32_e32 v1, vcc_lo, 0, v8, vcc_lo
	s_delay_alu instid0(VALU_DEP_2) | instskip(NEXT) | instid1(VALU_DEP_2)
	v_add_co_u32 v0, vcc_lo, v0, v19
	v_add_co_ci_u32_e32 v1, vcc_lo, 0, v1, vcc_lo
	s_delay_alu instid0(VALU_DEP_1) | instskip(SKIP_3) | instid1(VALU_DEP_3)
	v_lshlrev_b64 v[5:6], 6, v[0:1]
	s_waitcnt vmcnt(0)
	v_sub_co_u32 v2, vcc_lo, v2, s18
	v_subrev_co_ci_u32_e32 v3, vcc_lo, 0, v3, vcc_lo
	v_add_co_u32 v5, vcc_lo, s10, v5
	s_delay_alu instid0(VALU_DEP_2)
	v_cmp_lt_i64_e64 s2, v[0:1], v[2:3]
	v_add_co_ci_u32_e32 v6, vcc_lo, s11, v6, vcc_lo
	s_cbranch_scc1 .LBB21_25
; %bb.14:
	v_dual_mov_b32 v22, 0 :: v_dual_mov_b32 v23, 0
	v_mov_b32_e32 v21, 0
	s_delay_alu instid0(VALU_DEP_4)
	s_and_saveexec_b32 s6, s2
	s_cbranch_execz .LBB21_24
; %bb.15:
	v_or_b32_e32 v9, 8, v19
	v_not_b32_e32 v12, v7
	v_not_b32_e32 v11, v8
	v_mov_b32_e32 v23, 0
	v_dual_mov_b32 v21, 0 :: v_dual_mov_b32 v20, 0
	v_sub_co_u32 v9, s7, v9, s18
	s_delay_alu instid0(VALU_DEP_1) | instskip(SKIP_1) | instid1(VALU_DEP_3)
	v_sub_co_ci_u32_e64 v10, null, 0, 0, s7
	v_sub_co_u32 v13, s7, s18, v19
	v_add_co_u32 v9, vcc_lo, v9, v7
	s_delay_alu instid0(VALU_DEP_3) | instskip(SKIP_2) | instid1(VALU_DEP_2)
	v_add_co_ci_u32_e32 v10, vcc_lo, v10, v8, vcc_lo
	v_sub_co_ci_u32_e64 v14, null, 0, 0, s7
	s_mov_b32 s7, exec_lo
	v_cmp_gt_i64_e32 vcc_lo, v[9:10], v[2:3]
	v_mov_b32_e32 v22, 0
	v_dual_cndmask_b32 v10, v3, v10 :: v_dual_cndmask_b32 v9, v2, v9
	v_add_co_u32 v12, vcc_lo, v13, v12
	v_add_co_ci_u32_e32 v11, vcc_lo, v14, v11, vcc_lo
	s_delay_alu instid0(VALU_DEP_2) | instskip(NEXT) | instid1(VALU_DEP_2)
	v_add_co_u32 v13, vcc_lo, v12, v9
	v_add_co_ci_u32_e32 v14, vcc_lo, v11, v10, vcc_lo
	v_mov_b32_e32 v12, v6
	s_delay_alu instid0(VALU_DEP_3) | instskip(SKIP_1) | instid1(VALU_DEP_2)
	v_lshrrev_b32_e32 v9, 3, v13
	v_mov_b32_e32 v11, v5
	v_add_nc_u32_e32 v9, 1, v9
	s_delay_alu instid0(VALU_DEP_1) | instskip(SKIP_1) | instid1(VALU_DEP_2)
	v_dual_mov_b32 v10, v1 :: v_dual_and_b32 v15, 3, v9
	v_mov_b32_e32 v9, v0
	v_cmpx_ne_u32_e32 0, v15
	s_cbranch_execz .LBB21_19
; %bb.16:
	v_lshlrev_b64 v[9:10], 2, v[0:1]
	v_dual_mov_b32 v16, 0 :: v_dual_lshlrev_b32 v15, 4, v15
	v_dual_mov_b32 v12, v6 :: v_dual_mov_b32 v11, v5
	s_mov_b32 s10, 0
	s_delay_alu instid0(VALU_DEP_3) | instskip(NEXT) | instid1(VALU_DEP_4)
	v_add_co_u32 v17, vcc_lo, s8, v9
	v_add_co_ci_u32_e32 v18, vcc_lo, s9, v10, vcc_lo
	v_dual_mov_b32 v10, v1 :: v_dual_mov_b32 v9, v0
	v_mov_b32_e32 v20, v16
	v_mov_b32_e32 v22, v16
	;; [unrolled: 1-line block ×4, first 2 shown]
.LBB21_17:                              ; =>This Inner Loop Header: Depth=1
	global_load_b32 v40, v[17:18], off
	s_clause 0x3
	global_load_b128 v[24:27], v[11:12], off offset:48
	global_load_b128 v[28:31], v[11:12], off offset:32
	global_load_b128 v[32:35], v[11:12], off offset:16
	global_load_b128 v[36:39], v[11:12], off
	s_waitcnt vmcnt(4)
	v_subrev_nc_u32_e32 v40, s18, v40
	s_delay_alu instid0(VALU_DEP_1) | instskip(NEXT) | instid1(VALU_DEP_1)
	v_lshlrev_b32_e32 v40, 2, v40
	v_ashrrev_i32_e32 v41, 31, v40
	s_delay_alu instid0(VALU_DEP_1) | instskip(SKIP_1) | instid1(VALU_DEP_1)
	v_lshlrev_b64 v[40:41], 2, v[40:41]
	s_waitcnt lgkmcnt(0)
	v_add_co_u32 v40, vcc_lo, s4, v40
	s_delay_alu instid0(VALU_DEP_2)
	v_add_co_ci_u32_e32 v41, vcc_lo, s5, v41, vcc_lo
	v_add_co_u32 v11, vcc_lo, 0x200, v11
	v_add_co_ci_u32_e32 v12, vcc_lo, 0, v12, vcc_lo
	global_load_b128 v[40:43], v[40:41], off
	v_add_co_u32 v9, vcc_lo, v9, 8
	v_add_co_ci_u32_e32 v10, vcc_lo, 0, v10, vcc_lo
	v_add_co_u32 v17, vcc_lo, v17, 32
	v_add_co_ci_u32_e32 v18, vcc_lo, 0, v18, vcc_lo
	v_add_co_u32 v15, vcc_lo, v15, -16
	v_add_co_ci_u32_e32 v16, vcc_lo, -1, v16, vcc_lo
	s_delay_alu instid0(VALU_DEP_1) | instskip(SKIP_3) | instid1(VALU_DEP_1)
	v_cmp_eq_u64_e32 vcc_lo, 0, v[15:16]
	s_or_b32 s10, vcc_lo, s10
	s_waitcnt vmcnt(0)
	v_fmac_f32_e32 v20, v24, v40
	v_dual_fmac_f32 v23, v32, v40 :: v_dual_fmac_f32 v20, v25, v41
	s_delay_alu instid0(VALU_DEP_1) | instskip(NEXT) | instid1(VALU_DEP_1)
	v_dual_fmac_f32 v22, v28, v40 :: v_dual_fmac_f32 v23, v33, v41
	v_dual_fmac_f32 v21, v36, v40 :: v_dual_fmac_f32 v22, v29, v41
	s_delay_alu instid0(VALU_DEP_1) | instskip(NEXT) | instid1(VALU_DEP_1)
	v_fmac_f32_e32 v21, v37, v41
	v_fmac_f32_e32 v21, v38, v42
	s_delay_alu instid0(VALU_DEP_1) | instskip(NEXT) | instid1(VALU_DEP_1)
	v_dual_fmac_f32 v22, v30, v42 :: v_dual_fmac_f32 v21, v39, v43
	v_dual_fmac_f32 v23, v34, v42 :: v_dual_fmac_f32 v22, v31, v43
	s_delay_alu instid0(VALU_DEP_1) | instskip(NEXT) | instid1(VALU_DEP_1)
	v_dual_fmac_f32 v20, v26, v42 :: v_dual_fmac_f32 v23, v35, v43
	v_fmac_f32_e32 v20, v27, v43
	s_and_not1_b32 exec_lo, exec_lo, s10
	s_cbranch_execnz .LBB21_17
; %bb.18:
	s_or_b32 exec_lo, exec_lo, s10
.LBB21_19:
	s_delay_alu instid0(SALU_CYCLE_1) | instskip(NEXT) | instid1(SALU_CYCLE_1)
	s_or_b32 exec_lo, exec_lo, s7
	s_mov_b32 s7, exec_lo
	v_cmpx_lt_u64_e32 23, v[13:14]
	s_cbranch_execz .LBB21_23
; %bb.20:
	v_lshlrev_b64 v[13:14], 2, v[9:10]
	s_mov_b32 s10, 0
	s_delay_alu instid0(VALU_DEP_1) | instskip(NEXT) | instid1(VALU_DEP_2)
	v_add_co_u32 v13, vcc_lo, v13, s8
	v_add_co_ci_u32_e32 v14, vcc_lo, s9, v14, vcc_lo
	s_delay_alu instid0(VALU_DEP_2) | instskip(NEXT) | instid1(VALU_DEP_2)
	v_add_co_u32 v13, vcc_lo, v13, 64
	v_add_co_ci_u32_e32 v14, vcc_lo, 0, v14, vcc_lo
.LBB21_21:                              ; =>This Inner Loop Header: Depth=1
	s_clause 0x3
	global_load_b32 v84, v[13:14], off offset:-64
	global_load_b32 v85, v[13:14], off offset:-32
	global_load_b32 v86, v[13:14], off
	global_load_b32 v87, v[13:14], off offset:32
	s_clause 0xf
	global_load_b128 v[15:18], v[11:12], off offset:48
	global_load_b128 v[24:27], v[11:12], off offset:32
	;; [unrolled: 1-line block ×3, first 2 shown]
	global_load_b128 v[32:35], v[11:12], off
	global_load_b128 v[36:39], v[11:12], off offset:560
	global_load_b128 v[40:43], v[11:12], off offset:544
	global_load_b128 v[44:47], v[11:12], off offset:528
	global_load_b128 v[48:51], v[11:12], off offset:512
	global_load_b128 v[52:55], v[11:12], off offset:1072
	global_load_b128 v[56:59], v[11:12], off offset:1056
	global_load_b128 v[60:63], v[11:12], off offset:1040
	global_load_b128 v[64:67], v[11:12], off offset:1024
	global_load_b128 v[68:71], v[11:12], off offset:1584
	global_load_b128 v[72:75], v[11:12], off offset:1568
	global_load_b128 v[76:79], v[11:12], off offset:1552
	global_load_b128 v[80:83], v[11:12], off offset:1536
	s_waitcnt vmcnt(19)
	v_subrev_nc_u32_e32 v84, s18, v84
	s_waitcnt vmcnt(18)
	v_subrev_nc_u32_e32 v85, s18, v85
	;; [unrolled: 2-line block ×4, first 2 shown]
	v_lshlrev_b32_e32 v84, 2, v84
	v_lshlrev_b32_e32 v88, 2, v85
	;; [unrolled: 1-line block ×3, first 2 shown]
	s_delay_alu instid0(VALU_DEP_4) | instskip(NEXT) | instid1(VALU_DEP_4)
	v_lshlrev_b32_e32 v96, 2, v87
	v_ashrrev_i32_e32 v85, 31, v84
	s_delay_alu instid0(VALU_DEP_4) | instskip(NEXT) | instid1(VALU_DEP_2)
	v_ashrrev_i32_e32 v89, 31, v88
	v_lshlrev_b64 v[84:85], 2, v[84:85]
	s_delay_alu instid0(VALU_DEP_2) | instskip(SKIP_1) | instid1(VALU_DEP_2)
	v_lshlrev_b64 v[88:89], 2, v[88:89]
	s_waitcnt lgkmcnt(0)
	v_add_co_u32 v84, vcc_lo, s4, v84
	s_delay_alu instid0(VALU_DEP_3) | instskip(NEXT) | instid1(VALU_DEP_3)
	v_add_co_ci_u32_e32 v85, vcc_lo, s5, v85, vcc_lo
	v_add_co_u32 v88, vcc_lo, s4, v88
	s_delay_alu instid0(VALU_DEP_4)
	v_add_co_ci_u32_e32 v89, vcc_lo, s5, v89, vcc_lo
	s_clause 0x1
	global_load_b128 v[84:87], v[84:85], off
	global_load_b128 v[88:91], v[88:89], off
	s_waitcnt vmcnt(1)
	v_fmac_f32_e32 v23, v28, v84
	v_ashrrev_i32_e32 v93, 31, v92
	v_fmac_f32_e32 v21, v32, v84
	s_delay_alu instid0(VALU_DEP_3) | instskip(NEXT) | instid1(VALU_DEP_3)
	v_fmac_f32_e32 v23, v29, v85
	v_lshlrev_b64 v[92:93], 2, v[92:93]
	v_ashrrev_i32_e32 v97, 31, v96
	s_delay_alu instid0(VALU_DEP_4) | instskip(NEXT) | instid1(VALU_DEP_4)
	v_dual_fmac_f32 v20, v15, v84 :: v_dual_fmac_f32 v21, v33, v85
	v_dual_fmac_f32 v23, v30, v86 :: v_dual_fmac_f32 v22, v24, v84
	s_delay_alu instid0(VALU_DEP_4) | instskip(NEXT) | instid1(VALU_DEP_3)
	v_add_co_u32 v92, vcc_lo, s4, v92
	v_fmac_f32_e32 v21, v34, v86
	v_add_co_ci_u32_e32 v93, vcc_lo, s5, v93, vcc_lo
	v_lshlrev_b64 v[96:97], 2, v[96:97]
	s_delay_alu instid0(VALU_DEP_3)
	v_dual_fmac_f32 v22, v25, v85 :: v_dual_fmac_f32 v21, v35, v87
	global_load_b128 v[92:95], v[92:93], off
	v_dual_fmac_f32 v20, v16, v85 :: v_dual_fmac_f32 v23, v31, v87
	v_add_co_u32 v96, vcc_lo, s4, v96
	v_add_co_ci_u32_e32 v97, vcc_lo, s5, v97, vcc_lo
	s_waitcnt vmcnt(1)
	v_dual_fmac_f32 v22, v26, v86 :: v_dual_fmac_f32 v21, v48, v88
	v_dual_fmac_f32 v20, v17, v86 :: v_dual_fmac_f32 v23, v44, v88
	global_load_b128 v[96:99], v[96:97], off
	v_dual_fmac_f32 v22, v27, v87 :: v_dual_fmac_f32 v21, v49, v89
	v_dual_fmac_f32 v20, v18, v87 :: v_dual_fmac_f32 v23, v45, v89
	v_add_co_u32 v11, vcc_lo, 0x800, v11
	s_delay_alu instid0(VALU_DEP_3) | instskip(NEXT) | instid1(VALU_DEP_3)
	v_dual_fmac_f32 v22, v40, v88 :: v_dual_fmac_f32 v21, v50, v90
	v_dual_fmac_f32 v20, v36, v88 :: v_dual_fmac_f32 v23, v46, v90
	v_add_co_ci_u32_e32 v12, vcc_lo, 0, v12, vcc_lo
	s_delay_alu instid0(VALU_DEP_3) | instskip(NEXT) | instid1(VALU_DEP_3)
	v_dual_fmac_f32 v22, v41, v89 :: v_dual_fmac_f32 v21, v51, v91
	v_dual_fmac_f32 v20, v37, v89 :: v_dual_fmac_f32 v23, v47, v91
	v_add_co_u32 v9, vcc_lo, v9, 32
	s_delay_alu instid0(VALU_DEP_3) | instskip(NEXT) | instid1(VALU_DEP_3)
	v_fmac_f32_e32 v22, v42, v90
	v_fmac_f32_e32 v20, v38, v90
	v_add_co_ci_u32_e32 v10, vcc_lo, 0, v10, vcc_lo
	v_add_co_u32 v13, vcc_lo, 0x80, v13
	v_add_co_ci_u32_e32 v14, vcc_lo, 0, v14, vcc_lo
	s_delay_alu instid0(VALU_DEP_3) | instskip(SKIP_4) | instid1(VALU_DEP_2)
	v_cmp_ge_i64_e32 vcc_lo, v[9:10], v[2:3]
	s_or_b32 s10, vcc_lo, s10
	s_waitcnt vmcnt(1)
	v_dual_fmac_f32 v23, v60, v92 :: v_dual_fmac_f32 v20, v39, v91
	v_dual_fmac_f32 v21, v64, v92 :: v_dual_fmac_f32 v22, v43, v91
	;; [unrolled: 1-line block ×3, first 2 shown]
	s_delay_alu instid0(VALU_DEP_2) | instskip(NEXT) | instid1(VALU_DEP_2)
	v_dual_fmac_f32 v21, v65, v93 :: v_dual_fmac_f32 v22, v56, v92
	v_dual_fmac_f32 v23, v62, v94 :: v_dual_fmac_f32 v20, v53, v93
	s_delay_alu instid0(VALU_DEP_2) | instskip(NEXT) | instid1(VALU_DEP_2)
	v_dual_fmac_f32 v21, v66, v94 :: v_dual_fmac_f32 v22, v57, v93
	v_dual_fmac_f32 v23, v63, v95 :: v_dual_fmac_f32 v20, v54, v94
	s_delay_alu instid0(VALU_DEP_2) | instskip(SKIP_1) | instid1(VALU_DEP_2)
	v_dual_fmac_f32 v21, v67, v95 :: v_dual_fmac_f32 v22, v58, v94
	s_waitcnt vmcnt(0)
	v_dual_fmac_f32 v23, v76, v96 :: v_dual_fmac_f32 v20, v55, v95
	s_delay_alu instid0(VALU_DEP_2) | instskip(NEXT) | instid1(VALU_DEP_2)
	v_dual_fmac_f32 v21, v80, v96 :: v_dual_fmac_f32 v22, v59, v95
	v_dual_fmac_f32 v23, v77, v97 :: v_dual_fmac_f32 v20, v68, v96
	s_delay_alu instid0(VALU_DEP_2) | instskip(NEXT) | instid1(VALU_DEP_2)
	v_dual_fmac_f32 v21, v81, v97 :: v_dual_fmac_f32 v22, v72, v96
	;; [unrolled: 3-line block ×4, first 2 shown]
	v_fmac_f32_e32 v20, v71, v99
	s_delay_alu instid0(VALU_DEP_2)
	v_fmac_f32_e32 v22, v75, v99
	s_and_not1_b32 exec_lo, exec_lo, s10
	s_cbranch_execnz .LBB21_21
; %bb.22:
	s_or_b32 exec_lo, exec_lo, s10
.LBB21_23:
	s_delay_alu instid0(SALU_CYCLE_1)
	s_or_b32 exec_lo, exec_lo, s7
.LBB21_24:
	s_delay_alu instid0(SALU_CYCLE_1) | instskip(NEXT) | instid1(SALU_CYCLE_1)
	s_or_b32 exec_lo, exec_lo, s6
	s_and_not1_b32 vcc_lo, exec_lo, s3
	s_cbranch_vccz .LBB21_26
	s_branch .LBB21_37
.LBB21_25:
                                        ; implicit-def: $vgpr20
                                        ; implicit-def: $vgpr22
                                        ; implicit-def: $vgpr23
                                        ; implicit-def: $vgpr21
.LBB21_26:
	v_dual_mov_b32 v20, 0 :: v_dual_mov_b32 v23, 0
	v_dual_mov_b32 v22, 0 :: v_dual_mov_b32 v21, 0
	s_delay_alu instid0(VALU_DEP_4)
	s_and_saveexec_b32 s3, s2
	s_cbranch_execz .LBB21_36
; %bb.27:
	v_or_b32_e32 v9, 8, v19
	v_mov_b32_e32 v21, 0
	v_dual_mov_b32 v23, 0 :: v_dual_mov_b32 v22, 0
	v_mov_b32_e32 v20, 0
	s_delay_alu instid0(VALU_DEP_4) | instskip(NEXT) | instid1(VALU_DEP_1)
	v_sub_co_u32 v9, s2, v9, s18
	v_sub_co_ci_u32_e64 v10, null, 0, 0, s2
	v_sub_co_u32 v11, s2, s18, v19
	s_delay_alu instid0(VALU_DEP_3) | instskip(NEXT) | instid1(VALU_DEP_3)
	v_add_co_u32 v9, vcc_lo, v9, v7
	v_add_co_ci_u32_e32 v10, vcc_lo, v10, v8, vcc_lo
	v_not_b32_e32 v7, v7
	v_not_b32_e32 v8, v8
	v_sub_co_ci_u32_e64 v12, null, 0, 0, s2
	s_delay_alu instid0(VALU_DEP_4) | instskip(SKIP_4) | instid1(VALU_DEP_2)
	v_cmp_gt_i64_e32 vcc_lo, v[9:10], v[2:3]
	s_mov_b32 s2, exec_lo
	v_dual_cndmask_b32 v10, v3, v10 :: v_dual_cndmask_b32 v9, v2, v9
	v_add_co_u32 v7, vcc_lo, v11, v7
	v_add_co_ci_u32_e32 v8, vcc_lo, v12, v8, vcc_lo
	v_add_co_u32 v7, vcc_lo, v7, v9
	s_delay_alu instid0(VALU_DEP_2) | instskip(NEXT) | instid1(VALU_DEP_2)
	v_add_co_ci_u32_e32 v8, vcc_lo, v8, v10, vcc_lo
	v_lshrrev_b32_e32 v9, 3, v7
	s_delay_alu instid0(VALU_DEP_1) | instskip(NEXT) | instid1(VALU_DEP_1)
	v_add_nc_u32_e32 v9, 1, v9
	v_and_b32_e32 v9, 3, v9
	s_delay_alu instid0(VALU_DEP_1)
	v_cmpx_ne_u32_e32 0, v9
	s_cbranch_execz .LBB21_31
; %bb.28:
	v_lshlrev_b64 v[11:12], 2, v[0:1]
	v_dual_mov_b32 v10, 0 :: v_dual_lshlrev_b32 v9, 4, v9
	s_mov_b32 s6, 0
	s_delay_alu instid0(VALU_DEP_1) | instskip(NEXT) | instid1(VALU_DEP_3)
	v_mov_b32_e32 v20, v10
	v_add_co_u32 v11, vcc_lo, s8, v11
	s_delay_alu instid0(VALU_DEP_4)
	v_add_co_ci_u32_e32 v12, vcc_lo, s9, v12, vcc_lo
	v_mov_b32_e32 v22, v10
	v_mov_b32_e32 v23, v10
	;; [unrolled: 1-line block ×3, first 2 shown]
.LBB21_29:                              ; =>This Inner Loop Header: Depth=1
	global_load_b32 v17, v[11:12], off
	s_clause 0x1
	global_load_b128 v[13:16], v[5:6], off offset:16
	global_load_b128 v[24:27], v[5:6], off
	s_waitcnt vmcnt(2)
	v_subrev_nc_u32_e32 v17, s18, v17
	s_delay_alu instid0(VALU_DEP_1) | instskip(NEXT) | instid1(VALU_DEP_1)
	v_lshlrev_b32_e32 v17, 2, v17
	v_ashrrev_i32_e32 v18, 31, v17
	s_delay_alu instid0(VALU_DEP_1) | instskip(SKIP_1) | instid1(VALU_DEP_1)
	v_lshlrev_b64 v[17:18], 2, v[17:18]
	s_waitcnt lgkmcnt(0)
	v_add_co_u32 v17, vcc_lo, s4, v17
	s_delay_alu instid0(VALU_DEP_2)
	v_add_co_ci_u32_e32 v18, vcc_lo, s5, v18, vcc_lo
	global_load_b128 v[28:31], v[17:18], off
	s_clause 0x1
	global_load_b128 v[32:35], v[5:6], off offset:32
	global_load_b128 v[36:39], v[5:6], off offset:48
	v_add_co_u32 v5, vcc_lo, 0x200, v5
	v_add_co_ci_u32_e32 v6, vcc_lo, 0, v6, vcc_lo
	v_add_co_u32 v0, vcc_lo, v0, 8
	v_add_co_ci_u32_e32 v1, vcc_lo, 0, v1, vcc_lo
	;; [unrolled: 2-line block ×3, first 2 shown]
	v_add_co_u32 v9, vcc_lo, v9, -16
	v_add_co_ci_u32_e32 v10, vcc_lo, -1, v10, vcc_lo
	s_delay_alu instid0(VALU_DEP_1) | instskip(SKIP_3) | instid1(VALU_DEP_1)
	v_cmp_eq_u64_e32 vcc_lo, 0, v[9:10]
	s_or_b32 s6, vcc_lo, s6
	s_waitcnt vmcnt(2)
	v_fmac_f32_e32 v22, v26, v28
	v_dual_fmac_f32 v21, v24, v28 :: v_dual_fmac_f32 v22, v15, v29
	s_delay_alu instid0(VALU_DEP_1) | instskip(SKIP_1) | instid1(VALU_DEP_2)
	v_dual_fmac_f32 v20, v27, v28 :: v_dual_fmac_f32 v21, v13, v29
	s_waitcnt vmcnt(1)
	v_dual_fmac_f32 v23, v25, v28 :: v_dual_fmac_f32 v22, v34, v30
	s_delay_alu instid0(VALU_DEP_2) | instskip(NEXT) | instid1(VALU_DEP_3)
	v_fmac_f32_e32 v20, v16, v29
	v_fmac_f32_e32 v21, v32, v30
	s_delay_alu instid0(VALU_DEP_3) | instskip(SKIP_2) | instid1(VALU_DEP_3)
	v_fmac_f32_e32 v23, v14, v29
	s_waitcnt vmcnt(0)
	v_fmac_f32_e32 v22, v38, v31
	v_dual_fmac_f32 v20, v35, v30 :: v_dual_fmac_f32 v21, v36, v31
	s_delay_alu instid0(VALU_DEP_1) | instskip(NEXT) | instid1(VALU_DEP_1)
	v_dual_fmac_f32 v23, v33, v30 :: v_dual_fmac_f32 v20, v39, v31
	v_fmac_f32_e32 v23, v37, v31
	s_and_not1_b32 exec_lo, exec_lo, s6
	s_cbranch_execnz .LBB21_29
; %bb.30:
	s_or_b32 exec_lo, exec_lo, s6
.LBB21_31:
	s_delay_alu instid0(SALU_CYCLE_1) | instskip(NEXT) | instid1(SALU_CYCLE_1)
	s_or_b32 exec_lo, exec_lo, s2
	s_mov_b32 s2, exec_lo
	v_cmpx_lt_u64_e32 23, v[7:8]
	s_cbranch_execz .LBB21_35
; %bb.32:
	v_lshlrev_b64 v[7:8], 2, v[0:1]
	s_mov_b32 s6, 0
	s_delay_alu instid0(VALU_DEP_1) | instskip(NEXT) | instid1(VALU_DEP_2)
	v_add_co_u32 v7, vcc_lo, v7, s8
	v_add_co_ci_u32_e32 v8, vcc_lo, s9, v8, vcc_lo
	s_delay_alu instid0(VALU_DEP_2) | instskip(NEXT) | instid1(VALU_DEP_2)
	v_add_co_u32 v7, vcc_lo, v7, 64
	v_add_co_ci_u32_e32 v8, vcc_lo, 0, v8, vcc_lo
.LBB21_33:                              ; =>This Inner Loop Header: Depth=1
	s_clause 0x3
	global_load_b32 v17, v[7:8], off offset:-64
	global_load_b32 v18, v[7:8], off offset:-32
	global_load_b32 v72, v[7:8], off
	global_load_b32 v73, v[7:8], off offset:32
	s_clause 0xd
	global_load_b128 v[9:12], v[5:6], off offset:48
	global_load_b128 v[13:16], v[5:6], off offset:32
	;; [unrolled: 1-line block ×3, first 2 shown]
	global_load_b128 v[28:31], v[5:6], off
	global_load_b128 v[32:35], v[5:6], off offset:560
	global_load_b128 v[36:39], v[5:6], off offset:544
	global_load_b128 v[40:43], v[5:6], off offset:528
	global_load_b128 v[44:47], v[5:6], off offset:512
	global_load_b128 v[48:51], v[5:6], off offset:1072
	global_load_b128 v[52:55], v[5:6], off offset:1056
	global_load_b128 v[56:59], v[5:6], off offset:1040
	global_load_b128 v[60:63], v[5:6], off offset:1024
	global_load_b128 v[64:67], v[5:6], off offset:1552
	global_load_b128 v[68:71], v[5:6], off offset:1536
	s_waitcnt vmcnt(17)
	v_subrev_nc_u32_e32 v17, s18, v17
	s_waitcnt vmcnt(16)
	v_subrev_nc_u32_e32 v18, s18, v18
	;; [unrolled: 2-line block ×4, first 2 shown]
	v_lshlrev_b32_e32 v17, 2, v17
	v_lshlrev_b32_e32 v76, 2, v18
	;; [unrolled: 1-line block ×3, first 2 shown]
	s_delay_alu instid0(VALU_DEP_4) | instskip(NEXT) | instid1(VALU_DEP_4)
	v_lshlrev_b32_e32 v84, 2, v73
	v_ashrrev_i32_e32 v18, 31, v17
	s_delay_alu instid0(VALU_DEP_1) | instskip(SKIP_1) | instid1(VALU_DEP_1)
	v_lshlrev_b64 v[17:18], 2, v[17:18]
	s_waitcnt lgkmcnt(0)
	v_add_co_u32 v17, vcc_lo, s4, v17
	s_delay_alu instid0(VALU_DEP_2)
	v_add_co_ci_u32_e32 v18, vcc_lo, s5, v18, vcc_lo
	global_load_b128 v[72:75], v[17:18], off
	s_waitcnt vmcnt(0)
	v_fmac_f32_e32 v23, v29, v72
	v_fmac_f32_e32 v21, v28, v72
	v_ashrrev_i32_e32 v77, 31, v76
	v_ashrrev_i32_e32 v85, 31, v84
	v_fmac_f32_e32 v22, v30, v72
	v_dual_fmac_f32 v20, v31, v72 :: v_dual_fmac_f32 v23, v25, v73
	s_delay_alu instid0(VALU_DEP_4)
	v_lshlrev_b64 v[17:18], 2, v[76:77]
	v_fmac_f32_e32 v21, v24, v73
	v_ashrrev_i32_e32 v81, 31, v80
	v_fmac_f32_e32 v22, v26, v73
	v_dual_fmac_f32 v20, v27, v73 :: v_dual_fmac_f32 v23, v14, v74
	v_add_co_u32 v17, vcc_lo, s4, v17
	v_add_co_ci_u32_e32 v18, vcc_lo, s5, v18, vcc_lo
	v_fmac_f32_e32 v21, v13, v74
	v_fmac_f32_e32 v22, v15, v74
	v_dual_fmac_f32 v20, v16, v74 :: v_dual_fmac_f32 v23, v10, v75
	global_load_b128 v[76:79], v[17:18], off
	v_lshlrev_b64 v[17:18], 2, v[80:81]
	v_fmac_f32_e32 v21, v9, v75
	v_fmac_f32_e32 v22, v11, v75
	;; [unrolled: 1-line block ×3, first 2 shown]
	s_delay_alu instid0(VALU_DEP_4) | instskip(SKIP_3) | instid1(VALU_DEP_1)
	v_add_co_u32 v17, vcc_lo, s4, v17
	v_add_co_ci_u32_e32 v18, vcc_lo, s5, v18, vcc_lo
	global_load_b128 v[80:83], v[17:18], off
	v_lshlrev_b64 v[17:18], 2, v[84:85]
	v_add_co_u32 v17, vcc_lo, s4, v17
	s_delay_alu instid0(VALU_DEP_2)
	v_add_co_ci_u32_e32 v18, vcc_lo, s5, v18, vcc_lo
	global_load_b128 v[84:87], v[17:18], off
	s_clause 0x1
	global_load_b128 v[88:91], v[5:6], off offset:1568
	global_load_b128 v[92:95], v[5:6], off offset:1584
	v_add_co_u32 v5, vcc_lo, 0x800, v5
	v_add_co_ci_u32_e32 v6, vcc_lo, 0, v6, vcc_lo
	v_add_co_u32 v0, vcc_lo, v0, 32
	v_add_co_ci_u32_e32 v1, vcc_lo, 0, v1, vcc_lo
	;; [unrolled: 2-line block ×3, first 2 shown]
	s_delay_alu instid0(VALU_DEP_3)
	v_cmp_ge_i64_e32 vcc_lo, v[0:1], v[2:3]
	s_or_b32 s6, vcc_lo, s6
	s_waitcnt vmcnt(4)
	v_fmac_f32_e32 v23, v45, v76
	v_fmac_f32_e32 v21, v44, v76
	;; [unrolled: 1-line block ×3, first 2 shown]
	s_delay_alu instid0(VALU_DEP_3) | instskip(NEXT) | instid1(VALU_DEP_3)
	v_dual_fmac_f32 v20, v47, v76 :: v_dual_fmac_f32 v23, v41, v77
	v_fmac_f32_e32 v21, v40, v77
	s_delay_alu instid0(VALU_DEP_3) | instskip(NEXT) | instid1(VALU_DEP_3)
	v_fmac_f32_e32 v22, v42, v77
	v_dual_fmac_f32 v20, v43, v77 :: v_dual_fmac_f32 v23, v37, v78
	s_delay_alu instid0(VALU_DEP_3) | instskip(NEXT) | instid1(VALU_DEP_3)
	v_fmac_f32_e32 v21, v36, v78
	v_fmac_f32_e32 v22, v38, v78
	s_delay_alu instid0(VALU_DEP_3) | instskip(NEXT) | instid1(VALU_DEP_3)
	v_dual_fmac_f32 v20, v39, v78 :: v_dual_fmac_f32 v23, v33, v79
	v_fmac_f32_e32 v21, v32, v79
	s_delay_alu instid0(VALU_DEP_3) | instskip(SKIP_1) | instid1(VALU_DEP_3)
	v_fmac_f32_e32 v22, v34, v79
	s_waitcnt vmcnt(3)
	v_dual_fmac_f32 v20, v35, v79 :: v_dual_fmac_f32 v23, v61, v80
	s_delay_alu instid0(VALU_DEP_3) | instskip(NEXT) | instid1(VALU_DEP_3)
	v_fmac_f32_e32 v21, v60, v80
	v_fmac_f32_e32 v22, v62, v80
	s_delay_alu instid0(VALU_DEP_3) | instskip(NEXT) | instid1(VALU_DEP_3)
	v_dual_fmac_f32 v20, v63, v80 :: v_dual_fmac_f32 v23, v57, v81
	v_fmac_f32_e32 v21, v56, v81
	s_delay_alu instid0(VALU_DEP_3) | instskip(NEXT) | instid1(VALU_DEP_3)
	v_fmac_f32_e32 v22, v58, v81
	v_dual_fmac_f32 v20, v59, v81 :: v_dual_fmac_f32 v23, v53, v82
	s_delay_alu instid0(VALU_DEP_3) | instskip(NEXT) | instid1(VALU_DEP_3)
	v_fmac_f32_e32 v21, v52, v82
	v_fmac_f32_e32 v22, v54, v82
	s_delay_alu instid0(VALU_DEP_3) | instskip(NEXT) | instid1(VALU_DEP_3)
	v_dual_fmac_f32 v20, v55, v82 :: v_dual_fmac_f32 v23, v49, v83
	v_fmac_f32_e32 v21, v48, v83
	s_delay_alu instid0(VALU_DEP_3) | instskip(SKIP_1) | instid1(VALU_DEP_3)
	v_fmac_f32_e32 v22, v50, v83
	s_waitcnt vmcnt(2)
	v_dual_fmac_f32 v20, v51, v83 :: v_dual_fmac_f32 v23, v69, v84
	s_delay_alu instid0(VALU_DEP_3) | instskip(NEXT) | instid1(VALU_DEP_3)
	v_fmac_f32_e32 v21, v68, v84
	v_fmac_f32_e32 v22, v70, v84
	s_delay_alu instid0(VALU_DEP_3) | instskip(NEXT) | instid1(VALU_DEP_3)
	v_dual_fmac_f32 v20, v71, v84 :: v_dual_fmac_f32 v23, v65, v85
	v_fmac_f32_e32 v21, v64, v85
	s_delay_alu instid0(VALU_DEP_3) | instskip(SKIP_1) | instid1(VALU_DEP_3)
	v_fmac_f32_e32 v22, v66, v85
	s_waitcnt vmcnt(1)
	v_dual_fmac_f32 v20, v67, v85 :: v_dual_fmac_f32 v23, v89, v86
	s_delay_alu instid0(VALU_DEP_3) | instskip(NEXT) | instid1(VALU_DEP_3)
	v_fmac_f32_e32 v21, v88, v86
	v_fmac_f32_e32 v22, v90, v86
	s_waitcnt vmcnt(0)
	s_delay_alu instid0(VALU_DEP_3) | instskip(NEXT) | instid1(VALU_DEP_3)
	v_dual_fmac_f32 v20, v91, v86 :: v_dual_fmac_f32 v23, v93, v87
	v_fmac_f32_e32 v21, v92, v87
	s_delay_alu instid0(VALU_DEP_3) | instskip(NEXT) | instid1(VALU_DEP_3)
	v_fmac_f32_e32 v22, v94, v87
	v_fmac_f32_e32 v20, v95, v87
	s_and_not1_b32 exec_lo, exec_lo, s6
	s_cbranch_execnz .LBB21_33
; %bb.34:
	s_or_b32 exec_lo, exec_lo, s6
.LBB21_35:
	s_delay_alu instid0(SALU_CYCLE_1)
	s_or_b32 exec_lo, exec_lo, s2
.LBB21_36:
	s_delay_alu instid0(SALU_CYCLE_1)
	s_or_b32 exec_lo, exec_lo, s3
.LBB21_37:
	v_mbcnt_lo_u32_b32 v0, -1, 0
	s_mov_b32 s2, -1
	s_delay_alu instid0(VALU_DEP_1) | instskip(SKIP_2) | instid1(VALU_DEP_3)
	v_xor_b32_e32 v1, 4, v0
	v_xor_b32_e32 v6, 2, v0
	;; [unrolled: 1-line block ×3, first 2 shown]
	v_cmp_gt_i32_e32 vcc_lo, 32, v1
	v_cndmask_b32_e32 v1, v0, v1, vcc_lo
	s_delay_alu instid0(VALU_DEP_4) | instskip(SKIP_2) | instid1(VALU_DEP_2)
	v_cmp_gt_i32_e32 vcc_lo, 32, v6
	v_cndmask_b32_e32 v6, v0, v6, vcc_lo
	v_cmp_gt_i32_e32 vcc_lo, 32, v10
	v_lshlrev_b32_e32 v6, 2, v6
	v_dual_cndmask_b32 v0, v0, v10 :: v_dual_lshlrev_b32 v1, 2, v1
	v_cmp_eq_u32_e32 vcc_lo, 7, v19
	ds_bpermute_b32 v2, v1, v21
	v_lshlrev_b32_e32 v10, 2, v0
	s_waitcnt lgkmcnt(0)
	v_add_f32_e32 v2, v21, v2
	ds_bpermute_b32 v3, v1, v23
	ds_bpermute_b32 v5, v1, v22
	ds_bpermute_b32 v1, v1, v20
	s_waitcnt lgkmcnt(2)
	v_add_f32_e32 v3, v23, v3
	s_waitcnt lgkmcnt(1)
	v_add_f32_e32 v5, v22, v5
	;; [unrolled: 2-line block ×3, first 2 shown]
	ds_bpermute_b32 v1, v6, v2
	ds_bpermute_b32 v8, v6, v3
	;; [unrolled: 1-line block ×4, first 2 shown]
	s_waitcnt lgkmcnt(2)
	v_dual_add_f32 v0, v2, v1 :: v_dual_add_f32 v1, v3, v8
	s_waitcnt lgkmcnt(0)
	v_dual_add_f32 v2, v5, v9 :: v_dual_add_f32 v3, v7, v6
	ds_bpermute_b32 v5, v10, v0
	ds_bpermute_b32 v6, v10, v1
	;; [unrolled: 1-line block ×4, first 2 shown]
	s_and_b32 exec_lo, exec_lo, vcc_lo
	s_cbranch_execz .LBB21_10
; %bb.38:
	s_load_b64 s[0:1], s[0:1], 0x50
	s_waitcnt lgkmcnt(0)
	v_dual_add_f32 v0, v0, v5 :: v_dual_add_f32 v1, v1, v6
	v_dual_add_f32 v2, v2, v7 :: v_dual_add_f32 v3, v3, v8
	v_cmp_eq_f32_e64 s3, s12, 0
	s_delay_alu instid0(VALU_DEP_3) | instskip(NEXT) | instid1(VALU_DEP_3)
	v_dual_mul_f32 v0, s16, v0 :: v_dual_mul_f32 v1, s16, v1
	v_dual_mul_f32 v2, s16, v2 :: v_dual_mul_f32 v3, s16, v3
	v_lshlrev_b32_e32 v4, 2, v4
	s_delay_alu instid0(VALU_DEP_4)
	s_and_b32 vcc_lo, exec_lo, s3
	s_cbranch_vccz .LBB21_40
; %bb.39:
	s_delay_alu instid0(VALU_DEP_1) | instskip(SKIP_1) | instid1(VALU_DEP_1)
	v_ashrrev_i32_e32 v5, 31, v4
	s_mov_b32 s2, 0
	v_lshlrev_b64 v[5:6], 2, v[4:5]
	s_delay_alu instid0(VALU_DEP_1) | instskip(NEXT) | instid1(VALU_DEP_2)
	v_add_co_u32 v5, vcc_lo, s0, v5
	v_add_co_ci_u32_e32 v6, vcc_lo, s1, v6, vcc_lo
	global_store_b128 v[5:6], v[0:3], off
.LBB21_40:
	s_and_not1_b32 vcc_lo, exec_lo, s2
	s_cbranch_vccnz .LBB21_10
; %bb.41:
	v_ashrrev_i32_e32 v5, 31, v4
	s_delay_alu instid0(VALU_DEP_1) | instskip(NEXT) | instid1(VALU_DEP_1)
	v_lshlrev_b64 v[4:5], 2, v[4:5]
	v_add_co_u32 v8, vcc_lo, s0, v4
	s_delay_alu instid0(VALU_DEP_2)
	v_add_co_ci_u32_e32 v9, vcc_lo, s1, v5, vcc_lo
	global_load_b128 v[4:7], v[8:9], off
	s_waitcnt vmcnt(0)
	v_dual_fmac_f32 v0, s12, v4 :: v_dual_fmac_f32 v1, s12, v5
	v_dual_fmac_f32 v2, s12, v6 :: v_dual_fmac_f32 v3, s12, v7
	global_store_b128 v[8:9], v[0:3], off
	s_nop 0
	s_sendmsg sendmsg(MSG_DEALLOC_VGPRS)
	s_endpgm
	.section	.rodata,"a",@progbits
	.p2align	6, 0x0
	.amdhsa_kernel _ZN9rocsparseL18bsrxmvn_4x4_kernelILj128ELj8EflifffEEvT3_20rocsparse_direction_NS_24const_host_device_scalarIT1_EES1_PKS1_PKT2_SA_S7_PKT4_PKT5_S5_PT6_21rocsparse_index_base_b
		.amdhsa_group_segment_fixed_size 0
		.amdhsa_private_segment_fixed_size 0
		.amdhsa_kernarg_size 96
		.amdhsa_user_sgpr_count 15
		.amdhsa_user_sgpr_dispatch_ptr 0
		.amdhsa_user_sgpr_queue_ptr 0
		.amdhsa_user_sgpr_kernarg_segment_ptr 1
		.amdhsa_user_sgpr_dispatch_id 0
		.amdhsa_user_sgpr_private_segment_size 0
		.amdhsa_wavefront_size32 1
		.amdhsa_uses_dynamic_stack 0
		.amdhsa_enable_private_segment 0
		.amdhsa_system_sgpr_workgroup_id_x 1
		.amdhsa_system_sgpr_workgroup_id_y 0
		.amdhsa_system_sgpr_workgroup_id_z 0
		.amdhsa_system_sgpr_workgroup_info 0
		.amdhsa_system_vgpr_workitem_id 0
		.amdhsa_next_free_vgpr 100
		.amdhsa_next_free_sgpr 20
		.amdhsa_reserve_vcc 1
		.amdhsa_float_round_mode_32 0
		.amdhsa_float_round_mode_16_64 0
		.amdhsa_float_denorm_mode_32 3
		.amdhsa_float_denorm_mode_16_64 3
		.amdhsa_dx10_clamp 1
		.amdhsa_ieee_mode 1
		.amdhsa_fp16_overflow 0
		.amdhsa_workgroup_processor_mode 1
		.amdhsa_memory_ordered 1
		.amdhsa_forward_progress 0
		.amdhsa_shared_vgpr_count 0
		.amdhsa_exception_fp_ieee_invalid_op 0
		.amdhsa_exception_fp_denorm_src 0
		.amdhsa_exception_fp_ieee_div_zero 0
		.amdhsa_exception_fp_ieee_overflow 0
		.amdhsa_exception_fp_ieee_underflow 0
		.amdhsa_exception_fp_ieee_inexact 0
		.amdhsa_exception_int_div_zero 0
	.end_amdhsa_kernel
	.section	.text._ZN9rocsparseL18bsrxmvn_4x4_kernelILj128ELj8EflifffEEvT3_20rocsparse_direction_NS_24const_host_device_scalarIT1_EES1_PKS1_PKT2_SA_S7_PKT4_PKT5_S5_PT6_21rocsparse_index_base_b,"axG",@progbits,_ZN9rocsparseL18bsrxmvn_4x4_kernelILj128ELj8EflifffEEvT3_20rocsparse_direction_NS_24const_host_device_scalarIT1_EES1_PKS1_PKT2_SA_S7_PKT4_PKT5_S5_PT6_21rocsparse_index_base_b,comdat
.Lfunc_end21:
	.size	_ZN9rocsparseL18bsrxmvn_4x4_kernelILj128ELj8EflifffEEvT3_20rocsparse_direction_NS_24const_host_device_scalarIT1_EES1_PKS1_PKT2_SA_S7_PKT4_PKT5_S5_PT6_21rocsparse_index_base_b, .Lfunc_end21-_ZN9rocsparseL18bsrxmvn_4x4_kernelILj128ELj8EflifffEEvT3_20rocsparse_direction_NS_24const_host_device_scalarIT1_EES1_PKS1_PKT2_SA_S7_PKT4_PKT5_S5_PT6_21rocsparse_index_base_b
                                        ; -- End function
	.section	.AMDGPU.csdata,"",@progbits
; Kernel info:
; codeLenInByte = 3764
; NumSgprs: 22
; NumVgprs: 100
; ScratchSize: 0
; MemoryBound: 0
; FloatMode: 240
; IeeeMode: 1
; LDSByteSize: 0 bytes/workgroup (compile time only)
; SGPRBlocks: 2
; VGPRBlocks: 12
; NumSGPRsForWavesPerEU: 22
; NumVGPRsForWavesPerEU: 100
; Occupancy: 12
; WaveLimiterHint : 1
; COMPUTE_PGM_RSRC2:SCRATCH_EN: 0
; COMPUTE_PGM_RSRC2:USER_SGPR: 15
; COMPUTE_PGM_RSRC2:TRAP_HANDLER: 0
; COMPUTE_PGM_RSRC2:TGID_X_EN: 1
; COMPUTE_PGM_RSRC2:TGID_Y_EN: 0
; COMPUTE_PGM_RSRC2:TGID_Z_EN: 0
; COMPUTE_PGM_RSRC2:TIDIG_COMP_CNT: 0
	.section	.text._ZN9rocsparseL18bsrxmvn_4x4_kernelILj128ELj16EflifffEEvT3_20rocsparse_direction_NS_24const_host_device_scalarIT1_EES1_PKS1_PKT2_SA_S7_PKT4_PKT5_S5_PT6_21rocsparse_index_base_b,"axG",@progbits,_ZN9rocsparseL18bsrxmvn_4x4_kernelILj128ELj16EflifffEEvT3_20rocsparse_direction_NS_24const_host_device_scalarIT1_EES1_PKS1_PKT2_SA_S7_PKT4_PKT5_S5_PT6_21rocsparse_index_base_b,comdat
	.globl	_ZN9rocsparseL18bsrxmvn_4x4_kernelILj128ELj16EflifffEEvT3_20rocsparse_direction_NS_24const_host_device_scalarIT1_EES1_PKS1_PKT2_SA_S7_PKT4_PKT5_S5_PT6_21rocsparse_index_base_b ; -- Begin function _ZN9rocsparseL18bsrxmvn_4x4_kernelILj128ELj16EflifffEEvT3_20rocsparse_direction_NS_24const_host_device_scalarIT1_EES1_PKS1_PKT2_SA_S7_PKT4_PKT5_S5_PT6_21rocsparse_index_base_b
	.p2align	8
	.type	_ZN9rocsparseL18bsrxmvn_4x4_kernelILj128ELj16EflifffEEvT3_20rocsparse_direction_NS_24const_host_device_scalarIT1_EES1_PKS1_PKT2_SA_S7_PKT4_PKT5_S5_PT6_21rocsparse_index_base_b,@function
_ZN9rocsparseL18bsrxmvn_4x4_kernelILj128ELj16EflifffEEvT3_20rocsparse_direction_NS_24const_host_device_scalarIT1_EES1_PKS1_PKT2_SA_S7_PKT4_PKT5_S5_PT6_21rocsparse_index_base_b: ; @_ZN9rocsparseL18bsrxmvn_4x4_kernelILj128ELj16EflifffEEvT3_20rocsparse_direction_NS_24const_host_device_scalarIT1_EES1_PKS1_PKT2_SA_S7_PKT4_PKT5_S5_PT6_21rocsparse_index_base_b
; %bb.0:
	s_clause 0x2
	s_load_b64 s[18:19], s[0:1], 0x58
	s_load_b64 s[16:17], s[0:1], 0x8
	;; [unrolled: 1-line block ×3, first 2 shown]
	s_waitcnt lgkmcnt(0)
	s_bitcmp1_b32 s19, 0
	s_cselect_b32 s2, -1, 0
	s_delay_alu instid0(SALU_CYCLE_1)
	s_and_b32 vcc_lo, exec_lo, s2
	s_xor_b32 s2, s2, -1
	s_cbranch_vccnz .LBB22_2
; %bb.1:
	s_load_b32 s16, s[16:17], 0x0
.LBB22_2:
	s_and_not1_b32 vcc_lo, exec_lo, s2
	s_cbranch_vccnz .LBB22_4
; %bb.3:
	s_load_b32 s12, s[12:13], 0x0
.LBB22_4:
	s_waitcnt lgkmcnt(0)
	v_cmp_neq_f32_e64 s2, s16, 0
	v_cmp_neq_f32_e64 s3, s12, 1.0
	s_mov_b32 s6, 0
	s_delay_alu instid0(VALU_DEP_1) | instskip(NEXT) | instid1(SALU_CYCLE_1)
	s_or_b32 s2, s2, s3
	s_and_not1_b32 vcc_lo, exec_lo, s2
	s_cbranch_vccnz .LBB22_10
; %bb.5:
	s_clause 0x1
	s_load_b64 s[4:5], s[0:1], 0x18
	s_load_b64 s[2:3], s[0:1], 0x0
	v_lshrrev_b32_e32 v1, 4, v0
	s_delay_alu instid0(VALU_DEP_1)
	v_lshl_or_b32 v4, s15, 3, v1
	s_waitcnt lgkmcnt(0)
	s_cmp_lg_u64 s[4:5], 0
	s_cbranch_scc0 .LBB22_11
; %bb.6:
	s_load_b32 s6, s[0:1], 0x10
	s_mov_b32 s7, 0
                                        ; implicit-def: $vgpr1
	s_waitcnt lgkmcnt(0)
	v_cmp_gt_i32_e32 vcc_lo, s6, v4
	s_mov_b32 s6, 0
	s_and_saveexec_b32 s8, vcc_lo
	s_delay_alu instid0(SALU_CYCLE_1)
	s_xor_b32 s8, exec_lo, s8
	s_cbranch_execz .LBB22_8
; %bb.7:
	v_ashrrev_i32_e32 v5, 31, v4
	s_mov_b32 s6, exec_lo
	s_delay_alu instid0(VALU_DEP_1) | instskip(NEXT) | instid1(VALU_DEP_1)
	v_lshlrev_b64 v[1:2], 2, v[4:5]
	v_add_co_u32 v1, vcc_lo, s4, v1
	s_delay_alu instid0(VALU_DEP_2)
	v_add_co_ci_u32_e32 v2, vcc_lo, s5, v2, vcc_lo
	global_load_b32 v1, v[1:2], off
	s_waitcnt vmcnt(0)
	v_subrev_nc_u32_e32 v1, s18, v1
.LBB22_8:
	s_or_b32 exec_lo, exec_lo, s8
	s_delay_alu instid0(SALU_CYCLE_1)
	s_and_b32 vcc_lo, exec_lo, s7
	s_cbranch_vccz .LBB22_12
.LBB22_9:
	v_cmp_gt_i32_e32 vcc_lo, s2, v4
	s_and_not1_b32 s2, s6, exec_lo
	s_and_b32 s4, vcc_lo, exec_lo
	s_delay_alu instid0(SALU_CYCLE_1) | instskip(NEXT) | instid1(SALU_CYCLE_1)
	s_or_b32 s6, s2, s4
	s_and_saveexec_b32 s2, s6
	s_cbranch_execnz .LBB22_13
.LBB22_10:
	s_nop 0
	s_sendmsg sendmsg(MSG_DEALLOC_VGPRS)
	s_endpgm
.LBB22_11:
                                        ; implicit-def: $vgpr1
	s_cbranch_execnz .LBB22_9
.LBB22_12:
	s_delay_alu instid0(VALU_DEP_1)
	v_mov_b32_e32 v4, v1
	s_and_saveexec_b32 s2, s6
	s_cbranch_execz .LBB22_10
.LBB22_13:
	s_load_b256 s[4:11], s[0:1], 0x20
	s_delay_alu instid0(VALU_DEP_1) | instskip(SKIP_1) | instid1(VALU_DEP_2)
	v_ashrrev_i32_e32 v5, 31, v4
	v_dual_mov_b32 v20, 0 :: v_dual_and_b32 v19, 15, v0
	v_lshlrev_b64 v[1:2], 3, v[4:5]
	s_waitcnt lgkmcnt(0)
	s_delay_alu instid0(VALU_DEP_1) | instskip(NEXT) | instid1(VALU_DEP_2)
	v_add_co_u32 v5, vcc_lo, s4, v1
	v_add_co_ci_u32_e32 v6, vcc_lo, s5, v2, vcc_lo
	v_add_co_u32 v1, vcc_lo, s6, v1
	v_add_co_ci_u32_e32 v2, vcc_lo, s7, v2, vcc_lo
	s_delay_alu instid0(VALU_DEP_4)
	v_add_co_u32 v3, vcc_lo, v5, 8
	global_load_b64 v[7:8], v[5:6], off
	v_add_co_ci_u32_e32 v9, vcc_lo, 0, v6, vcc_lo
	s_cmp_eq_u64 s[6:7], 0
	s_load_b64 s[4:5], s[0:1], 0x40
	s_cselect_b32 vcc_lo, -1, 0
	s_cmp_eq_u32 s3, 1
	v_dual_cndmask_b32 v2, v2, v9 :: v_dual_cndmask_b32 v1, v1, v3
	s_mov_b32 s3, 0
	global_load_b64 v[2:3], v[1:2], off
	s_waitcnt vmcnt(1)
	v_sub_co_u32 v0, vcc_lo, v7, s18
	v_subrev_co_ci_u32_e32 v1, vcc_lo, 0, v8, vcc_lo
	s_delay_alu instid0(VALU_DEP_2) | instskip(NEXT) | instid1(VALU_DEP_2)
	v_add_co_u32 v0, vcc_lo, v0, v19
	v_add_co_ci_u32_e32 v1, vcc_lo, 0, v1, vcc_lo
	s_delay_alu instid0(VALU_DEP_1) | instskip(SKIP_3) | instid1(VALU_DEP_3)
	v_lshlrev_b64 v[5:6], 6, v[0:1]
	s_waitcnt vmcnt(0)
	v_sub_co_u32 v2, vcc_lo, v2, s18
	v_subrev_co_ci_u32_e32 v3, vcc_lo, 0, v3, vcc_lo
	v_add_co_u32 v5, vcc_lo, s10, v5
	s_delay_alu instid0(VALU_DEP_2)
	v_cmp_lt_i64_e64 s2, v[0:1], v[2:3]
	v_add_co_ci_u32_e32 v6, vcc_lo, s11, v6, vcc_lo
	s_cbranch_scc1 .LBB22_25
; %bb.14:
	v_dual_mov_b32 v22, 0 :: v_dual_mov_b32 v23, 0
	v_mov_b32_e32 v21, 0
	s_delay_alu instid0(VALU_DEP_4)
	s_and_saveexec_b32 s6, s2
	s_cbranch_execz .LBB22_24
; %bb.15:
	v_or_b32_e32 v9, 16, v19
	v_not_b32_e32 v12, v7
	v_not_b32_e32 v11, v8
	v_mov_b32_e32 v23, 0
	v_dual_mov_b32 v21, 0 :: v_dual_mov_b32 v20, 0
	v_sub_co_u32 v9, s7, v9, s18
	s_delay_alu instid0(VALU_DEP_1) | instskip(SKIP_1) | instid1(VALU_DEP_3)
	v_sub_co_ci_u32_e64 v10, null, 0, 0, s7
	v_sub_co_u32 v13, s7, s18, v19
	v_add_co_u32 v9, vcc_lo, v9, v7
	s_delay_alu instid0(VALU_DEP_3) | instskip(SKIP_2) | instid1(VALU_DEP_2)
	v_add_co_ci_u32_e32 v10, vcc_lo, v10, v8, vcc_lo
	v_sub_co_ci_u32_e64 v14, null, 0, 0, s7
	s_mov_b32 s7, exec_lo
	v_cmp_gt_i64_e32 vcc_lo, v[9:10], v[2:3]
	v_mov_b32_e32 v22, 0
	v_dual_cndmask_b32 v10, v3, v10 :: v_dual_cndmask_b32 v9, v2, v9
	v_add_co_u32 v12, vcc_lo, v13, v12
	v_add_co_ci_u32_e32 v11, vcc_lo, v14, v11, vcc_lo
	s_delay_alu instid0(VALU_DEP_2) | instskip(NEXT) | instid1(VALU_DEP_2)
	v_add_co_u32 v13, vcc_lo, v12, v9
	v_add_co_ci_u32_e32 v14, vcc_lo, v11, v10, vcc_lo
	v_mov_b32_e32 v12, v6
	s_delay_alu instid0(VALU_DEP_3) | instskip(SKIP_1) | instid1(VALU_DEP_2)
	v_lshrrev_b32_e32 v9, 4, v13
	v_mov_b32_e32 v11, v5
	v_add_nc_u32_e32 v9, 1, v9
	s_delay_alu instid0(VALU_DEP_1) | instskip(SKIP_1) | instid1(VALU_DEP_2)
	v_dual_mov_b32 v10, v1 :: v_dual_and_b32 v15, 3, v9
	v_mov_b32_e32 v9, v0
	v_cmpx_ne_u32_e32 0, v15
	s_cbranch_execz .LBB22_19
; %bb.16:
	v_lshlrev_b64 v[9:10], 2, v[0:1]
	v_dual_mov_b32 v16, 0 :: v_dual_lshlrev_b32 v15, 4, v15
	v_dual_mov_b32 v12, v6 :: v_dual_mov_b32 v11, v5
	s_mov_b32 s10, 0
	s_delay_alu instid0(VALU_DEP_3) | instskip(NEXT) | instid1(VALU_DEP_4)
	v_add_co_u32 v17, vcc_lo, s8, v9
	v_add_co_ci_u32_e32 v18, vcc_lo, s9, v10, vcc_lo
	v_dual_mov_b32 v10, v1 :: v_dual_mov_b32 v9, v0
	v_mov_b32_e32 v20, v16
	v_mov_b32_e32 v22, v16
	;; [unrolled: 1-line block ×4, first 2 shown]
.LBB22_17:                              ; =>This Inner Loop Header: Depth=1
	global_load_b32 v40, v[17:18], off
	s_clause 0x3
	global_load_b128 v[24:27], v[11:12], off offset:48
	global_load_b128 v[28:31], v[11:12], off offset:32
	;; [unrolled: 1-line block ×3, first 2 shown]
	global_load_b128 v[36:39], v[11:12], off
	s_waitcnt vmcnt(4)
	v_subrev_nc_u32_e32 v40, s18, v40
	s_delay_alu instid0(VALU_DEP_1) | instskip(NEXT) | instid1(VALU_DEP_1)
	v_lshlrev_b32_e32 v40, 2, v40
	v_ashrrev_i32_e32 v41, 31, v40
	s_delay_alu instid0(VALU_DEP_1) | instskip(SKIP_1) | instid1(VALU_DEP_1)
	v_lshlrev_b64 v[40:41], 2, v[40:41]
	s_waitcnt lgkmcnt(0)
	v_add_co_u32 v40, vcc_lo, s4, v40
	s_delay_alu instid0(VALU_DEP_2)
	v_add_co_ci_u32_e32 v41, vcc_lo, s5, v41, vcc_lo
	v_add_co_u32 v11, vcc_lo, 0x400, v11
	v_add_co_ci_u32_e32 v12, vcc_lo, 0, v12, vcc_lo
	global_load_b128 v[40:43], v[40:41], off
	v_add_co_u32 v9, vcc_lo, v9, 16
	v_add_co_ci_u32_e32 v10, vcc_lo, 0, v10, vcc_lo
	v_add_co_u32 v17, vcc_lo, v17, 64
	v_add_co_ci_u32_e32 v18, vcc_lo, 0, v18, vcc_lo
	v_add_co_u32 v15, vcc_lo, v15, -16
	v_add_co_ci_u32_e32 v16, vcc_lo, -1, v16, vcc_lo
	s_delay_alu instid0(VALU_DEP_1) | instskip(SKIP_3) | instid1(VALU_DEP_1)
	v_cmp_eq_u64_e32 vcc_lo, 0, v[15:16]
	s_or_b32 s10, vcc_lo, s10
	s_waitcnt vmcnt(0)
	v_fmac_f32_e32 v20, v24, v40
	v_dual_fmac_f32 v23, v32, v40 :: v_dual_fmac_f32 v20, v25, v41
	s_delay_alu instid0(VALU_DEP_1) | instskip(NEXT) | instid1(VALU_DEP_1)
	v_dual_fmac_f32 v22, v28, v40 :: v_dual_fmac_f32 v23, v33, v41
	v_dual_fmac_f32 v21, v36, v40 :: v_dual_fmac_f32 v22, v29, v41
	s_delay_alu instid0(VALU_DEP_1) | instskip(NEXT) | instid1(VALU_DEP_1)
	v_fmac_f32_e32 v21, v37, v41
	v_fmac_f32_e32 v21, v38, v42
	s_delay_alu instid0(VALU_DEP_1) | instskip(NEXT) | instid1(VALU_DEP_1)
	v_dual_fmac_f32 v22, v30, v42 :: v_dual_fmac_f32 v21, v39, v43
	v_dual_fmac_f32 v23, v34, v42 :: v_dual_fmac_f32 v22, v31, v43
	s_delay_alu instid0(VALU_DEP_1) | instskip(NEXT) | instid1(VALU_DEP_1)
	v_dual_fmac_f32 v20, v26, v42 :: v_dual_fmac_f32 v23, v35, v43
	v_fmac_f32_e32 v20, v27, v43
	s_and_not1_b32 exec_lo, exec_lo, s10
	s_cbranch_execnz .LBB22_17
; %bb.18:
	s_or_b32 exec_lo, exec_lo, s10
.LBB22_19:
	s_delay_alu instid0(SALU_CYCLE_1) | instskip(NEXT) | instid1(SALU_CYCLE_1)
	s_or_b32 exec_lo, exec_lo, s7
	s_mov_b32 s7, exec_lo
	v_cmpx_lt_u64_e32 47, v[13:14]
	s_cbranch_execz .LBB22_23
; %bb.20:
	v_lshlrev_b64 v[13:14], 2, v[9:10]
	s_mov_b32 s10, 0
	s_delay_alu instid0(VALU_DEP_1) | instskip(NEXT) | instid1(VALU_DEP_2)
	v_add_co_u32 v13, vcc_lo, v13, s8
	v_add_co_ci_u32_e32 v14, vcc_lo, s9, v14, vcc_lo
	s_delay_alu instid0(VALU_DEP_2) | instskip(NEXT) | instid1(VALU_DEP_2)
	v_add_co_u32 v13, vcc_lo, 0x80, v13
	v_add_co_ci_u32_e32 v14, vcc_lo, 0, v14, vcc_lo
.LBB22_21:                              ; =>This Inner Loop Header: Depth=1
	s_clause 0x3
	global_load_b32 v84, v[13:14], off offset:-128
	global_load_b32 v85, v[13:14], off offset:-64
	global_load_b32 v86, v[13:14], off
	global_load_b32 v87, v[13:14], off offset:64
	s_clause 0xf
	global_load_b128 v[15:18], v[11:12], off offset:48
	global_load_b128 v[24:27], v[11:12], off offset:32
	;; [unrolled: 1-line block ×3, first 2 shown]
	global_load_b128 v[32:35], v[11:12], off
	global_load_b128 v[36:39], v[11:12], off offset:1072
	global_load_b128 v[40:43], v[11:12], off offset:1056
	global_load_b128 v[44:47], v[11:12], off offset:1040
	global_load_b128 v[48:51], v[11:12], off offset:1024
	global_load_b128 v[52:55], v[11:12], off offset:2096
	global_load_b128 v[56:59], v[11:12], off offset:2080
	global_load_b128 v[60:63], v[11:12], off offset:2064
	global_load_b128 v[64:67], v[11:12], off offset:2048
	global_load_b128 v[68:71], v[11:12], off offset:3120
	global_load_b128 v[72:75], v[11:12], off offset:3104
	global_load_b128 v[76:79], v[11:12], off offset:3088
	global_load_b128 v[80:83], v[11:12], off offset:3072
	s_waitcnt vmcnt(19)
	v_subrev_nc_u32_e32 v84, s18, v84
	s_waitcnt vmcnt(18)
	v_subrev_nc_u32_e32 v85, s18, v85
	s_waitcnt vmcnt(17)
	v_subrev_nc_u32_e32 v86, s18, v86
	s_waitcnt vmcnt(16)
	v_subrev_nc_u32_e32 v87, s18, v87
	v_lshlrev_b32_e32 v84, 2, v84
	v_lshlrev_b32_e32 v88, 2, v85
	;; [unrolled: 1-line block ×3, first 2 shown]
	s_delay_alu instid0(VALU_DEP_4) | instskip(NEXT) | instid1(VALU_DEP_4)
	v_lshlrev_b32_e32 v96, 2, v87
	v_ashrrev_i32_e32 v85, 31, v84
	s_delay_alu instid0(VALU_DEP_4) | instskip(NEXT) | instid1(VALU_DEP_2)
	v_ashrrev_i32_e32 v89, 31, v88
	v_lshlrev_b64 v[84:85], 2, v[84:85]
	s_delay_alu instid0(VALU_DEP_2) | instskip(SKIP_1) | instid1(VALU_DEP_2)
	v_lshlrev_b64 v[88:89], 2, v[88:89]
	s_waitcnt lgkmcnt(0)
	v_add_co_u32 v84, vcc_lo, s4, v84
	s_delay_alu instid0(VALU_DEP_3) | instskip(NEXT) | instid1(VALU_DEP_3)
	v_add_co_ci_u32_e32 v85, vcc_lo, s5, v85, vcc_lo
	v_add_co_u32 v88, vcc_lo, s4, v88
	s_delay_alu instid0(VALU_DEP_4)
	v_add_co_ci_u32_e32 v89, vcc_lo, s5, v89, vcc_lo
	s_clause 0x1
	global_load_b128 v[84:87], v[84:85], off
	global_load_b128 v[88:91], v[88:89], off
	s_waitcnt vmcnt(1)
	v_fmac_f32_e32 v23, v28, v84
	v_ashrrev_i32_e32 v93, 31, v92
	v_fmac_f32_e32 v21, v32, v84
	s_delay_alu instid0(VALU_DEP_3) | instskip(NEXT) | instid1(VALU_DEP_3)
	v_fmac_f32_e32 v23, v29, v85
	v_lshlrev_b64 v[92:93], 2, v[92:93]
	v_ashrrev_i32_e32 v97, 31, v96
	s_delay_alu instid0(VALU_DEP_4) | instskip(NEXT) | instid1(VALU_DEP_4)
	v_dual_fmac_f32 v20, v15, v84 :: v_dual_fmac_f32 v21, v33, v85
	v_dual_fmac_f32 v23, v30, v86 :: v_dual_fmac_f32 v22, v24, v84
	s_delay_alu instid0(VALU_DEP_4) | instskip(NEXT) | instid1(VALU_DEP_3)
	v_add_co_u32 v92, vcc_lo, s4, v92
	v_fmac_f32_e32 v21, v34, v86
	v_add_co_ci_u32_e32 v93, vcc_lo, s5, v93, vcc_lo
	v_lshlrev_b64 v[96:97], 2, v[96:97]
	s_delay_alu instid0(VALU_DEP_3)
	v_dual_fmac_f32 v22, v25, v85 :: v_dual_fmac_f32 v21, v35, v87
	global_load_b128 v[92:95], v[92:93], off
	v_dual_fmac_f32 v20, v16, v85 :: v_dual_fmac_f32 v23, v31, v87
	v_add_co_u32 v96, vcc_lo, s4, v96
	v_add_co_ci_u32_e32 v97, vcc_lo, s5, v97, vcc_lo
	s_waitcnt vmcnt(1)
	v_dual_fmac_f32 v22, v26, v86 :: v_dual_fmac_f32 v21, v48, v88
	v_dual_fmac_f32 v20, v17, v86 :: v_dual_fmac_f32 v23, v44, v88
	global_load_b128 v[96:99], v[96:97], off
	v_dual_fmac_f32 v22, v27, v87 :: v_dual_fmac_f32 v21, v49, v89
	v_dual_fmac_f32 v20, v18, v87 :: v_dual_fmac_f32 v23, v45, v89
	v_add_co_u32 v11, vcc_lo, 0x1000, v11
	s_delay_alu instid0(VALU_DEP_3) | instskip(NEXT) | instid1(VALU_DEP_3)
	v_dual_fmac_f32 v22, v40, v88 :: v_dual_fmac_f32 v21, v50, v90
	v_dual_fmac_f32 v20, v36, v88 :: v_dual_fmac_f32 v23, v46, v90
	v_add_co_ci_u32_e32 v12, vcc_lo, 0, v12, vcc_lo
	s_delay_alu instid0(VALU_DEP_3) | instskip(NEXT) | instid1(VALU_DEP_3)
	v_dual_fmac_f32 v22, v41, v89 :: v_dual_fmac_f32 v21, v51, v91
	v_dual_fmac_f32 v20, v37, v89 :: v_dual_fmac_f32 v23, v47, v91
	v_add_co_u32 v9, vcc_lo, v9, 64
	s_delay_alu instid0(VALU_DEP_3) | instskip(NEXT) | instid1(VALU_DEP_3)
	v_fmac_f32_e32 v22, v42, v90
	v_fmac_f32_e32 v20, v38, v90
	v_add_co_ci_u32_e32 v10, vcc_lo, 0, v10, vcc_lo
	v_add_co_u32 v13, vcc_lo, 0x100, v13
	v_add_co_ci_u32_e32 v14, vcc_lo, 0, v14, vcc_lo
	s_delay_alu instid0(VALU_DEP_3) | instskip(SKIP_4) | instid1(VALU_DEP_2)
	v_cmp_ge_i64_e32 vcc_lo, v[9:10], v[2:3]
	s_or_b32 s10, vcc_lo, s10
	s_waitcnt vmcnt(1)
	v_dual_fmac_f32 v23, v60, v92 :: v_dual_fmac_f32 v20, v39, v91
	v_dual_fmac_f32 v21, v64, v92 :: v_dual_fmac_f32 v22, v43, v91
	;; [unrolled: 1-line block ×3, first 2 shown]
	s_delay_alu instid0(VALU_DEP_2) | instskip(NEXT) | instid1(VALU_DEP_2)
	v_dual_fmac_f32 v21, v65, v93 :: v_dual_fmac_f32 v22, v56, v92
	v_dual_fmac_f32 v23, v62, v94 :: v_dual_fmac_f32 v20, v53, v93
	s_delay_alu instid0(VALU_DEP_2) | instskip(NEXT) | instid1(VALU_DEP_2)
	v_dual_fmac_f32 v21, v66, v94 :: v_dual_fmac_f32 v22, v57, v93
	v_dual_fmac_f32 v23, v63, v95 :: v_dual_fmac_f32 v20, v54, v94
	s_delay_alu instid0(VALU_DEP_2) | instskip(SKIP_1) | instid1(VALU_DEP_2)
	v_dual_fmac_f32 v21, v67, v95 :: v_dual_fmac_f32 v22, v58, v94
	s_waitcnt vmcnt(0)
	v_dual_fmac_f32 v23, v76, v96 :: v_dual_fmac_f32 v20, v55, v95
	s_delay_alu instid0(VALU_DEP_2) | instskip(NEXT) | instid1(VALU_DEP_2)
	v_dual_fmac_f32 v21, v80, v96 :: v_dual_fmac_f32 v22, v59, v95
	v_dual_fmac_f32 v23, v77, v97 :: v_dual_fmac_f32 v20, v68, v96
	s_delay_alu instid0(VALU_DEP_2) | instskip(NEXT) | instid1(VALU_DEP_2)
	v_dual_fmac_f32 v21, v81, v97 :: v_dual_fmac_f32 v22, v72, v96
	v_dual_fmac_f32 v23, v78, v98 :: v_dual_fmac_f32 v20, v69, v97
	s_delay_alu instid0(VALU_DEP_2) | instskip(NEXT) | instid1(VALU_DEP_2)
	v_dual_fmac_f32 v21, v82, v98 :: v_dual_fmac_f32 v22, v73, v97
	v_dual_fmac_f32 v23, v79, v99 :: v_dual_fmac_f32 v20, v70, v98
	s_delay_alu instid0(VALU_DEP_2) | instskip(NEXT) | instid1(VALU_DEP_2)
	v_dual_fmac_f32 v21, v83, v99 :: v_dual_fmac_f32 v22, v74, v98
	v_fmac_f32_e32 v20, v71, v99
	s_delay_alu instid0(VALU_DEP_2)
	v_fmac_f32_e32 v22, v75, v99
	s_and_not1_b32 exec_lo, exec_lo, s10
	s_cbranch_execnz .LBB22_21
; %bb.22:
	s_or_b32 exec_lo, exec_lo, s10
.LBB22_23:
	s_delay_alu instid0(SALU_CYCLE_1)
	s_or_b32 exec_lo, exec_lo, s7
.LBB22_24:
	s_delay_alu instid0(SALU_CYCLE_1) | instskip(NEXT) | instid1(SALU_CYCLE_1)
	s_or_b32 exec_lo, exec_lo, s6
	s_and_not1_b32 vcc_lo, exec_lo, s3
	s_cbranch_vccz .LBB22_26
	s_branch .LBB22_37
.LBB22_25:
                                        ; implicit-def: $vgpr20
                                        ; implicit-def: $vgpr22
                                        ; implicit-def: $vgpr23
                                        ; implicit-def: $vgpr21
.LBB22_26:
	v_dual_mov_b32 v20, 0 :: v_dual_mov_b32 v23, 0
	v_dual_mov_b32 v22, 0 :: v_dual_mov_b32 v21, 0
	s_delay_alu instid0(VALU_DEP_4)
	s_and_saveexec_b32 s3, s2
	s_cbranch_execz .LBB22_36
; %bb.27:
	v_or_b32_e32 v9, 16, v19
	v_mov_b32_e32 v21, 0
	v_dual_mov_b32 v23, 0 :: v_dual_mov_b32 v22, 0
	v_mov_b32_e32 v20, 0
	s_delay_alu instid0(VALU_DEP_4) | instskip(NEXT) | instid1(VALU_DEP_1)
	v_sub_co_u32 v9, s2, v9, s18
	v_sub_co_ci_u32_e64 v10, null, 0, 0, s2
	v_sub_co_u32 v11, s2, s18, v19
	s_delay_alu instid0(VALU_DEP_3) | instskip(NEXT) | instid1(VALU_DEP_3)
	v_add_co_u32 v9, vcc_lo, v9, v7
	v_add_co_ci_u32_e32 v10, vcc_lo, v10, v8, vcc_lo
	v_not_b32_e32 v7, v7
	v_not_b32_e32 v8, v8
	v_sub_co_ci_u32_e64 v12, null, 0, 0, s2
	s_delay_alu instid0(VALU_DEP_4) | instskip(SKIP_4) | instid1(VALU_DEP_2)
	v_cmp_gt_i64_e32 vcc_lo, v[9:10], v[2:3]
	s_mov_b32 s2, exec_lo
	v_dual_cndmask_b32 v10, v3, v10 :: v_dual_cndmask_b32 v9, v2, v9
	v_add_co_u32 v7, vcc_lo, v11, v7
	v_add_co_ci_u32_e32 v8, vcc_lo, v12, v8, vcc_lo
	v_add_co_u32 v7, vcc_lo, v7, v9
	s_delay_alu instid0(VALU_DEP_2) | instskip(NEXT) | instid1(VALU_DEP_2)
	v_add_co_ci_u32_e32 v8, vcc_lo, v8, v10, vcc_lo
	v_lshrrev_b32_e32 v9, 4, v7
	s_delay_alu instid0(VALU_DEP_1) | instskip(NEXT) | instid1(VALU_DEP_1)
	v_add_nc_u32_e32 v9, 1, v9
	v_and_b32_e32 v9, 3, v9
	s_delay_alu instid0(VALU_DEP_1)
	v_cmpx_ne_u32_e32 0, v9
	s_cbranch_execz .LBB22_31
; %bb.28:
	v_lshlrev_b64 v[11:12], 2, v[0:1]
	v_dual_mov_b32 v10, 0 :: v_dual_lshlrev_b32 v9, 4, v9
	s_mov_b32 s6, 0
	s_delay_alu instid0(VALU_DEP_1) | instskip(NEXT) | instid1(VALU_DEP_3)
	v_mov_b32_e32 v20, v10
	v_add_co_u32 v11, vcc_lo, s8, v11
	s_delay_alu instid0(VALU_DEP_4)
	v_add_co_ci_u32_e32 v12, vcc_lo, s9, v12, vcc_lo
	v_mov_b32_e32 v22, v10
	v_mov_b32_e32 v23, v10
	;; [unrolled: 1-line block ×3, first 2 shown]
.LBB22_29:                              ; =>This Inner Loop Header: Depth=1
	global_load_b32 v17, v[11:12], off
	s_clause 0x1
	global_load_b128 v[13:16], v[5:6], off offset:16
	global_load_b128 v[24:27], v[5:6], off
	s_waitcnt vmcnt(2)
	v_subrev_nc_u32_e32 v17, s18, v17
	s_delay_alu instid0(VALU_DEP_1) | instskip(NEXT) | instid1(VALU_DEP_1)
	v_lshlrev_b32_e32 v17, 2, v17
	v_ashrrev_i32_e32 v18, 31, v17
	s_delay_alu instid0(VALU_DEP_1) | instskip(SKIP_1) | instid1(VALU_DEP_1)
	v_lshlrev_b64 v[17:18], 2, v[17:18]
	s_waitcnt lgkmcnt(0)
	v_add_co_u32 v17, vcc_lo, s4, v17
	s_delay_alu instid0(VALU_DEP_2)
	v_add_co_ci_u32_e32 v18, vcc_lo, s5, v18, vcc_lo
	global_load_b128 v[28:31], v[17:18], off
	s_clause 0x1
	global_load_b128 v[32:35], v[5:6], off offset:32
	global_load_b128 v[36:39], v[5:6], off offset:48
	v_add_co_u32 v5, vcc_lo, 0x400, v5
	v_add_co_ci_u32_e32 v6, vcc_lo, 0, v6, vcc_lo
	v_add_co_u32 v0, vcc_lo, v0, 16
	v_add_co_ci_u32_e32 v1, vcc_lo, 0, v1, vcc_lo
	;; [unrolled: 2-line block ×3, first 2 shown]
	v_add_co_u32 v9, vcc_lo, v9, -16
	v_add_co_ci_u32_e32 v10, vcc_lo, -1, v10, vcc_lo
	s_delay_alu instid0(VALU_DEP_1) | instskip(SKIP_3) | instid1(VALU_DEP_1)
	v_cmp_eq_u64_e32 vcc_lo, 0, v[9:10]
	s_or_b32 s6, vcc_lo, s6
	s_waitcnt vmcnt(2)
	v_fmac_f32_e32 v22, v26, v28
	v_dual_fmac_f32 v21, v24, v28 :: v_dual_fmac_f32 v22, v15, v29
	s_delay_alu instid0(VALU_DEP_1) | instskip(SKIP_1) | instid1(VALU_DEP_2)
	v_dual_fmac_f32 v20, v27, v28 :: v_dual_fmac_f32 v21, v13, v29
	s_waitcnt vmcnt(1)
	v_dual_fmac_f32 v23, v25, v28 :: v_dual_fmac_f32 v22, v34, v30
	s_delay_alu instid0(VALU_DEP_2) | instskip(NEXT) | instid1(VALU_DEP_3)
	v_fmac_f32_e32 v20, v16, v29
	v_fmac_f32_e32 v21, v32, v30
	s_delay_alu instid0(VALU_DEP_3) | instskip(SKIP_2) | instid1(VALU_DEP_3)
	v_fmac_f32_e32 v23, v14, v29
	s_waitcnt vmcnt(0)
	v_fmac_f32_e32 v22, v38, v31
	v_dual_fmac_f32 v20, v35, v30 :: v_dual_fmac_f32 v21, v36, v31
	s_delay_alu instid0(VALU_DEP_1) | instskip(NEXT) | instid1(VALU_DEP_1)
	v_dual_fmac_f32 v23, v33, v30 :: v_dual_fmac_f32 v20, v39, v31
	v_fmac_f32_e32 v23, v37, v31
	s_and_not1_b32 exec_lo, exec_lo, s6
	s_cbranch_execnz .LBB22_29
; %bb.30:
	s_or_b32 exec_lo, exec_lo, s6
.LBB22_31:
	s_delay_alu instid0(SALU_CYCLE_1) | instskip(NEXT) | instid1(SALU_CYCLE_1)
	s_or_b32 exec_lo, exec_lo, s2
	s_mov_b32 s2, exec_lo
	v_cmpx_lt_u64_e32 47, v[7:8]
	s_cbranch_execz .LBB22_35
; %bb.32:
	v_lshlrev_b64 v[7:8], 2, v[0:1]
	s_mov_b32 s6, 0
	s_delay_alu instid0(VALU_DEP_1) | instskip(NEXT) | instid1(VALU_DEP_2)
	v_add_co_u32 v7, vcc_lo, v7, s8
	v_add_co_ci_u32_e32 v8, vcc_lo, s9, v8, vcc_lo
	s_delay_alu instid0(VALU_DEP_2) | instskip(NEXT) | instid1(VALU_DEP_2)
	v_add_co_u32 v7, vcc_lo, 0x80, v7
	v_add_co_ci_u32_e32 v8, vcc_lo, 0, v8, vcc_lo
.LBB22_33:                              ; =>This Inner Loop Header: Depth=1
	s_clause 0x3
	global_load_b32 v17, v[7:8], off offset:-128
	global_load_b32 v18, v[7:8], off offset:-64
	global_load_b32 v72, v[7:8], off
	global_load_b32 v73, v[7:8], off offset:64
	s_clause 0xd
	global_load_b128 v[9:12], v[5:6], off offset:48
	global_load_b128 v[13:16], v[5:6], off offset:32
	;; [unrolled: 1-line block ×3, first 2 shown]
	global_load_b128 v[28:31], v[5:6], off
	global_load_b128 v[32:35], v[5:6], off offset:1072
	global_load_b128 v[36:39], v[5:6], off offset:1056
	;; [unrolled: 1-line block ×10, first 2 shown]
	s_waitcnt vmcnt(17)
	v_subrev_nc_u32_e32 v17, s18, v17
	s_waitcnt vmcnt(16)
	v_subrev_nc_u32_e32 v18, s18, v18
	;; [unrolled: 2-line block ×4, first 2 shown]
	v_lshlrev_b32_e32 v17, 2, v17
	v_lshlrev_b32_e32 v76, 2, v18
	;; [unrolled: 1-line block ×3, first 2 shown]
	s_delay_alu instid0(VALU_DEP_4) | instskip(NEXT) | instid1(VALU_DEP_4)
	v_lshlrev_b32_e32 v84, 2, v73
	v_ashrrev_i32_e32 v18, 31, v17
	s_delay_alu instid0(VALU_DEP_1) | instskip(SKIP_1) | instid1(VALU_DEP_1)
	v_lshlrev_b64 v[17:18], 2, v[17:18]
	s_waitcnt lgkmcnt(0)
	v_add_co_u32 v17, vcc_lo, s4, v17
	s_delay_alu instid0(VALU_DEP_2)
	v_add_co_ci_u32_e32 v18, vcc_lo, s5, v18, vcc_lo
	global_load_b128 v[72:75], v[17:18], off
	s_waitcnt vmcnt(0)
	v_fmac_f32_e32 v23, v29, v72
	v_fmac_f32_e32 v21, v28, v72
	v_ashrrev_i32_e32 v77, 31, v76
	v_ashrrev_i32_e32 v85, 31, v84
	v_fmac_f32_e32 v22, v30, v72
	v_dual_fmac_f32 v20, v31, v72 :: v_dual_fmac_f32 v23, v25, v73
	s_delay_alu instid0(VALU_DEP_4)
	v_lshlrev_b64 v[17:18], 2, v[76:77]
	v_fmac_f32_e32 v21, v24, v73
	v_ashrrev_i32_e32 v81, 31, v80
	v_fmac_f32_e32 v22, v26, v73
	v_dual_fmac_f32 v20, v27, v73 :: v_dual_fmac_f32 v23, v14, v74
	v_add_co_u32 v17, vcc_lo, s4, v17
	v_add_co_ci_u32_e32 v18, vcc_lo, s5, v18, vcc_lo
	v_fmac_f32_e32 v21, v13, v74
	v_fmac_f32_e32 v22, v15, v74
	v_dual_fmac_f32 v20, v16, v74 :: v_dual_fmac_f32 v23, v10, v75
	global_load_b128 v[76:79], v[17:18], off
	v_lshlrev_b64 v[17:18], 2, v[80:81]
	v_fmac_f32_e32 v21, v9, v75
	v_fmac_f32_e32 v22, v11, v75
	;; [unrolled: 1-line block ×3, first 2 shown]
	s_delay_alu instid0(VALU_DEP_4) | instskip(SKIP_3) | instid1(VALU_DEP_1)
	v_add_co_u32 v17, vcc_lo, s4, v17
	v_add_co_ci_u32_e32 v18, vcc_lo, s5, v18, vcc_lo
	global_load_b128 v[80:83], v[17:18], off
	v_lshlrev_b64 v[17:18], 2, v[84:85]
	v_add_co_u32 v17, vcc_lo, s4, v17
	s_delay_alu instid0(VALU_DEP_2)
	v_add_co_ci_u32_e32 v18, vcc_lo, s5, v18, vcc_lo
	global_load_b128 v[84:87], v[17:18], off
	s_clause 0x1
	global_load_b128 v[88:91], v[5:6], off offset:3104
	global_load_b128 v[92:95], v[5:6], off offset:3120
	v_add_co_u32 v5, vcc_lo, 0x1000, v5
	v_add_co_ci_u32_e32 v6, vcc_lo, 0, v6, vcc_lo
	v_add_co_u32 v0, vcc_lo, v0, 64
	v_add_co_ci_u32_e32 v1, vcc_lo, 0, v1, vcc_lo
	;; [unrolled: 2-line block ×3, first 2 shown]
	s_delay_alu instid0(VALU_DEP_3)
	v_cmp_ge_i64_e32 vcc_lo, v[0:1], v[2:3]
	s_or_b32 s6, vcc_lo, s6
	s_waitcnt vmcnt(4)
	v_fmac_f32_e32 v23, v45, v76
	v_fmac_f32_e32 v21, v44, v76
	;; [unrolled: 1-line block ×3, first 2 shown]
	s_delay_alu instid0(VALU_DEP_3) | instskip(NEXT) | instid1(VALU_DEP_3)
	v_dual_fmac_f32 v20, v47, v76 :: v_dual_fmac_f32 v23, v41, v77
	v_fmac_f32_e32 v21, v40, v77
	s_delay_alu instid0(VALU_DEP_3) | instskip(NEXT) | instid1(VALU_DEP_3)
	v_fmac_f32_e32 v22, v42, v77
	v_dual_fmac_f32 v20, v43, v77 :: v_dual_fmac_f32 v23, v37, v78
	s_delay_alu instid0(VALU_DEP_3) | instskip(NEXT) | instid1(VALU_DEP_3)
	v_fmac_f32_e32 v21, v36, v78
	v_fmac_f32_e32 v22, v38, v78
	s_delay_alu instid0(VALU_DEP_3) | instskip(NEXT) | instid1(VALU_DEP_3)
	v_dual_fmac_f32 v20, v39, v78 :: v_dual_fmac_f32 v23, v33, v79
	v_fmac_f32_e32 v21, v32, v79
	s_delay_alu instid0(VALU_DEP_3) | instskip(SKIP_1) | instid1(VALU_DEP_3)
	v_fmac_f32_e32 v22, v34, v79
	s_waitcnt vmcnt(3)
	v_dual_fmac_f32 v20, v35, v79 :: v_dual_fmac_f32 v23, v61, v80
	s_delay_alu instid0(VALU_DEP_3) | instskip(NEXT) | instid1(VALU_DEP_3)
	v_fmac_f32_e32 v21, v60, v80
	v_fmac_f32_e32 v22, v62, v80
	s_delay_alu instid0(VALU_DEP_3) | instskip(NEXT) | instid1(VALU_DEP_3)
	v_dual_fmac_f32 v20, v63, v80 :: v_dual_fmac_f32 v23, v57, v81
	v_fmac_f32_e32 v21, v56, v81
	s_delay_alu instid0(VALU_DEP_3) | instskip(NEXT) | instid1(VALU_DEP_3)
	v_fmac_f32_e32 v22, v58, v81
	v_dual_fmac_f32 v20, v59, v81 :: v_dual_fmac_f32 v23, v53, v82
	s_delay_alu instid0(VALU_DEP_3) | instskip(NEXT) | instid1(VALU_DEP_3)
	v_fmac_f32_e32 v21, v52, v82
	v_fmac_f32_e32 v22, v54, v82
	s_delay_alu instid0(VALU_DEP_3) | instskip(NEXT) | instid1(VALU_DEP_3)
	v_dual_fmac_f32 v20, v55, v82 :: v_dual_fmac_f32 v23, v49, v83
	v_fmac_f32_e32 v21, v48, v83
	s_delay_alu instid0(VALU_DEP_3) | instskip(SKIP_1) | instid1(VALU_DEP_3)
	v_fmac_f32_e32 v22, v50, v83
	s_waitcnt vmcnt(2)
	v_dual_fmac_f32 v20, v51, v83 :: v_dual_fmac_f32 v23, v69, v84
	s_delay_alu instid0(VALU_DEP_3) | instskip(NEXT) | instid1(VALU_DEP_3)
	v_fmac_f32_e32 v21, v68, v84
	v_fmac_f32_e32 v22, v70, v84
	s_delay_alu instid0(VALU_DEP_3) | instskip(NEXT) | instid1(VALU_DEP_3)
	v_dual_fmac_f32 v20, v71, v84 :: v_dual_fmac_f32 v23, v65, v85
	v_fmac_f32_e32 v21, v64, v85
	s_delay_alu instid0(VALU_DEP_3) | instskip(SKIP_1) | instid1(VALU_DEP_3)
	v_fmac_f32_e32 v22, v66, v85
	s_waitcnt vmcnt(1)
	v_dual_fmac_f32 v20, v67, v85 :: v_dual_fmac_f32 v23, v89, v86
	s_delay_alu instid0(VALU_DEP_3) | instskip(NEXT) | instid1(VALU_DEP_3)
	v_fmac_f32_e32 v21, v88, v86
	v_fmac_f32_e32 v22, v90, v86
	s_waitcnt vmcnt(0)
	s_delay_alu instid0(VALU_DEP_3) | instskip(NEXT) | instid1(VALU_DEP_3)
	v_dual_fmac_f32 v20, v91, v86 :: v_dual_fmac_f32 v23, v93, v87
	v_fmac_f32_e32 v21, v92, v87
	s_delay_alu instid0(VALU_DEP_3) | instskip(NEXT) | instid1(VALU_DEP_3)
	v_fmac_f32_e32 v22, v94, v87
	v_fmac_f32_e32 v20, v95, v87
	s_and_not1_b32 exec_lo, exec_lo, s6
	s_cbranch_execnz .LBB22_33
; %bb.34:
	s_or_b32 exec_lo, exec_lo, s6
.LBB22_35:
	s_delay_alu instid0(SALU_CYCLE_1)
	s_or_b32 exec_lo, exec_lo, s2
.LBB22_36:
	s_delay_alu instid0(SALU_CYCLE_1)
	s_or_b32 exec_lo, exec_lo, s3
.LBB22_37:
	v_mbcnt_lo_u32_b32 v0, -1, 0
	s_mov_b32 s2, -1
	s_delay_alu instid0(VALU_DEP_1) | instskip(SKIP_2) | instid1(VALU_DEP_3)
	v_xor_b32_e32 v1, 8, v0
	v_xor_b32_e32 v6, 4, v0
	v_xor_b32_e32 v10, 2, v0
	v_cmp_gt_i32_e32 vcc_lo, 32, v1
	v_cndmask_b32_e32 v1, v0, v1, vcc_lo
	s_delay_alu instid0(VALU_DEP_4) | instskip(SKIP_2) | instid1(VALU_DEP_2)
	v_cmp_gt_i32_e32 vcc_lo, 32, v6
	v_cndmask_b32_e32 v6, v0, v6, vcc_lo
	v_cmp_gt_i32_e32 vcc_lo, 32, v10
	v_lshlrev_b32_e32 v6, 2, v6
	v_dual_cndmask_b32 v10, v0, v10 :: v_dual_lshlrev_b32 v1, 2, v1
	ds_bpermute_b32 v2, v1, v21
	v_lshlrev_b32_e32 v10, 2, v10
	s_waitcnt lgkmcnt(0)
	v_add_f32_e32 v2, v21, v2
	ds_bpermute_b32 v3, v1, v23
	ds_bpermute_b32 v5, v1, v22
	;; [unrolled: 1-line block ×4, first 2 shown]
	s_waitcnt lgkmcnt(3)
	v_add_f32_e32 v3, v23, v3
	s_waitcnt lgkmcnt(2)
	v_add_f32_e32 v5, v22, v5
	s_waitcnt lgkmcnt(1)
	v_add_f32_e32 v1, v20, v1
	ds_bpermute_b32 v8, v6, v3
	ds_bpermute_b32 v9, v6, v5
	;; [unrolled: 1-line block ×3, first 2 shown]
	s_waitcnt lgkmcnt(2)
	v_dual_add_f32 v2, v2, v7 :: v_dual_add_f32 v3, v3, v8
	s_waitcnt lgkmcnt(1)
	v_add_f32_e32 v5, v5, v9
	ds_bpermute_b32 v7, v10, v3
	s_waitcnt lgkmcnt(1)
	v_add_f32_e32 v6, v1, v6
	ds_bpermute_b32 v1, v10, v2
	ds_bpermute_b32 v8, v10, v5
	;; [unrolled: 1-line block ×3, first 2 shown]
	v_xor_b32_e32 v10, 1, v0
	s_delay_alu instid0(VALU_DEP_1) | instskip(SKIP_2) | instid1(VALU_DEP_2)
	v_cmp_gt_i32_e32 vcc_lo, 32, v10
	v_cndmask_b32_e32 v0, v0, v10, vcc_lo
	v_cmp_eq_u32_e32 vcc_lo, 15, v19
	v_lshlrev_b32_e32 v10, 2, v0
	s_waitcnt lgkmcnt(2)
	v_dual_add_f32 v0, v2, v1 :: v_dual_add_f32 v1, v3, v7
	s_waitcnt lgkmcnt(0)
	v_dual_add_f32 v2, v5, v8 :: v_dual_add_f32 v3, v6, v9
	ds_bpermute_b32 v5, v10, v0
	ds_bpermute_b32 v6, v10, v1
	;; [unrolled: 1-line block ×4, first 2 shown]
	s_and_b32 exec_lo, exec_lo, vcc_lo
	s_cbranch_execz .LBB22_10
; %bb.38:
	s_load_b64 s[0:1], s[0:1], 0x50
	s_waitcnt lgkmcnt(0)
	v_dual_add_f32 v0, v0, v5 :: v_dual_add_f32 v1, v1, v6
	v_dual_add_f32 v2, v2, v7 :: v_dual_add_f32 v3, v3, v8
	v_cmp_eq_f32_e64 s3, s12, 0
	s_delay_alu instid0(VALU_DEP_3) | instskip(NEXT) | instid1(VALU_DEP_3)
	v_dual_mul_f32 v0, s16, v0 :: v_dual_mul_f32 v1, s16, v1
	v_dual_mul_f32 v2, s16, v2 :: v_dual_mul_f32 v3, s16, v3
	v_lshlrev_b32_e32 v4, 2, v4
	s_delay_alu instid0(VALU_DEP_4)
	s_and_b32 vcc_lo, exec_lo, s3
	s_cbranch_vccz .LBB22_40
; %bb.39:
	s_delay_alu instid0(VALU_DEP_1) | instskip(SKIP_1) | instid1(VALU_DEP_1)
	v_ashrrev_i32_e32 v5, 31, v4
	s_mov_b32 s2, 0
	v_lshlrev_b64 v[5:6], 2, v[4:5]
	s_delay_alu instid0(VALU_DEP_1) | instskip(NEXT) | instid1(VALU_DEP_2)
	v_add_co_u32 v5, vcc_lo, s0, v5
	v_add_co_ci_u32_e32 v6, vcc_lo, s1, v6, vcc_lo
	global_store_b128 v[5:6], v[0:3], off
.LBB22_40:
	s_and_not1_b32 vcc_lo, exec_lo, s2
	s_cbranch_vccnz .LBB22_10
; %bb.41:
	v_ashrrev_i32_e32 v5, 31, v4
	s_delay_alu instid0(VALU_DEP_1) | instskip(NEXT) | instid1(VALU_DEP_1)
	v_lshlrev_b64 v[4:5], 2, v[4:5]
	v_add_co_u32 v8, vcc_lo, s0, v4
	s_delay_alu instid0(VALU_DEP_2)
	v_add_co_ci_u32_e32 v9, vcc_lo, s1, v5, vcc_lo
	global_load_b128 v[4:7], v[8:9], off
	s_waitcnt vmcnt(0)
	v_dual_fmac_f32 v0, s12, v4 :: v_dual_fmac_f32 v1, s12, v5
	v_dual_fmac_f32 v2, s12, v6 :: v_dual_fmac_f32 v3, s12, v7
	global_store_b128 v[8:9], v[0:3], off
	s_nop 0
	s_sendmsg sendmsg(MSG_DEALLOC_VGPRS)
	s_endpgm
	.section	.rodata,"a",@progbits
	.p2align	6, 0x0
	.amdhsa_kernel _ZN9rocsparseL18bsrxmvn_4x4_kernelILj128ELj16EflifffEEvT3_20rocsparse_direction_NS_24const_host_device_scalarIT1_EES1_PKS1_PKT2_SA_S7_PKT4_PKT5_S5_PT6_21rocsparse_index_base_b
		.amdhsa_group_segment_fixed_size 0
		.amdhsa_private_segment_fixed_size 0
		.amdhsa_kernarg_size 96
		.amdhsa_user_sgpr_count 15
		.amdhsa_user_sgpr_dispatch_ptr 0
		.amdhsa_user_sgpr_queue_ptr 0
		.amdhsa_user_sgpr_kernarg_segment_ptr 1
		.amdhsa_user_sgpr_dispatch_id 0
		.amdhsa_user_sgpr_private_segment_size 0
		.amdhsa_wavefront_size32 1
		.amdhsa_uses_dynamic_stack 0
		.amdhsa_enable_private_segment 0
		.amdhsa_system_sgpr_workgroup_id_x 1
		.amdhsa_system_sgpr_workgroup_id_y 0
		.amdhsa_system_sgpr_workgroup_id_z 0
		.amdhsa_system_sgpr_workgroup_info 0
		.amdhsa_system_vgpr_workitem_id 0
		.amdhsa_next_free_vgpr 100
		.amdhsa_next_free_sgpr 20
		.amdhsa_reserve_vcc 1
		.amdhsa_float_round_mode_32 0
		.amdhsa_float_round_mode_16_64 0
		.amdhsa_float_denorm_mode_32 3
		.amdhsa_float_denorm_mode_16_64 3
		.amdhsa_dx10_clamp 1
		.amdhsa_ieee_mode 1
		.amdhsa_fp16_overflow 0
		.amdhsa_workgroup_processor_mode 1
		.amdhsa_memory_ordered 1
		.amdhsa_forward_progress 0
		.amdhsa_shared_vgpr_count 0
		.amdhsa_exception_fp_ieee_invalid_op 0
		.amdhsa_exception_fp_denorm_src 0
		.amdhsa_exception_fp_ieee_div_zero 0
		.amdhsa_exception_fp_ieee_overflow 0
		.amdhsa_exception_fp_ieee_underflow 0
		.amdhsa_exception_fp_ieee_inexact 0
		.amdhsa_exception_int_div_zero 0
	.end_amdhsa_kernel
	.section	.text._ZN9rocsparseL18bsrxmvn_4x4_kernelILj128ELj16EflifffEEvT3_20rocsparse_direction_NS_24const_host_device_scalarIT1_EES1_PKS1_PKT2_SA_S7_PKT4_PKT5_S5_PT6_21rocsparse_index_base_b,"axG",@progbits,_ZN9rocsparseL18bsrxmvn_4x4_kernelILj128ELj16EflifffEEvT3_20rocsparse_direction_NS_24const_host_device_scalarIT1_EES1_PKS1_PKT2_SA_S7_PKT4_PKT5_S5_PT6_21rocsparse_index_base_b,comdat
.Lfunc_end22:
	.size	_ZN9rocsparseL18bsrxmvn_4x4_kernelILj128ELj16EflifffEEvT3_20rocsparse_direction_NS_24const_host_device_scalarIT1_EES1_PKS1_PKT2_SA_S7_PKT4_PKT5_S5_PT6_21rocsparse_index_base_b, .Lfunc_end22-_ZN9rocsparseL18bsrxmvn_4x4_kernelILj128ELj16EflifffEEvT3_20rocsparse_direction_NS_24const_host_device_scalarIT1_EES1_PKS1_PKT2_SA_S7_PKT4_PKT5_S5_PT6_21rocsparse_index_base_b
                                        ; -- End function
	.section	.AMDGPU.csdata,"",@progbits
; Kernel info:
; codeLenInByte = 3852
; NumSgprs: 22
; NumVgprs: 100
; ScratchSize: 0
; MemoryBound: 0
; FloatMode: 240
; IeeeMode: 1
; LDSByteSize: 0 bytes/workgroup (compile time only)
; SGPRBlocks: 2
; VGPRBlocks: 12
; NumSGPRsForWavesPerEU: 22
; NumVGPRsForWavesPerEU: 100
; Occupancy: 12
; WaveLimiterHint : 1
; COMPUTE_PGM_RSRC2:SCRATCH_EN: 0
; COMPUTE_PGM_RSRC2:USER_SGPR: 15
; COMPUTE_PGM_RSRC2:TRAP_HANDLER: 0
; COMPUTE_PGM_RSRC2:TGID_X_EN: 1
; COMPUTE_PGM_RSRC2:TGID_Y_EN: 0
; COMPUTE_PGM_RSRC2:TGID_Z_EN: 0
; COMPUTE_PGM_RSRC2:TIDIG_COMP_CNT: 0
	.section	.text._ZN9rocsparseL18bsrxmvn_4x4_kernelILj128ELj32EflifffEEvT3_20rocsparse_direction_NS_24const_host_device_scalarIT1_EES1_PKS1_PKT2_SA_S7_PKT4_PKT5_S5_PT6_21rocsparse_index_base_b,"axG",@progbits,_ZN9rocsparseL18bsrxmvn_4x4_kernelILj128ELj32EflifffEEvT3_20rocsparse_direction_NS_24const_host_device_scalarIT1_EES1_PKS1_PKT2_SA_S7_PKT4_PKT5_S5_PT6_21rocsparse_index_base_b,comdat
	.globl	_ZN9rocsparseL18bsrxmvn_4x4_kernelILj128ELj32EflifffEEvT3_20rocsparse_direction_NS_24const_host_device_scalarIT1_EES1_PKS1_PKT2_SA_S7_PKT4_PKT5_S5_PT6_21rocsparse_index_base_b ; -- Begin function _ZN9rocsparseL18bsrxmvn_4x4_kernelILj128ELj32EflifffEEvT3_20rocsparse_direction_NS_24const_host_device_scalarIT1_EES1_PKS1_PKT2_SA_S7_PKT4_PKT5_S5_PT6_21rocsparse_index_base_b
	.p2align	8
	.type	_ZN9rocsparseL18bsrxmvn_4x4_kernelILj128ELj32EflifffEEvT3_20rocsparse_direction_NS_24const_host_device_scalarIT1_EES1_PKS1_PKT2_SA_S7_PKT4_PKT5_S5_PT6_21rocsparse_index_base_b,@function
_ZN9rocsparseL18bsrxmvn_4x4_kernelILj128ELj32EflifffEEvT3_20rocsparse_direction_NS_24const_host_device_scalarIT1_EES1_PKS1_PKT2_SA_S7_PKT4_PKT5_S5_PT6_21rocsparse_index_base_b: ; @_ZN9rocsparseL18bsrxmvn_4x4_kernelILj128ELj32EflifffEEvT3_20rocsparse_direction_NS_24const_host_device_scalarIT1_EES1_PKS1_PKT2_SA_S7_PKT4_PKT5_S5_PT6_21rocsparse_index_base_b
; %bb.0:
	s_clause 0x2
	s_load_b64 s[18:19], s[0:1], 0x58
	s_load_b64 s[16:17], s[0:1], 0x8
	;; [unrolled: 1-line block ×3, first 2 shown]
	s_waitcnt lgkmcnt(0)
	s_bitcmp1_b32 s19, 0
	s_cselect_b32 s2, -1, 0
	s_delay_alu instid0(SALU_CYCLE_1)
	s_and_b32 vcc_lo, exec_lo, s2
	s_xor_b32 s2, s2, -1
	s_cbranch_vccnz .LBB23_2
; %bb.1:
	s_load_b32 s16, s[16:17], 0x0
.LBB23_2:
	s_and_not1_b32 vcc_lo, exec_lo, s2
	s_cbranch_vccnz .LBB23_4
; %bb.3:
	s_load_b32 s12, s[12:13], 0x0
.LBB23_4:
	s_waitcnt lgkmcnt(0)
	v_cmp_neq_f32_e64 s2, s16, 0
	v_cmp_neq_f32_e64 s3, s12, 1.0
	s_mov_b32 s6, 0
	s_delay_alu instid0(VALU_DEP_1) | instskip(NEXT) | instid1(SALU_CYCLE_1)
	s_or_b32 s2, s2, s3
	s_and_not1_b32 vcc_lo, exec_lo, s2
	s_cbranch_vccnz .LBB23_10
; %bb.5:
	s_clause 0x1
	s_load_b64 s[4:5], s[0:1], 0x18
	s_load_b64 s[2:3], s[0:1], 0x0
	v_lshrrev_b32_e32 v1, 5, v0
	s_delay_alu instid0(VALU_DEP_1)
	v_lshl_or_b32 v4, s15, 2, v1
	s_waitcnt lgkmcnt(0)
	s_cmp_lg_u64 s[4:5], 0
	s_cbranch_scc0 .LBB23_11
; %bb.6:
	s_load_b32 s6, s[0:1], 0x10
	s_mov_b32 s7, 0
                                        ; implicit-def: $vgpr1
	s_waitcnt lgkmcnt(0)
	v_cmp_gt_i32_e32 vcc_lo, s6, v4
	s_mov_b32 s6, 0
	s_and_saveexec_b32 s8, vcc_lo
	s_delay_alu instid0(SALU_CYCLE_1)
	s_xor_b32 s8, exec_lo, s8
	s_cbranch_execz .LBB23_8
; %bb.7:
	v_ashrrev_i32_e32 v5, 31, v4
	s_mov_b32 s6, exec_lo
	s_delay_alu instid0(VALU_DEP_1) | instskip(NEXT) | instid1(VALU_DEP_1)
	v_lshlrev_b64 v[1:2], 2, v[4:5]
	v_add_co_u32 v1, vcc_lo, s4, v1
	s_delay_alu instid0(VALU_DEP_2)
	v_add_co_ci_u32_e32 v2, vcc_lo, s5, v2, vcc_lo
	global_load_b32 v1, v[1:2], off
	s_waitcnt vmcnt(0)
	v_subrev_nc_u32_e32 v1, s18, v1
.LBB23_8:
	s_or_b32 exec_lo, exec_lo, s8
	s_delay_alu instid0(SALU_CYCLE_1)
	s_and_b32 vcc_lo, exec_lo, s7
	s_cbranch_vccz .LBB23_12
.LBB23_9:
	v_cmp_gt_i32_e32 vcc_lo, s2, v4
	s_and_not1_b32 s2, s6, exec_lo
	s_and_b32 s4, vcc_lo, exec_lo
	s_delay_alu instid0(SALU_CYCLE_1) | instskip(NEXT) | instid1(SALU_CYCLE_1)
	s_or_b32 s6, s2, s4
	s_and_saveexec_b32 s2, s6
	s_cbranch_execnz .LBB23_13
.LBB23_10:
	s_nop 0
	s_sendmsg sendmsg(MSG_DEALLOC_VGPRS)
	s_endpgm
.LBB23_11:
                                        ; implicit-def: $vgpr1
	s_cbranch_execnz .LBB23_9
.LBB23_12:
	s_delay_alu instid0(VALU_DEP_1)
	v_mov_b32_e32 v4, v1
	s_and_saveexec_b32 s2, s6
	s_cbranch_execz .LBB23_10
.LBB23_13:
	s_load_b256 s[4:11], s[0:1], 0x20
	s_delay_alu instid0(VALU_DEP_1) | instskip(SKIP_1) | instid1(VALU_DEP_2)
	v_ashrrev_i32_e32 v5, 31, v4
	v_dual_mov_b32 v20, 0 :: v_dual_and_b32 v19, 31, v0
	v_lshlrev_b64 v[1:2], 3, v[4:5]
	s_waitcnt lgkmcnt(0)
	s_delay_alu instid0(VALU_DEP_1) | instskip(NEXT) | instid1(VALU_DEP_2)
	v_add_co_u32 v5, vcc_lo, s4, v1
	v_add_co_ci_u32_e32 v6, vcc_lo, s5, v2, vcc_lo
	v_add_co_u32 v1, vcc_lo, s6, v1
	v_add_co_ci_u32_e32 v2, vcc_lo, s7, v2, vcc_lo
	s_delay_alu instid0(VALU_DEP_4)
	v_add_co_u32 v3, vcc_lo, v5, 8
	global_load_b64 v[7:8], v[5:6], off
	v_add_co_ci_u32_e32 v9, vcc_lo, 0, v6, vcc_lo
	s_cmp_eq_u64 s[6:7], 0
	s_load_b64 s[4:5], s[0:1], 0x40
	s_cselect_b32 vcc_lo, -1, 0
	s_cmp_eq_u32 s3, 1
	v_dual_cndmask_b32 v2, v2, v9 :: v_dual_cndmask_b32 v1, v1, v3
	s_mov_b32 s3, 0
	global_load_b64 v[2:3], v[1:2], off
	s_waitcnt vmcnt(1)
	v_sub_co_u32 v0, vcc_lo, v7, s18
	v_subrev_co_ci_u32_e32 v1, vcc_lo, 0, v8, vcc_lo
	s_delay_alu instid0(VALU_DEP_2) | instskip(NEXT) | instid1(VALU_DEP_2)
	v_add_co_u32 v0, vcc_lo, v0, v19
	v_add_co_ci_u32_e32 v1, vcc_lo, 0, v1, vcc_lo
	s_delay_alu instid0(VALU_DEP_1) | instskip(SKIP_3) | instid1(VALU_DEP_3)
	v_lshlrev_b64 v[5:6], 6, v[0:1]
	s_waitcnt vmcnt(0)
	v_sub_co_u32 v2, vcc_lo, v2, s18
	v_subrev_co_ci_u32_e32 v3, vcc_lo, 0, v3, vcc_lo
	v_add_co_u32 v5, vcc_lo, s10, v5
	s_delay_alu instid0(VALU_DEP_2)
	v_cmp_lt_i64_e64 s2, v[0:1], v[2:3]
	v_add_co_ci_u32_e32 v6, vcc_lo, s11, v6, vcc_lo
	s_cbranch_scc1 .LBB23_25
; %bb.14:
	v_dual_mov_b32 v22, 0 :: v_dual_mov_b32 v23, 0
	v_mov_b32_e32 v21, 0
	s_delay_alu instid0(VALU_DEP_4)
	s_and_saveexec_b32 s6, s2
	s_cbranch_execz .LBB23_24
; %bb.15:
	v_or_b32_e32 v9, 32, v19
	v_not_b32_e32 v12, v7
	v_not_b32_e32 v11, v8
	v_mov_b32_e32 v23, 0
	v_dual_mov_b32 v21, 0 :: v_dual_mov_b32 v20, 0
	v_sub_co_u32 v9, s7, v9, s18
	s_delay_alu instid0(VALU_DEP_1) | instskip(SKIP_1) | instid1(VALU_DEP_3)
	v_sub_co_ci_u32_e64 v10, null, 0, 0, s7
	v_sub_co_u32 v13, s7, s18, v19
	v_add_co_u32 v9, vcc_lo, v9, v7
	s_delay_alu instid0(VALU_DEP_3) | instskip(SKIP_2) | instid1(VALU_DEP_2)
	v_add_co_ci_u32_e32 v10, vcc_lo, v10, v8, vcc_lo
	v_sub_co_ci_u32_e64 v14, null, 0, 0, s7
	s_mov_b32 s7, exec_lo
	v_cmp_gt_i64_e32 vcc_lo, v[9:10], v[2:3]
	v_mov_b32_e32 v22, 0
	v_dual_cndmask_b32 v10, v3, v10 :: v_dual_cndmask_b32 v9, v2, v9
	v_add_co_u32 v12, vcc_lo, v13, v12
	v_add_co_ci_u32_e32 v11, vcc_lo, v14, v11, vcc_lo
	s_delay_alu instid0(VALU_DEP_2) | instskip(NEXT) | instid1(VALU_DEP_2)
	v_add_co_u32 v13, vcc_lo, v12, v9
	v_add_co_ci_u32_e32 v14, vcc_lo, v11, v10, vcc_lo
	v_mov_b32_e32 v12, v6
	s_delay_alu instid0(VALU_DEP_3) | instskip(SKIP_1) | instid1(VALU_DEP_2)
	v_lshrrev_b32_e32 v9, 5, v13
	v_mov_b32_e32 v11, v5
	v_add_nc_u32_e32 v9, 1, v9
	s_delay_alu instid0(VALU_DEP_1) | instskip(SKIP_1) | instid1(VALU_DEP_2)
	v_dual_mov_b32 v10, v1 :: v_dual_and_b32 v15, 3, v9
	v_mov_b32_e32 v9, v0
	v_cmpx_ne_u32_e32 0, v15
	s_cbranch_execz .LBB23_19
; %bb.16:
	v_lshlrev_b64 v[9:10], 2, v[0:1]
	v_dual_mov_b32 v16, 0 :: v_dual_lshlrev_b32 v15, 4, v15
	v_dual_mov_b32 v12, v6 :: v_dual_mov_b32 v11, v5
	s_mov_b32 s10, 0
	s_delay_alu instid0(VALU_DEP_3) | instskip(NEXT) | instid1(VALU_DEP_4)
	v_add_co_u32 v17, vcc_lo, s8, v9
	v_add_co_ci_u32_e32 v18, vcc_lo, s9, v10, vcc_lo
	v_dual_mov_b32 v10, v1 :: v_dual_mov_b32 v9, v0
	v_mov_b32_e32 v20, v16
	v_mov_b32_e32 v22, v16
	;; [unrolled: 1-line block ×4, first 2 shown]
.LBB23_17:                              ; =>This Inner Loop Header: Depth=1
	global_load_b32 v40, v[17:18], off
	s_clause 0x3
	global_load_b128 v[24:27], v[11:12], off offset:48
	global_load_b128 v[28:31], v[11:12], off offset:32
	;; [unrolled: 1-line block ×3, first 2 shown]
	global_load_b128 v[36:39], v[11:12], off
	s_waitcnt vmcnt(4)
	v_subrev_nc_u32_e32 v40, s18, v40
	s_delay_alu instid0(VALU_DEP_1) | instskip(NEXT) | instid1(VALU_DEP_1)
	v_lshlrev_b32_e32 v40, 2, v40
	v_ashrrev_i32_e32 v41, 31, v40
	s_delay_alu instid0(VALU_DEP_1) | instskip(SKIP_1) | instid1(VALU_DEP_1)
	v_lshlrev_b64 v[40:41], 2, v[40:41]
	s_waitcnt lgkmcnt(0)
	v_add_co_u32 v40, vcc_lo, s4, v40
	s_delay_alu instid0(VALU_DEP_2)
	v_add_co_ci_u32_e32 v41, vcc_lo, s5, v41, vcc_lo
	v_add_co_u32 v11, vcc_lo, 0x800, v11
	v_add_co_ci_u32_e32 v12, vcc_lo, 0, v12, vcc_lo
	global_load_b128 v[40:43], v[40:41], off
	v_add_co_u32 v9, vcc_lo, v9, 32
	v_add_co_ci_u32_e32 v10, vcc_lo, 0, v10, vcc_lo
	v_add_co_u32 v17, vcc_lo, 0x80, v17
	v_add_co_ci_u32_e32 v18, vcc_lo, 0, v18, vcc_lo
	v_add_co_u32 v15, vcc_lo, v15, -16
	v_add_co_ci_u32_e32 v16, vcc_lo, -1, v16, vcc_lo
	s_delay_alu instid0(VALU_DEP_1) | instskip(SKIP_3) | instid1(VALU_DEP_1)
	v_cmp_eq_u64_e32 vcc_lo, 0, v[15:16]
	s_or_b32 s10, vcc_lo, s10
	s_waitcnt vmcnt(0)
	v_fmac_f32_e32 v20, v24, v40
	v_dual_fmac_f32 v23, v32, v40 :: v_dual_fmac_f32 v20, v25, v41
	s_delay_alu instid0(VALU_DEP_1) | instskip(NEXT) | instid1(VALU_DEP_1)
	v_dual_fmac_f32 v22, v28, v40 :: v_dual_fmac_f32 v23, v33, v41
	v_dual_fmac_f32 v21, v36, v40 :: v_dual_fmac_f32 v22, v29, v41
	s_delay_alu instid0(VALU_DEP_1) | instskip(NEXT) | instid1(VALU_DEP_1)
	v_fmac_f32_e32 v21, v37, v41
	v_fmac_f32_e32 v21, v38, v42
	s_delay_alu instid0(VALU_DEP_1) | instskip(NEXT) | instid1(VALU_DEP_1)
	v_dual_fmac_f32 v22, v30, v42 :: v_dual_fmac_f32 v21, v39, v43
	v_dual_fmac_f32 v23, v34, v42 :: v_dual_fmac_f32 v22, v31, v43
	s_delay_alu instid0(VALU_DEP_1) | instskip(NEXT) | instid1(VALU_DEP_1)
	v_dual_fmac_f32 v20, v26, v42 :: v_dual_fmac_f32 v23, v35, v43
	v_fmac_f32_e32 v20, v27, v43
	s_and_not1_b32 exec_lo, exec_lo, s10
	s_cbranch_execnz .LBB23_17
; %bb.18:
	s_or_b32 exec_lo, exec_lo, s10
.LBB23_19:
	s_delay_alu instid0(SALU_CYCLE_1) | instskip(NEXT) | instid1(SALU_CYCLE_1)
	s_or_b32 exec_lo, exec_lo, s7
	s_mov_b32 s7, exec_lo
	v_cmpx_lt_u64_e32 0x5f, v[13:14]
	s_cbranch_execz .LBB23_23
; %bb.20:
	v_lshlrev_b64 v[13:14], 2, v[9:10]
	s_mov_b32 s10, 0
	s_delay_alu instid0(VALU_DEP_1) | instskip(NEXT) | instid1(VALU_DEP_2)
	v_add_co_u32 v13, vcc_lo, v13, s8
	v_add_co_ci_u32_e32 v14, vcc_lo, s9, v14, vcc_lo
	s_delay_alu instid0(VALU_DEP_2) | instskip(NEXT) | instid1(VALU_DEP_2)
	v_add_co_u32 v13, vcc_lo, 0x100, v13
	v_add_co_ci_u32_e32 v14, vcc_lo, 0, v14, vcc_lo
.LBB23_21:                              ; =>This Inner Loop Header: Depth=1
	s_clause 0x3
	global_load_b32 v84, v[13:14], off offset:-256
	global_load_b32 v85, v[13:14], off offset:-128
	global_load_b32 v86, v[13:14], off
	global_load_b32 v87, v[13:14], off offset:128
	s_clause 0x3
	global_load_b128 v[15:18], v[11:12], off offset:48
	global_load_b128 v[24:27], v[11:12], off offset:32
	;; [unrolled: 1-line block ×3, first 2 shown]
	global_load_b128 v[32:35], v[11:12], off
	v_add_co_u32 v80, vcc_lo, 0x1000, v11
	v_add_co_ci_u32_e32 v81, vcc_lo, 0, v12, vcc_lo
	s_clause 0xb
	global_load_b128 v[36:39], v[11:12], off offset:2096
	global_load_b128 v[40:43], v[11:12], off offset:2080
	;; [unrolled: 1-line block ×6, first 2 shown]
	global_load_b128 v[60:63], v[80:81], off
	global_load_b128 v[64:67], v[80:81], off offset:16
	global_load_b128 v[68:71], v[80:81], off offset:2096
	;; [unrolled: 1-line block ×5, first 2 shown]
	s_waitcnt vmcnt(19)
	v_subrev_nc_u32_e32 v84, s18, v84
	s_waitcnt vmcnt(18)
	v_subrev_nc_u32_e32 v85, s18, v85
	;; [unrolled: 2-line block ×4, first 2 shown]
	v_lshlrev_b32_e32 v84, 2, v84
	v_lshlrev_b32_e32 v88, 2, v85
	;; [unrolled: 1-line block ×3, first 2 shown]
	s_delay_alu instid0(VALU_DEP_4) | instskip(NEXT) | instid1(VALU_DEP_4)
	v_lshlrev_b32_e32 v96, 2, v87
	v_ashrrev_i32_e32 v85, 31, v84
	s_delay_alu instid0(VALU_DEP_4) | instskip(NEXT) | instid1(VALU_DEP_2)
	v_ashrrev_i32_e32 v89, 31, v88
	v_lshlrev_b64 v[84:85], 2, v[84:85]
	s_delay_alu instid0(VALU_DEP_2) | instskip(SKIP_1) | instid1(VALU_DEP_2)
	v_lshlrev_b64 v[88:89], 2, v[88:89]
	s_waitcnt lgkmcnt(0)
	v_add_co_u32 v84, vcc_lo, s4, v84
	s_delay_alu instid0(VALU_DEP_3) | instskip(NEXT) | instid1(VALU_DEP_3)
	v_add_co_ci_u32_e32 v85, vcc_lo, s5, v85, vcc_lo
	v_add_co_u32 v88, vcc_lo, s4, v88
	s_delay_alu instid0(VALU_DEP_4)
	v_add_co_ci_u32_e32 v89, vcc_lo, s5, v89, vcc_lo
	s_clause 0x1
	global_load_b128 v[84:87], v[84:85], off
	global_load_b128 v[88:91], v[88:89], off
	s_waitcnt vmcnt(1)
	v_fmac_f32_e32 v23, v28, v84
	v_ashrrev_i32_e32 v93, 31, v92
	v_fmac_f32_e32 v21, v32, v84
	s_delay_alu instid0(VALU_DEP_3) | instskip(NEXT) | instid1(VALU_DEP_3)
	v_fmac_f32_e32 v23, v29, v85
	v_lshlrev_b64 v[92:93], 2, v[92:93]
	v_ashrrev_i32_e32 v97, 31, v96
	s_delay_alu instid0(VALU_DEP_4) | instskip(NEXT) | instid1(VALU_DEP_4)
	v_dual_fmac_f32 v20, v15, v84 :: v_dual_fmac_f32 v21, v33, v85
	v_dual_fmac_f32 v23, v30, v86 :: v_dual_fmac_f32 v22, v24, v84
	s_delay_alu instid0(VALU_DEP_4) | instskip(NEXT) | instid1(VALU_DEP_3)
	v_add_co_u32 v92, vcc_lo, s4, v92
	v_fmac_f32_e32 v21, v34, v86
	v_add_co_ci_u32_e32 v93, vcc_lo, s5, v93, vcc_lo
	v_lshlrev_b64 v[96:97], 2, v[96:97]
	s_delay_alu instid0(VALU_DEP_3)
	v_dual_fmac_f32 v22, v25, v85 :: v_dual_fmac_f32 v21, v35, v87
	global_load_b128 v[92:95], v[92:93], off
	v_dual_fmac_f32 v20, v16, v85 :: v_dual_fmac_f32 v23, v31, v87
	v_add_co_u32 v96, vcc_lo, s4, v96
	v_add_co_ci_u32_e32 v97, vcc_lo, s5, v97, vcc_lo
	s_waitcnt vmcnt(1)
	v_dual_fmac_f32 v22, v26, v86 :: v_dual_fmac_f32 v21, v48, v88
	v_dual_fmac_f32 v20, v17, v86 :: v_dual_fmac_f32 v23, v44, v88
	global_load_b128 v[96:99], v[96:97], off
	v_dual_fmac_f32 v22, v27, v87 :: v_dual_fmac_f32 v21, v49, v89
	v_dual_fmac_f32 v20, v18, v87 :: v_dual_fmac_f32 v23, v45, v89
	v_add_co_u32 v9, vcc_lo, 0x80, v9
	s_delay_alu instid0(VALU_DEP_3) | instskip(NEXT) | instid1(VALU_DEP_3)
	v_dual_fmac_f32 v22, v40, v88 :: v_dual_fmac_f32 v21, v50, v90
	v_dual_fmac_f32 v20, v36, v88 :: v_dual_fmac_f32 v23, v46, v90
	v_add_co_ci_u32_e32 v10, vcc_lo, 0, v10, vcc_lo
	s_delay_alu instid0(VALU_DEP_3) | instskip(NEXT) | instid1(VALU_DEP_3)
	v_dual_fmac_f32 v22, v41, v89 :: v_dual_fmac_f32 v21, v51, v91
	v_dual_fmac_f32 v20, v37, v89 :: v_dual_fmac_f32 v23, v47, v91
	v_add_co_u32 v13, vcc_lo, 0x200, v13
	s_delay_alu instid0(VALU_DEP_3) | instskip(NEXT) | instid1(VALU_DEP_3)
	v_fmac_f32_e32 v22, v42, v90
	v_fmac_f32_e32 v20, v38, v90
	v_add_co_ci_u32_e32 v14, vcc_lo, 0, v14, vcc_lo
	v_add_co_u32 v11, vcc_lo, 0x2000, v11
	v_add_co_ci_u32_e32 v12, vcc_lo, 0, v12, vcc_lo
	v_cmp_ge_i64_e32 vcc_lo, v[9:10], v[2:3]
	s_or_b32 s10, vcc_lo, s10
	s_waitcnt vmcnt(1)
	v_dual_fmac_f32 v23, v64, v92 :: v_dual_fmac_f32 v20, v39, v91
	v_dual_fmac_f32 v21, v60, v92 :: v_dual_fmac_f32 v22, v43, v91
	s_delay_alu instid0(VALU_DEP_2) | instskip(NEXT) | instid1(VALU_DEP_2)
	v_dual_fmac_f32 v23, v65, v93 :: v_dual_fmac_f32 v20, v52, v92
	v_dual_fmac_f32 v21, v61, v93 :: v_dual_fmac_f32 v22, v56, v92
	s_delay_alu instid0(VALU_DEP_2) | instskip(NEXT) | instid1(VALU_DEP_2)
	v_dual_fmac_f32 v23, v66, v94 :: v_dual_fmac_f32 v20, v53, v93
	v_dual_fmac_f32 v21, v62, v94 :: v_dual_fmac_f32 v22, v57, v93
	s_delay_alu instid0(VALU_DEP_2) | instskip(NEXT) | instid1(VALU_DEP_2)
	v_dual_fmac_f32 v23, v67, v95 :: v_dual_fmac_f32 v20, v54, v94
	v_dual_fmac_f32 v21, v63, v95 :: v_dual_fmac_f32 v22, v58, v94
	s_waitcnt vmcnt(0)
	s_delay_alu instid0(VALU_DEP_2) | instskip(NEXT) | instid1(VALU_DEP_2)
	v_dual_fmac_f32 v23, v76, v96 :: v_dual_fmac_f32 v20, v55, v95
	v_dual_fmac_f32 v21, v80, v96 :: v_dual_fmac_f32 v22, v59, v95
	s_delay_alu instid0(VALU_DEP_2) | instskip(NEXT) | instid1(VALU_DEP_2)
	v_dual_fmac_f32 v23, v77, v97 :: v_dual_fmac_f32 v20, v68, v96
	v_dual_fmac_f32 v21, v81, v97 :: v_dual_fmac_f32 v22, v72, v96
	;; [unrolled: 3-line block ×4, first 2 shown]
	s_delay_alu instid0(VALU_DEP_2) | instskip(NEXT) | instid1(VALU_DEP_2)
	v_fmac_f32_e32 v20, v71, v99
	v_fmac_f32_e32 v22, v75, v99
	s_and_not1_b32 exec_lo, exec_lo, s10
	s_cbranch_execnz .LBB23_21
; %bb.22:
	s_or_b32 exec_lo, exec_lo, s10
.LBB23_23:
	s_delay_alu instid0(SALU_CYCLE_1)
	s_or_b32 exec_lo, exec_lo, s7
.LBB23_24:
	s_delay_alu instid0(SALU_CYCLE_1) | instskip(NEXT) | instid1(SALU_CYCLE_1)
	s_or_b32 exec_lo, exec_lo, s6
	s_and_not1_b32 vcc_lo, exec_lo, s3
	s_cbranch_vccz .LBB23_26
	s_branch .LBB23_37
.LBB23_25:
                                        ; implicit-def: $vgpr20
                                        ; implicit-def: $vgpr22
                                        ; implicit-def: $vgpr23
                                        ; implicit-def: $vgpr21
.LBB23_26:
	v_dual_mov_b32 v20, 0 :: v_dual_mov_b32 v23, 0
	v_dual_mov_b32 v22, 0 :: v_dual_mov_b32 v21, 0
	s_delay_alu instid0(VALU_DEP_4)
	s_and_saveexec_b32 s3, s2
	s_cbranch_execz .LBB23_36
; %bb.27:
	v_or_b32_e32 v9, 32, v19
	v_mov_b32_e32 v21, 0
	v_dual_mov_b32 v23, 0 :: v_dual_mov_b32 v22, 0
	v_mov_b32_e32 v20, 0
	s_delay_alu instid0(VALU_DEP_4) | instskip(NEXT) | instid1(VALU_DEP_1)
	v_sub_co_u32 v9, s2, v9, s18
	v_sub_co_ci_u32_e64 v10, null, 0, 0, s2
	v_sub_co_u32 v11, s2, s18, v19
	s_delay_alu instid0(VALU_DEP_3) | instskip(NEXT) | instid1(VALU_DEP_3)
	v_add_co_u32 v9, vcc_lo, v9, v7
	v_add_co_ci_u32_e32 v10, vcc_lo, v10, v8, vcc_lo
	v_not_b32_e32 v7, v7
	v_not_b32_e32 v8, v8
	v_sub_co_ci_u32_e64 v12, null, 0, 0, s2
	s_delay_alu instid0(VALU_DEP_4) | instskip(SKIP_4) | instid1(VALU_DEP_2)
	v_cmp_gt_i64_e32 vcc_lo, v[9:10], v[2:3]
	s_mov_b32 s2, exec_lo
	v_dual_cndmask_b32 v10, v3, v10 :: v_dual_cndmask_b32 v9, v2, v9
	v_add_co_u32 v7, vcc_lo, v11, v7
	v_add_co_ci_u32_e32 v8, vcc_lo, v12, v8, vcc_lo
	v_add_co_u32 v7, vcc_lo, v7, v9
	s_delay_alu instid0(VALU_DEP_2) | instskip(NEXT) | instid1(VALU_DEP_2)
	v_add_co_ci_u32_e32 v8, vcc_lo, v8, v10, vcc_lo
	v_lshrrev_b32_e32 v9, 5, v7
	s_delay_alu instid0(VALU_DEP_1) | instskip(NEXT) | instid1(VALU_DEP_1)
	v_add_nc_u32_e32 v9, 1, v9
	v_and_b32_e32 v9, 3, v9
	s_delay_alu instid0(VALU_DEP_1)
	v_cmpx_ne_u32_e32 0, v9
	s_cbranch_execz .LBB23_31
; %bb.28:
	v_lshlrev_b64 v[11:12], 2, v[0:1]
	v_dual_mov_b32 v10, 0 :: v_dual_lshlrev_b32 v9, 4, v9
	s_mov_b32 s6, 0
	s_delay_alu instid0(VALU_DEP_1) | instskip(NEXT) | instid1(VALU_DEP_3)
	v_mov_b32_e32 v20, v10
	v_add_co_u32 v11, vcc_lo, s8, v11
	s_delay_alu instid0(VALU_DEP_4)
	v_add_co_ci_u32_e32 v12, vcc_lo, s9, v12, vcc_lo
	v_mov_b32_e32 v22, v10
	v_mov_b32_e32 v23, v10
	;; [unrolled: 1-line block ×3, first 2 shown]
.LBB23_29:                              ; =>This Inner Loop Header: Depth=1
	global_load_b32 v17, v[11:12], off
	s_clause 0x1
	global_load_b128 v[13:16], v[5:6], off offset:16
	global_load_b128 v[24:27], v[5:6], off
	s_waitcnt vmcnt(2)
	v_subrev_nc_u32_e32 v17, s18, v17
	s_delay_alu instid0(VALU_DEP_1) | instskip(NEXT) | instid1(VALU_DEP_1)
	v_lshlrev_b32_e32 v17, 2, v17
	v_ashrrev_i32_e32 v18, 31, v17
	s_delay_alu instid0(VALU_DEP_1) | instskip(SKIP_1) | instid1(VALU_DEP_1)
	v_lshlrev_b64 v[17:18], 2, v[17:18]
	s_waitcnt lgkmcnt(0)
	v_add_co_u32 v17, vcc_lo, s4, v17
	s_delay_alu instid0(VALU_DEP_2)
	v_add_co_ci_u32_e32 v18, vcc_lo, s5, v18, vcc_lo
	global_load_b128 v[28:31], v[17:18], off
	s_clause 0x1
	global_load_b128 v[32:35], v[5:6], off offset:32
	global_load_b128 v[36:39], v[5:6], off offset:48
	v_add_co_u32 v5, vcc_lo, 0x800, v5
	v_add_co_ci_u32_e32 v6, vcc_lo, 0, v6, vcc_lo
	v_add_co_u32 v0, vcc_lo, v0, 32
	v_add_co_ci_u32_e32 v1, vcc_lo, 0, v1, vcc_lo
	;; [unrolled: 2-line block ×3, first 2 shown]
	v_add_co_u32 v9, vcc_lo, v9, -16
	v_add_co_ci_u32_e32 v10, vcc_lo, -1, v10, vcc_lo
	s_delay_alu instid0(VALU_DEP_1) | instskip(SKIP_3) | instid1(VALU_DEP_1)
	v_cmp_eq_u64_e32 vcc_lo, 0, v[9:10]
	s_or_b32 s6, vcc_lo, s6
	s_waitcnt vmcnt(2)
	v_fmac_f32_e32 v22, v26, v28
	v_dual_fmac_f32 v21, v24, v28 :: v_dual_fmac_f32 v22, v15, v29
	s_delay_alu instid0(VALU_DEP_1) | instskip(SKIP_1) | instid1(VALU_DEP_2)
	v_dual_fmac_f32 v20, v27, v28 :: v_dual_fmac_f32 v21, v13, v29
	s_waitcnt vmcnt(1)
	v_dual_fmac_f32 v23, v25, v28 :: v_dual_fmac_f32 v22, v34, v30
	s_delay_alu instid0(VALU_DEP_2) | instskip(NEXT) | instid1(VALU_DEP_3)
	v_fmac_f32_e32 v20, v16, v29
	v_fmac_f32_e32 v21, v32, v30
	s_delay_alu instid0(VALU_DEP_3) | instskip(SKIP_2) | instid1(VALU_DEP_3)
	v_fmac_f32_e32 v23, v14, v29
	s_waitcnt vmcnt(0)
	v_fmac_f32_e32 v22, v38, v31
	v_dual_fmac_f32 v20, v35, v30 :: v_dual_fmac_f32 v21, v36, v31
	s_delay_alu instid0(VALU_DEP_1) | instskip(NEXT) | instid1(VALU_DEP_1)
	v_dual_fmac_f32 v23, v33, v30 :: v_dual_fmac_f32 v20, v39, v31
	v_fmac_f32_e32 v23, v37, v31
	s_and_not1_b32 exec_lo, exec_lo, s6
	s_cbranch_execnz .LBB23_29
; %bb.30:
	s_or_b32 exec_lo, exec_lo, s6
.LBB23_31:
	s_delay_alu instid0(SALU_CYCLE_1) | instskip(NEXT) | instid1(SALU_CYCLE_1)
	s_or_b32 exec_lo, exec_lo, s2
	s_mov_b32 s2, exec_lo
	v_cmpx_lt_u64_e32 0x5f, v[7:8]
	s_cbranch_execz .LBB23_35
; %bb.32:
	v_lshlrev_b64 v[7:8], 2, v[0:1]
	s_mov_b32 s6, 0
	s_delay_alu instid0(VALU_DEP_1) | instskip(NEXT) | instid1(VALU_DEP_2)
	v_add_co_u32 v7, vcc_lo, v7, s8
	v_add_co_ci_u32_e32 v8, vcc_lo, s9, v8, vcc_lo
	s_delay_alu instid0(VALU_DEP_2) | instskip(NEXT) | instid1(VALU_DEP_2)
	v_add_co_u32 v7, vcc_lo, 0x100, v7
	v_add_co_ci_u32_e32 v8, vcc_lo, 0, v8, vcc_lo
.LBB23_33:                              ; =>This Inner Loop Header: Depth=1
	s_clause 0x3
	global_load_b32 v72, v[7:8], off offset:-256
	global_load_b32 v73, v[7:8], off offset:-128
	global_load_b32 v74, v[7:8], off
	global_load_b32 v75, v[7:8], off offset:128
	s_clause 0x3
	global_load_b128 v[9:12], v[5:6], off offset:48
	global_load_b128 v[13:16], v[5:6], off offset:32
	;; [unrolled: 1-line block ×3, first 2 shown]
	global_load_b128 v[28:31], v[5:6], off
	v_add_co_u32 v17, vcc_lo, 0x1000, v5
	v_add_co_ci_u32_e32 v18, vcc_lo, 0, v6, vcc_lo
	s_clause 0x9
	global_load_b128 v[32:35], v[5:6], off offset:2096
	global_load_b128 v[36:39], v[5:6], off offset:2080
	;; [unrolled: 1-line block ×6, first 2 shown]
	global_load_b128 v[56:59], v[17:18], off
	global_load_b128 v[60:63], v[17:18], off offset:16
	global_load_b128 v[64:67], v[17:18], off offset:2064
	;; [unrolled: 1-line block ×3, first 2 shown]
	s_waitcnt vmcnt(17)
	v_subrev_nc_u32_e32 v72, s18, v72
	s_waitcnt vmcnt(16)
	v_subrev_nc_u32_e32 v73, s18, v73
	;; [unrolled: 2-line block ×4, first 2 shown]
	v_lshlrev_b32_e32 v72, 2, v72
	v_lshlrev_b32_e32 v76, 2, v73
	;; [unrolled: 1-line block ×3, first 2 shown]
	s_delay_alu instid0(VALU_DEP_4) | instskip(NEXT) | instid1(VALU_DEP_4)
	v_lshlrev_b32_e32 v84, 2, v75
	v_ashrrev_i32_e32 v73, 31, v72
	s_delay_alu instid0(VALU_DEP_4) | instskip(NEXT) | instid1(VALU_DEP_2)
	v_ashrrev_i32_e32 v77, 31, v76
	v_lshlrev_b64 v[72:73], 2, v[72:73]
	s_delay_alu instid0(VALU_DEP_2) | instskip(SKIP_1) | instid1(VALU_DEP_2)
	v_lshlrev_b64 v[76:77], 2, v[76:77]
	s_waitcnt lgkmcnt(0)
	v_add_co_u32 v72, vcc_lo, s4, v72
	s_delay_alu instid0(VALU_DEP_3) | instskip(NEXT) | instid1(VALU_DEP_3)
	v_add_co_ci_u32_e32 v73, vcc_lo, s5, v73, vcc_lo
	v_add_co_u32 v76, vcc_lo, s4, v76
	s_delay_alu instid0(VALU_DEP_4)
	v_add_co_ci_u32_e32 v77, vcc_lo, s5, v77, vcc_lo
	s_clause 0x1
	global_load_b128 v[72:75], v[72:73], off
	global_load_b128 v[76:79], v[76:77], off
	s_waitcnt vmcnt(1)
	v_fmac_f32_e32 v23, v29, v72
	v_ashrrev_i32_e32 v81, 31, v80
	v_fmac_f32_e32 v21, v28, v72
	s_delay_alu instid0(VALU_DEP_3) | instskip(NEXT) | instid1(VALU_DEP_3)
	v_fmac_f32_e32 v23, v25, v73
	v_lshlrev_b64 v[80:81], 2, v[80:81]
	v_ashrrev_i32_e32 v85, 31, v84
	s_delay_alu instid0(VALU_DEP_4) | instskip(NEXT) | instid1(VALU_DEP_4)
	v_dual_fmac_f32 v20, v31, v72 :: v_dual_fmac_f32 v21, v24, v73
	v_fmac_f32_e32 v23, v14, v74
	v_fmac_f32_e32 v22, v30, v72
	v_add_co_u32 v80, vcc_lo, s4, v80
	s_delay_alu instid0(VALU_DEP_4) | instskip(SKIP_2) | instid1(VALU_DEP_3)
	v_fmac_f32_e32 v21, v13, v74
	v_add_co_ci_u32_e32 v81, vcc_lo, s5, v81, vcc_lo
	v_lshlrev_b64 v[84:85], 2, v[84:85]
	v_dual_fmac_f32 v22, v26, v73 :: v_dual_fmac_f32 v21, v9, v75
	global_load_b128 v[80:83], v[80:81], off
	v_dual_fmac_f32 v20, v27, v73 :: v_dual_fmac_f32 v23, v10, v75
	v_add_co_u32 v84, vcc_lo, s4, v84
	v_add_co_ci_u32_e32 v85, vcc_lo, s5, v85, vcc_lo
	global_load_b128 v[84:87], v[84:85], off
	s_clause 0x1
	global_load_b128 v[88:91], v[17:18], off offset:2080
	global_load_b128 v[92:95], v[17:18], off offset:2096
	s_waitcnt vmcnt(4)
	v_dual_fmac_f32 v22, v15, v74 :: v_dual_fmac_f32 v21, v44, v76
	v_dual_fmac_f32 v20, v16, v74 :: v_dual_fmac_f32 v23, v45, v76
	v_add_co_u32 v0, vcc_lo, 0x80, v0
	s_delay_alu instid0(VALU_DEP_3) | instskip(NEXT) | instid1(VALU_DEP_3)
	v_dual_fmac_f32 v22, v11, v75 :: v_dual_fmac_f32 v21, v40, v77
	v_dual_fmac_f32 v20, v12, v75 :: v_dual_fmac_f32 v23, v41, v77
	v_add_co_ci_u32_e32 v1, vcc_lo, 0, v1, vcc_lo
	s_delay_alu instid0(VALU_DEP_3) | instskip(NEXT) | instid1(VALU_DEP_3)
	v_dual_fmac_f32 v22, v46, v76 :: v_dual_fmac_f32 v21, v36, v78
	v_dual_fmac_f32 v20, v47, v76 :: v_dual_fmac_f32 v23, v37, v78
	v_add_co_u32 v7, vcc_lo, 0x200, v7
	s_delay_alu instid0(VALU_DEP_3) | instskip(NEXT) | instid1(VALU_DEP_3)
	v_dual_fmac_f32 v22, v42, v77 :: v_dual_fmac_f32 v21, v32, v79
	v_dual_fmac_f32 v20, v43, v77 :: v_dual_fmac_f32 v23, v33, v79
	v_add_co_ci_u32_e32 v8, vcc_lo, 0, v8, vcc_lo
	s_delay_alu instid0(VALU_DEP_3) | instskip(NEXT) | instid1(VALU_DEP_3)
	v_fmac_f32_e32 v22, v38, v78
	v_fmac_f32_e32 v20, v39, v78
	v_add_co_u32 v5, vcc_lo, 0x2000, v5
	v_add_co_ci_u32_e32 v6, vcc_lo, 0, v6, vcc_lo
	v_cmp_ge_i64_e32 vcc_lo, v[0:1], v[2:3]
	s_or_b32 s6, vcc_lo, s6
	s_waitcnt vmcnt(3)
	v_dual_fmac_f32 v23, v57, v80 :: v_dual_fmac_f32 v20, v35, v79
	v_dual_fmac_f32 v21, v56, v80 :: v_dual_fmac_f32 v22, v34, v79
	s_delay_alu instid0(VALU_DEP_2) | instskip(NEXT) | instid1(VALU_DEP_2)
	v_dual_fmac_f32 v23, v61, v81 :: v_dual_fmac_f32 v20, v59, v80
	v_dual_fmac_f32 v21, v60, v81 :: v_dual_fmac_f32 v22, v58, v80
	s_delay_alu instid0(VALU_DEP_2) | instskip(NEXT) | instid1(VALU_DEP_2)
	;; [unrolled: 3-line block ×3, first 2 shown]
	v_dual_fmac_f32 v23, v49, v83 :: v_dual_fmac_f32 v20, v55, v82
	v_dual_fmac_f32 v21, v48, v83 :: v_dual_fmac_f32 v22, v54, v82
	s_waitcnt vmcnt(2)
	s_delay_alu instid0(VALU_DEP_2) | instskip(NEXT) | instid1(VALU_DEP_2)
	v_dual_fmac_f32 v23, v69, v84 :: v_dual_fmac_f32 v20, v51, v83
	v_dual_fmac_f32 v21, v68, v84 :: v_dual_fmac_f32 v22, v50, v83
	s_delay_alu instid0(VALU_DEP_2) | instskip(NEXT) | instid1(VALU_DEP_2)
	v_dual_fmac_f32 v23, v65, v85 :: v_dual_fmac_f32 v20, v71, v84
	v_dual_fmac_f32 v21, v64, v85 :: v_dual_fmac_f32 v22, v70, v84
	s_waitcnt vmcnt(1)
	s_delay_alu instid0(VALU_DEP_2) | instskip(NEXT) | instid1(VALU_DEP_2)
	v_dual_fmac_f32 v23, v89, v86 :: v_dual_fmac_f32 v20, v67, v85
	v_dual_fmac_f32 v21, v88, v86 :: v_dual_fmac_f32 v22, v66, v85
	s_waitcnt vmcnt(0)
	s_delay_alu instid0(VALU_DEP_2) | instskip(NEXT) | instid1(VALU_DEP_2)
	v_dual_fmac_f32 v23, v93, v87 :: v_dual_fmac_f32 v20, v91, v86
	v_dual_fmac_f32 v21, v92, v87 :: v_dual_fmac_f32 v22, v90, v86
	s_delay_alu instid0(VALU_DEP_2) | instskip(NEXT) | instid1(VALU_DEP_2)
	v_fmac_f32_e32 v20, v95, v87
	v_fmac_f32_e32 v22, v94, v87
	s_and_not1_b32 exec_lo, exec_lo, s6
	s_cbranch_execnz .LBB23_33
; %bb.34:
	s_or_b32 exec_lo, exec_lo, s6
.LBB23_35:
	s_delay_alu instid0(SALU_CYCLE_1)
	s_or_b32 exec_lo, exec_lo, s2
.LBB23_36:
	s_delay_alu instid0(SALU_CYCLE_1)
	s_or_b32 exec_lo, exec_lo, s3
.LBB23_37:
	v_mbcnt_lo_u32_b32 v0, -1, 0
	s_mov_b32 s2, -1
	s_delay_alu instid0(VALU_DEP_1) | instskip(SKIP_2) | instid1(VALU_DEP_3)
	v_xor_b32_e32 v1, 16, v0
	v_xor_b32_e32 v6, 8, v0
	;; [unrolled: 1-line block ×3, first 2 shown]
	v_cmp_gt_i32_e32 vcc_lo, 32, v1
	v_cndmask_b32_e32 v1, v0, v1, vcc_lo
	s_delay_alu instid0(VALU_DEP_4) | instskip(SKIP_2) | instid1(VALU_DEP_2)
	v_cmp_gt_i32_e32 vcc_lo, 32, v6
	v_cndmask_b32_e32 v6, v0, v6, vcc_lo
	v_cmp_gt_i32_e32 vcc_lo, 32, v10
	v_lshlrev_b32_e32 v6, 2, v6
	v_dual_cndmask_b32 v10, v0, v10 :: v_dual_lshlrev_b32 v1, 2, v1
	ds_bpermute_b32 v2, v1, v21
	v_lshlrev_b32_e32 v10, 2, v10
	s_waitcnt lgkmcnt(0)
	v_add_f32_e32 v2, v21, v2
	ds_bpermute_b32 v3, v1, v23
	ds_bpermute_b32 v5, v1, v22
	;; [unrolled: 1-line block ×4, first 2 shown]
	s_waitcnt lgkmcnt(3)
	v_add_f32_e32 v3, v23, v3
	s_waitcnt lgkmcnt(2)
	v_add_f32_e32 v5, v22, v5
	;; [unrolled: 2-line block ×3, first 2 shown]
	ds_bpermute_b32 v8, v6, v3
	ds_bpermute_b32 v9, v6, v5
	;; [unrolled: 1-line block ×3, first 2 shown]
	s_waitcnt lgkmcnt(2)
	v_dual_add_f32 v2, v2, v7 :: v_dual_add_f32 v3, v3, v8
	s_waitcnt lgkmcnt(1)
	v_add_f32_e32 v5, v5, v9
	s_waitcnt lgkmcnt(0)
	v_add_f32_e32 v1, v1, v6
	ds_bpermute_b32 v6, v10, v2
	ds_bpermute_b32 v7, v10, v3
	;; [unrolled: 1-line block ×4, first 2 shown]
	v_xor_b32_e32 v10, 2, v0
	s_delay_alu instid0(VALU_DEP_1) | instskip(SKIP_1) | instid1(VALU_DEP_1)
	v_cmp_gt_i32_e32 vcc_lo, 32, v10
	v_cndmask_b32_e32 v10, v0, v10, vcc_lo
	v_lshlrev_b32_e32 v10, 2, v10
	s_waitcnt lgkmcnt(2)
	v_dual_add_f32 v2, v2, v6 :: v_dual_add_f32 v3, v3, v7
	s_waitcnt lgkmcnt(1)
	v_add_f32_e32 v5, v5, v8
	ds_bpermute_b32 v7, v10, v3
	s_waitcnt lgkmcnt(1)
	v_add_f32_e32 v6, v1, v9
	ds_bpermute_b32 v1, v10, v2
	ds_bpermute_b32 v8, v10, v5
	;; [unrolled: 1-line block ×3, first 2 shown]
	v_xor_b32_e32 v10, 1, v0
	s_delay_alu instid0(VALU_DEP_1) | instskip(SKIP_2) | instid1(VALU_DEP_2)
	v_cmp_gt_i32_e32 vcc_lo, 32, v10
	v_cndmask_b32_e32 v0, v0, v10, vcc_lo
	v_cmp_eq_u32_e32 vcc_lo, 31, v19
	v_lshlrev_b32_e32 v10, 2, v0
	s_waitcnt lgkmcnt(2)
	v_dual_add_f32 v0, v2, v1 :: v_dual_add_f32 v1, v3, v7
	s_waitcnt lgkmcnt(0)
	v_dual_add_f32 v2, v5, v8 :: v_dual_add_f32 v3, v6, v9
	ds_bpermute_b32 v5, v10, v0
	ds_bpermute_b32 v6, v10, v1
	ds_bpermute_b32 v7, v10, v2
	ds_bpermute_b32 v8, v10, v3
	s_and_b32 exec_lo, exec_lo, vcc_lo
	s_cbranch_execz .LBB23_10
; %bb.38:
	s_load_b64 s[0:1], s[0:1], 0x50
	s_waitcnt lgkmcnt(0)
	v_dual_add_f32 v0, v0, v5 :: v_dual_add_f32 v1, v1, v6
	v_dual_add_f32 v2, v2, v7 :: v_dual_add_f32 v3, v3, v8
	v_cmp_eq_f32_e64 s3, s12, 0
	s_delay_alu instid0(VALU_DEP_3) | instskip(NEXT) | instid1(VALU_DEP_3)
	v_dual_mul_f32 v0, s16, v0 :: v_dual_mul_f32 v1, s16, v1
	v_dual_mul_f32 v2, s16, v2 :: v_dual_mul_f32 v3, s16, v3
	v_lshlrev_b32_e32 v4, 2, v4
	s_delay_alu instid0(VALU_DEP_4)
	s_and_b32 vcc_lo, exec_lo, s3
	s_cbranch_vccz .LBB23_40
; %bb.39:
	s_delay_alu instid0(VALU_DEP_1) | instskip(SKIP_1) | instid1(VALU_DEP_1)
	v_ashrrev_i32_e32 v5, 31, v4
	s_mov_b32 s2, 0
	v_lshlrev_b64 v[5:6], 2, v[4:5]
	s_delay_alu instid0(VALU_DEP_1) | instskip(NEXT) | instid1(VALU_DEP_2)
	v_add_co_u32 v5, vcc_lo, s0, v5
	v_add_co_ci_u32_e32 v6, vcc_lo, s1, v6, vcc_lo
	global_store_b128 v[5:6], v[0:3], off
.LBB23_40:
	s_and_not1_b32 vcc_lo, exec_lo, s2
	s_cbranch_vccnz .LBB23_10
; %bb.41:
	v_ashrrev_i32_e32 v5, 31, v4
	s_delay_alu instid0(VALU_DEP_1) | instskip(NEXT) | instid1(VALU_DEP_1)
	v_lshlrev_b64 v[4:5], 2, v[4:5]
	v_add_co_u32 v8, vcc_lo, s0, v4
	s_delay_alu instid0(VALU_DEP_2)
	v_add_co_ci_u32_e32 v9, vcc_lo, s1, v5, vcc_lo
	global_load_b128 v[4:7], v[8:9], off
	s_waitcnt vmcnt(0)
	v_dual_fmac_f32 v0, s12, v4 :: v_dual_fmac_f32 v1, s12, v5
	v_dual_fmac_f32 v2, s12, v6 :: v_dual_fmac_f32 v3, s12, v7
	global_store_b128 v[8:9], v[0:3], off
	s_nop 0
	s_sendmsg sendmsg(MSG_DEALLOC_VGPRS)
	s_endpgm
	.section	.rodata,"a",@progbits
	.p2align	6, 0x0
	.amdhsa_kernel _ZN9rocsparseL18bsrxmvn_4x4_kernelILj128ELj32EflifffEEvT3_20rocsparse_direction_NS_24const_host_device_scalarIT1_EES1_PKS1_PKT2_SA_S7_PKT4_PKT5_S5_PT6_21rocsparse_index_base_b
		.amdhsa_group_segment_fixed_size 0
		.amdhsa_private_segment_fixed_size 0
		.amdhsa_kernarg_size 96
		.amdhsa_user_sgpr_count 15
		.amdhsa_user_sgpr_dispatch_ptr 0
		.amdhsa_user_sgpr_queue_ptr 0
		.amdhsa_user_sgpr_kernarg_segment_ptr 1
		.amdhsa_user_sgpr_dispatch_id 0
		.amdhsa_user_sgpr_private_segment_size 0
		.amdhsa_wavefront_size32 1
		.amdhsa_uses_dynamic_stack 0
		.amdhsa_enable_private_segment 0
		.amdhsa_system_sgpr_workgroup_id_x 1
		.amdhsa_system_sgpr_workgroup_id_y 0
		.amdhsa_system_sgpr_workgroup_id_z 0
		.amdhsa_system_sgpr_workgroup_info 0
		.amdhsa_system_vgpr_workitem_id 0
		.amdhsa_next_free_vgpr 100
		.amdhsa_next_free_sgpr 20
		.amdhsa_reserve_vcc 1
		.amdhsa_float_round_mode_32 0
		.amdhsa_float_round_mode_16_64 0
		.amdhsa_float_denorm_mode_32 3
		.amdhsa_float_denorm_mode_16_64 3
		.amdhsa_dx10_clamp 1
		.amdhsa_ieee_mode 1
		.amdhsa_fp16_overflow 0
		.amdhsa_workgroup_processor_mode 1
		.amdhsa_memory_ordered 1
		.amdhsa_forward_progress 0
		.amdhsa_shared_vgpr_count 0
		.amdhsa_exception_fp_ieee_invalid_op 0
		.amdhsa_exception_fp_denorm_src 0
		.amdhsa_exception_fp_ieee_div_zero 0
		.amdhsa_exception_fp_ieee_overflow 0
		.amdhsa_exception_fp_ieee_underflow 0
		.amdhsa_exception_fp_ieee_inexact 0
		.amdhsa_exception_int_div_zero 0
	.end_amdhsa_kernel
	.section	.text._ZN9rocsparseL18bsrxmvn_4x4_kernelILj128ELj32EflifffEEvT3_20rocsparse_direction_NS_24const_host_device_scalarIT1_EES1_PKS1_PKT2_SA_S7_PKT4_PKT5_S5_PT6_21rocsparse_index_base_b,"axG",@progbits,_ZN9rocsparseL18bsrxmvn_4x4_kernelILj128ELj32EflifffEEvT3_20rocsparse_direction_NS_24const_host_device_scalarIT1_EES1_PKS1_PKT2_SA_S7_PKT4_PKT5_S5_PT6_21rocsparse_index_base_b,comdat
.Lfunc_end23:
	.size	_ZN9rocsparseL18bsrxmvn_4x4_kernelILj128ELj32EflifffEEvT3_20rocsparse_direction_NS_24const_host_device_scalarIT1_EES1_PKS1_PKT2_SA_S7_PKT4_PKT5_S5_PT6_21rocsparse_index_base_b, .Lfunc_end23-_ZN9rocsparseL18bsrxmvn_4x4_kernelILj128ELj32EflifffEEvT3_20rocsparse_direction_NS_24const_host_device_scalarIT1_EES1_PKS1_PKT2_SA_S7_PKT4_PKT5_S5_PT6_21rocsparse_index_base_b
                                        ; -- End function
	.section	.AMDGPU.csdata,"",@progbits
; Kernel info:
; codeLenInByte = 3980
; NumSgprs: 22
; NumVgprs: 100
; ScratchSize: 0
; MemoryBound: 0
; FloatMode: 240
; IeeeMode: 1
; LDSByteSize: 0 bytes/workgroup (compile time only)
; SGPRBlocks: 2
; VGPRBlocks: 12
; NumSGPRsForWavesPerEU: 22
; NumVGPRsForWavesPerEU: 100
; Occupancy: 12
; WaveLimiterHint : 1
; COMPUTE_PGM_RSRC2:SCRATCH_EN: 0
; COMPUTE_PGM_RSRC2:USER_SGPR: 15
; COMPUTE_PGM_RSRC2:TRAP_HANDLER: 0
; COMPUTE_PGM_RSRC2:TGID_X_EN: 1
; COMPUTE_PGM_RSRC2:TGID_Y_EN: 0
; COMPUTE_PGM_RSRC2:TGID_Z_EN: 0
; COMPUTE_PGM_RSRC2:TIDIG_COMP_CNT: 0
	.section	.text._ZN9rocsparseL18bsrxmvn_4x4_kernelILj128ELj64EflifffEEvT3_20rocsparse_direction_NS_24const_host_device_scalarIT1_EES1_PKS1_PKT2_SA_S7_PKT4_PKT5_S5_PT6_21rocsparse_index_base_b,"axG",@progbits,_ZN9rocsparseL18bsrxmvn_4x4_kernelILj128ELj64EflifffEEvT3_20rocsparse_direction_NS_24const_host_device_scalarIT1_EES1_PKS1_PKT2_SA_S7_PKT4_PKT5_S5_PT6_21rocsparse_index_base_b,comdat
	.globl	_ZN9rocsparseL18bsrxmvn_4x4_kernelILj128ELj64EflifffEEvT3_20rocsparse_direction_NS_24const_host_device_scalarIT1_EES1_PKS1_PKT2_SA_S7_PKT4_PKT5_S5_PT6_21rocsparse_index_base_b ; -- Begin function _ZN9rocsparseL18bsrxmvn_4x4_kernelILj128ELj64EflifffEEvT3_20rocsparse_direction_NS_24const_host_device_scalarIT1_EES1_PKS1_PKT2_SA_S7_PKT4_PKT5_S5_PT6_21rocsparse_index_base_b
	.p2align	8
	.type	_ZN9rocsparseL18bsrxmvn_4x4_kernelILj128ELj64EflifffEEvT3_20rocsparse_direction_NS_24const_host_device_scalarIT1_EES1_PKS1_PKT2_SA_S7_PKT4_PKT5_S5_PT6_21rocsparse_index_base_b,@function
_ZN9rocsparseL18bsrxmvn_4x4_kernelILj128ELj64EflifffEEvT3_20rocsparse_direction_NS_24const_host_device_scalarIT1_EES1_PKS1_PKT2_SA_S7_PKT4_PKT5_S5_PT6_21rocsparse_index_base_b: ; @_ZN9rocsparseL18bsrxmvn_4x4_kernelILj128ELj64EflifffEEvT3_20rocsparse_direction_NS_24const_host_device_scalarIT1_EES1_PKS1_PKT2_SA_S7_PKT4_PKT5_S5_PT6_21rocsparse_index_base_b
; %bb.0:
	s_clause 0x2
	s_load_b64 s[18:19], s[0:1], 0x58
	s_load_b64 s[16:17], s[0:1], 0x8
	;; [unrolled: 1-line block ×3, first 2 shown]
	s_waitcnt lgkmcnt(0)
	s_bitcmp1_b32 s19, 0
	s_cselect_b32 s2, -1, 0
	s_delay_alu instid0(SALU_CYCLE_1)
	s_and_b32 vcc_lo, exec_lo, s2
	s_xor_b32 s2, s2, -1
	s_cbranch_vccnz .LBB24_2
; %bb.1:
	s_load_b32 s16, s[16:17], 0x0
.LBB24_2:
	s_and_not1_b32 vcc_lo, exec_lo, s2
	s_cbranch_vccnz .LBB24_4
; %bb.3:
	s_load_b32 s12, s[12:13], 0x0
.LBB24_4:
	s_waitcnt lgkmcnt(0)
	v_cmp_neq_f32_e64 s2, s16, 0
	v_cmp_neq_f32_e64 s3, s12, 1.0
	s_mov_b32 s6, 0
	s_delay_alu instid0(VALU_DEP_1) | instskip(NEXT) | instid1(SALU_CYCLE_1)
	s_or_b32 s2, s2, s3
	s_and_not1_b32 vcc_lo, exec_lo, s2
	s_cbranch_vccnz .LBB24_10
; %bb.5:
	s_clause 0x1
	s_load_b64 s[4:5], s[0:1], 0x18
	s_load_b64 s[2:3], s[0:1], 0x0
	v_lshrrev_b32_e32 v1, 6, v0
	s_delay_alu instid0(VALU_DEP_1)
	v_lshl_or_b32 v4, s15, 1, v1
	s_waitcnt lgkmcnt(0)
	s_cmp_lg_u64 s[4:5], 0
	s_cbranch_scc0 .LBB24_11
; %bb.6:
	s_load_b32 s6, s[0:1], 0x10
	s_mov_b32 s7, 0
                                        ; implicit-def: $vgpr1
	s_waitcnt lgkmcnt(0)
	v_cmp_gt_i32_e32 vcc_lo, s6, v4
	s_mov_b32 s6, 0
	s_and_saveexec_b32 s8, vcc_lo
	s_delay_alu instid0(SALU_CYCLE_1)
	s_xor_b32 s8, exec_lo, s8
	s_cbranch_execz .LBB24_8
; %bb.7:
	v_ashrrev_i32_e32 v5, 31, v4
	s_mov_b32 s6, exec_lo
	s_delay_alu instid0(VALU_DEP_1) | instskip(NEXT) | instid1(VALU_DEP_1)
	v_lshlrev_b64 v[1:2], 2, v[4:5]
	v_add_co_u32 v1, vcc_lo, s4, v1
	s_delay_alu instid0(VALU_DEP_2)
	v_add_co_ci_u32_e32 v2, vcc_lo, s5, v2, vcc_lo
	global_load_b32 v1, v[1:2], off
	s_waitcnt vmcnt(0)
	v_subrev_nc_u32_e32 v1, s18, v1
.LBB24_8:
	s_or_b32 exec_lo, exec_lo, s8
	s_delay_alu instid0(SALU_CYCLE_1)
	s_and_b32 vcc_lo, exec_lo, s7
	s_cbranch_vccz .LBB24_12
.LBB24_9:
	v_cmp_gt_i32_e32 vcc_lo, s2, v4
	s_and_not1_b32 s2, s6, exec_lo
	s_and_b32 s4, vcc_lo, exec_lo
	s_delay_alu instid0(SALU_CYCLE_1) | instskip(NEXT) | instid1(SALU_CYCLE_1)
	s_or_b32 s6, s2, s4
	s_and_saveexec_b32 s2, s6
	s_cbranch_execnz .LBB24_13
.LBB24_10:
	s_nop 0
	s_sendmsg sendmsg(MSG_DEALLOC_VGPRS)
	s_endpgm
.LBB24_11:
                                        ; implicit-def: $vgpr1
	s_cbranch_execnz .LBB24_9
.LBB24_12:
	s_delay_alu instid0(VALU_DEP_1)
	v_mov_b32_e32 v4, v1
	s_and_saveexec_b32 s2, s6
	s_cbranch_execz .LBB24_10
.LBB24_13:
	s_load_b256 s[4:11], s[0:1], 0x20
	s_delay_alu instid0(VALU_DEP_1) | instskip(SKIP_1) | instid1(VALU_DEP_2)
	v_ashrrev_i32_e32 v5, 31, v4
	v_dual_mov_b32 v20, 0 :: v_dual_and_b32 v19, 63, v0
	v_lshlrev_b64 v[1:2], 3, v[4:5]
	s_waitcnt lgkmcnt(0)
	s_delay_alu instid0(VALU_DEP_1) | instskip(NEXT) | instid1(VALU_DEP_2)
	v_add_co_u32 v5, vcc_lo, s4, v1
	v_add_co_ci_u32_e32 v6, vcc_lo, s5, v2, vcc_lo
	v_add_co_u32 v1, vcc_lo, s6, v1
	v_add_co_ci_u32_e32 v2, vcc_lo, s7, v2, vcc_lo
	s_delay_alu instid0(VALU_DEP_4)
	v_add_co_u32 v3, vcc_lo, v5, 8
	global_load_b64 v[7:8], v[5:6], off
	v_add_co_ci_u32_e32 v9, vcc_lo, 0, v6, vcc_lo
	s_cmp_eq_u64 s[6:7], 0
	s_load_b64 s[4:5], s[0:1], 0x40
	s_cselect_b32 vcc_lo, -1, 0
	s_cmp_eq_u32 s3, 1
	v_dual_cndmask_b32 v2, v2, v9 :: v_dual_cndmask_b32 v1, v1, v3
	s_mov_b32 s3, 0
	global_load_b64 v[2:3], v[1:2], off
	s_waitcnt vmcnt(1)
	v_sub_co_u32 v0, vcc_lo, v7, s18
	v_subrev_co_ci_u32_e32 v1, vcc_lo, 0, v8, vcc_lo
	s_delay_alu instid0(VALU_DEP_2) | instskip(NEXT) | instid1(VALU_DEP_2)
	v_add_co_u32 v0, vcc_lo, v0, v19
	v_add_co_ci_u32_e32 v1, vcc_lo, 0, v1, vcc_lo
	s_delay_alu instid0(VALU_DEP_1) | instskip(SKIP_3) | instid1(VALU_DEP_3)
	v_lshlrev_b64 v[5:6], 6, v[0:1]
	s_waitcnt vmcnt(0)
	v_sub_co_u32 v2, vcc_lo, v2, s18
	v_subrev_co_ci_u32_e32 v3, vcc_lo, 0, v3, vcc_lo
	v_add_co_u32 v5, vcc_lo, s10, v5
	s_delay_alu instid0(VALU_DEP_2)
	v_cmp_lt_i64_e64 s2, v[0:1], v[2:3]
	v_add_co_ci_u32_e32 v6, vcc_lo, s11, v6, vcc_lo
	s_cbranch_scc1 .LBB24_25
; %bb.14:
	v_dual_mov_b32 v22, 0 :: v_dual_mov_b32 v23, 0
	v_mov_b32_e32 v21, 0
	s_delay_alu instid0(VALU_DEP_4)
	s_and_saveexec_b32 s6, s2
	s_cbranch_execz .LBB24_24
; %bb.15:
	v_or_b32_e32 v9, 64, v19
	v_not_b32_e32 v12, v7
	v_not_b32_e32 v11, v8
	v_mov_b32_e32 v23, 0
	v_dual_mov_b32 v21, 0 :: v_dual_mov_b32 v20, 0
	v_sub_co_u32 v9, s7, v9, s18
	s_delay_alu instid0(VALU_DEP_1) | instskip(SKIP_1) | instid1(VALU_DEP_3)
	v_sub_co_ci_u32_e64 v10, null, 0, 0, s7
	v_sub_co_u32 v13, s7, s18, v19
	v_add_co_u32 v9, vcc_lo, v9, v7
	s_delay_alu instid0(VALU_DEP_3) | instskip(SKIP_2) | instid1(VALU_DEP_2)
	v_add_co_ci_u32_e32 v10, vcc_lo, v10, v8, vcc_lo
	v_sub_co_ci_u32_e64 v14, null, 0, 0, s7
	s_mov_b32 s7, exec_lo
	v_cmp_gt_i64_e32 vcc_lo, v[9:10], v[2:3]
	v_mov_b32_e32 v22, 0
	v_dual_cndmask_b32 v10, v3, v10 :: v_dual_cndmask_b32 v9, v2, v9
	v_add_co_u32 v12, vcc_lo, v13, v12
	v_add_co_ci_u32_e32 v11, vcc_lo, v14, v11, vcc_lo
	s_delay_alu instid0(VALU_DEP_2) | instskip(NEXT) | instid1(VALU_DEP_2)
	v_add_co_u32 v13, vcc_lo, v12, v9
	v_add_co_ci_u32_e32 v14, vcc_lo, v11, v10, vcc_lo
	v_mov_b32_e32 v12, v6
	s_delay_alu instid0(VALU_DEP_3) | instskip(SKIP_1) | instid1(VALU_DEP_2)
	v_lshrrev_b32_e32 v9, 6, v13
	v_mov_b32_e32 v11, v5
	v_add_nc_u32_e32 v9, 1, v9
	s_delay_alu instid0(VALU_DEP_1) | instskip(SKIP_1) | instid1(VALU_DEP_2)
	v_dual_mov_b32 v10, v1 :: v_dual_and_b32 v15, 3, v9
	v_mov_b32_e32 v9, v0
	v_cmpx_ne_u32_e32 0, v15
	s_cbranch_execz .LBB24_19
; %bb.16:
	v_lshlrev_b64 v[9:10], 2, v[0:1]
	v_dual_mov_b32 v16, 0 :: v_dual_lshlrev_b32 v15, 4, v15
	v_dual_mov_b32 v12, v6 :: v_dual_mov_b32 v11, v5
	s_mov_b32 s10, 0
	s_delay_alu instid0(VALU_DEP_3) | instskip(NEXT) | instid1(VALU_DEP_4)
	v_add_co_u32 v17, vcc_lo, s8, v9
	v_add_co_ci_u32_e32 v18, vcc_lo, s9, v10, vcc_lo
	v_dual_mov_b32 v10, v1 :: v_dual_mov_b32 v9, v0
	v_mov_b32_e32 v20, v16
	v_mov_b32_e32 v22, v16
	;; [unrolled: 1-line block ×4, first 2 shown]
.LBB24_17:                              ; =>This Inner Loop Header: Depth=1
	global_load_b32 v40, v[17:18], off
	s_clause 0x3
	global_load_b128 v[24:27], v[11:12], off offset:48
	global_load_b128 v[28:31], v[11:12], off offset:32
	global_load_b128 v[32:35], v[11:12], off offset:16
	global_load_b128 v[36:39], v[11:12], off
	s_waitcnt vmcnt(4)
	v_subrev_nc_u32_e32 v40, s18, v40
	s_delay_alu instid0(VALU_DEP_1) | instskip(NEXT) | instid1(VALU_DEP_1)
	v_lshlrev_b32_e32 v40, 2, v40
	v_ashrrev_i32_e32 v41, 31, v40
	s_delay_alu instid0(VALU_DEP_1) | instskip(SKIP_1) | instid1(VALU_DEP_1)
	v_lshlrev_b64 v[40:41], 2, v[40:41]
	s_waitcnt lgkmcnt(0)
	v_add_co_u32 v40, vcc_lo, s4, v40
	s_delay_alu instid0(VALU_DEP_2)
	v_add_co_ci_u32_e32 v41, vcc_lo, s5, v41, vcc_lo
	v_add_co_u32 v11, vcc_lo, 0x1000, v11
	v_add_co_ci_u32_e32 v12, vcc_lo, 0, v12, vcc_lo
	global_load_b128 v[40:43], v[40:41], off
	v_add_co_u32 v9, vcc_lo, v9, 64
	v_add_co_ci_u32_e32 v10, vcc_lo, 0, v10, vcc_lo
	v_add_co_u32 v17, vcc_lo, 0x100, v17
	v_add_co_ci_u32_e32 v18, vcc_lo, 0, v18, vcc_lo
	v_add_co_u32 v15, vcc_lo, v15, -16
	v_add_co_ci_u32_e32 v16, vcc_lo, -1, v16, vcc_lo
	s_delay_alu instid0(VALU_DEP_1) | instskip(SKIP_3) | instid1(VALU_DEP_1)
	v_cmp_eq_u64_e32 vcc_lo, 0, v[15:16]
	s_or_b32 s10, vcc_lo, s10
	s_waitcnt vmcnt(0)
	v_fmac_f32_e32 v20, v24, v40
	v_dual_fmac_f32 v23, v32, v40 :: v_dual_fmac_f32 v20, v25, v41
	s_delay_alu instid0(VALU_DEP_1) | instskip(NEXT) | instid1(VALU_DEP_1)
	v_dual_fmac_f32 v22, v28, v40 :: v_dual_fmac_f32 v23, v33, v41
	v_dual_fmac_f32 v21, v36, v40 :: v_dual_fmac_f32 v22, v29, v41
	s_delay_alu instid0(VALU_DEP_1) | instskip(NEXT) | instid1(VALU_DEP_1)
	v_fmac_f32_e32 v21, v37, v41
	v_fmac_f32_e32 v21, v38, v42
	s_delay_alu instid0(VALU_DEP_1) | instskip(NEXT) | instid1(VALU_DEP_1)
	v_dual_fmac_f32 v22, v30, v42 :: v_dual_fmac_f32 v21, v39, v43
	v_dual_fmac_f32 v23, v34, v42 :: v_dual_fmac_f32 v22, v31, v43
	s_delay_alu instid0(VALU_DEP_1) | instskip(NEXT) | instid1(VALU_DEP_1)
	v_dual_fmac_f32 v20, v26, v42 :: v_dual_fmac_f32 v23, v35, v43
	v_fmac_f32_e32 v20, v27, v43
	s_and_not1_b32 exec_lo, exec_lo, s10
	s_cbranch_execnz .LBB24_17
; %bb.18:
	s_or_b32 exec_lo, exec_lo, s10
.LBB24_19:
	s_delay_alu instid0(SALU_CYCLE_1) | instskip(NEXT) | instid1(SALU_CYCLE_1)
	s_or_b32 exec_lo, exec_lo, s7
	s_mov_b32 s7, exec_lo
	v_cmpx_lt_u64_e32 0xbf, v[13:14]
	s_cbranch_execz .LBB24_23
; %bb.20:
	v_lshlrev_b64 v[13:14], 2, v[9:10]
	s_mov_b32 s10, 0
	s_delay_alu instid0(VALU_DEP_1) | instskip(NEXT) | instid1(VALU_DEP_2)
	v_add_co_u32 v13, vcc_lo, v13, s8
	v_add_co_ci_u32_e32 v14, vcc_lo, s9, v14, vcc_lo
	s_delay_alu instid0(VALU_DEP_2) | instskip(NEXT) | instid1(VALU_DEP_2)
	v_add_co_u32 v13, vcc_lo, 0x200, v13
	v_add_co_ci_u32_e32 v14, vcc_lo, 0, v14, vcc_lo
.LBB24_21:                              ; =>This Inner Loop Header: Depth=1
	s_clause 0x3
	global_load_b32 v84, v[13:14], off offset:-512
	global_load_b32 v85, v[13:14], off offset:-256
	global_load_b32 v86, v[13:14], off
	global_load_b32 v87, v[13:14], off offset:256
	s_clause 0x3
	global_load_b128 v[15:18], v[11:12], off offset:48
	global_load_b128 v[24:27], v[11:12], off offset:32
	;; [unrolled: 1-line block ×3, first 2 shown]
	global_load_b128 v[32:35], v[11:12], off
	v_add_co_u32 v44, vcc_lo, 0x1000, v11
	v_add_co_ci_u32_e32 v45, vcc_lo, 0, v12, vcc_lo
	v_add_co_u32 v52, vcc_lo, v11, 0x2000
	v_add_co_ci_u32_e32 v53, vcc_lo, 0, v12, vcc_lo
	v_add_co_u32 v64, vcc_lo, 0x2000, v11
	v_add_co_ci_u32_e32 v65, vcc_lo, 0, v12, vcc_lo
	v_add_co_u32 v80, vcc_lo, 0x3000, v11
	v_add_co_ci_u32_e32 v81, vcc_lo, 0, v12, vcc_lo
	s_clause 0xb
	global_load_b128 v[36:39], v[44:45], off offset:48
	global_load_b128 v[40:43], v[44:45], off offset:32
	;; [unrolled: 1-line block ×3, first 2 shown]
	global_load_b128 v[48:51], v[52:53], off offset:-4096
	global_load_b128 v[52:55], v[52:53], off
	global_load_b128 v[56:59], v[64:65], off offset:48
	global_load_b128 v[60:63], v[64:65], off offset:32
	global_load_b128 v[64:67], v[64:65], off offset:16
	global_load_b128 v[68:71], v[80:81], off offset:48
	global_load_b128 v[72:75], v[80:81], off offset:32
	global_load_b128 v[76:79], v[80:81], off
	global_load_b128 v[80:83], v[80:81], off offset:16
	s_waitcnt vmcnt(19)
	v_subrev_nc_u32_e32 v84, s18, v84
	s_waitcnt vmcnt(18)
	v_subrev_nc_u32_e32 v85, s18, v85
	s_waitcnt vmcnt(17)
	v_subrev_nc_u32_e32 v86, s18, v86
	s_waitcnt vmcnt(16)
	v_subrev_nc_u32_e32 v87, s18, v87
	v_lshlrev_b32_e32 v84, 2, v84
	v_lshlrev_b32_e32 v88, 2, v85
	;; [unrolled: 1-line block ×3, first 2 shown]
	s_delay_alu instid0(VALU_DEP_4) | instskip(NEXT) | instid1(VALU_DEP_4)
	v_lshlrev_b32_e32 v96, 2, v87
	v_ashrrev_i32_e32 v85, 31, v84
	s_delay_alu instid0(VALU_DEP_4) | instskip(NEXT) | instid1(VALU_DEP_2)
	v_ashrrev_i32_e32 v89, 31, v88
	v_lshlrev_b64 v[84:85], 2, v[84:85]
	s_delay_alu instid0(VALU_DEP_2) | instskip(SKIP_1) | instid1(VALU_DEP_2)
	v_lshlrev_b64 v[88:89], 2, v[88:89]
	s_waitcnt lgkmcnt(0)
	v_add_co_u32 v84, vcc_lo, s4, v84
	s_delay_alu instid0(VALU_DEP_3) | instskip(NEXT) | instid1(VALU_DEP_3)
	v_add_co_ci_u32_e32 v85, vcc_lo, s5, v85, vcc_lo
	v_add_co_u32 v88, vcc_lo, s4, v88
	s_delay_alu instid0(VALU_DEP_4)
	v_add_co_ci_u32_e32 v89, vcc_lo, s5, v89, vcc_lo
	s_clause 0x1
	global_load_b128 v[84:87], v[84:85], off
	global_load_b128 v[88:91], v[88:89], off
	s_waitcnt vmcnt(1)
	v_fmac_f32_e32 v23, v28, v84
	v_ashrrev_i32_e32 v93, 31, v92
	v_fmac_f32_e32 v21, v32, v84
	s_delay_alu instid0(VALU_DEP_3) | instskip(NEXT) | instid1(VALU_DEP_3)
	v_fmac_f32_e32 v23, v29, v85
	v_lshlrev_b64 v[92:93], 2, v[92:93]
	v_ashrrev_i32_e32 v97, 31, v96
	s_delay_alu instid0(VALU_DEP_4) | instskip(NEXT) | instid1(VALU_DEP_4)
	v_dual_fmac_f32 v20, v15, v84 :: v_dual_fmac_f32 v21, v33, v85
	v_dual_fmac_f32 v23, v30, v86 :: v_dual_fmac_f32 v22, v24, v84
	s_delay_alu instid0(VALU_DEP_4) | instskip(NEXT) | instid1(VALU_DEP_3)
	v_add_co_u32 v92, vcc_lo, s4, v92
	v_fmac_f32_e32 v21, v34, v86
	v_add_co_ci_u32_e32 v93, vcc_lo, s5, v93, vcc_lo
	v_lshlrev_b64 v[96:97], 2, v[96:97]
	s_delay_alu instid0(VALU_DEP_3)
	v_dual_fmac_f32 v22, v25, v85 :: v_dual_fmac_f32 v21, v35, v87
	global_load_b128 v[92:95], v[92:93], off
	v_dual_fmac_f32 v20, v16, v85 :: v_dual_fmac_f32 v23, v31, v87
	v_add_co_u32 v96, vcc_lo, s4, v96
	v_add_co_ci_u32_e32 v97, vcc_lo, s5, v97, vcc_lo
	s_waitcnt vmcnt(1)
	v_dual_fmac_f32 v22, v26, v86 :: v_dual_fmac_f32 v21, v48, v88
	v_dual_fmac_f32 v20, v17, v86 :: v_dual_fmac_f32 v23, v44, v88
	global_load_b128 v[96:99], v[96:97], off
	v_dual_fmac_f32 v22, v27, v87 :: v_dual_fmac_f32 v21, v49, v89
	v_dual_fmac_f32 v20, v18, v87 :: v_dual_fmac_f32 v23, v45, v89
	v_add_co_u32 v9, vcc_lo, 0x100, v9
	s_delay_alu instid0(VALU_DEP_3) | instskip(NEXT) | instid1(VALU_DEP_3)
	v_dual_fmac_f32 v22, v40, v88 :: v_dual_fmac_f32 v21, v50, v90
	v_dual_fmac_f32 v20, v36, v88 :: v_dual_fmac_f32 v23, v46, v90
	v_add_co_ci_u32_e32 v10, vcc_lo, 0, v10, vcc_lo
	s_delay_alu instid0(VALU_DEP_3) | instskip(NEXT) | instid1(VALU_DEP_3)
	v_dual_fmac_f32 v22, v41, v89 :: v_dual_fmac_f32 v21, v51, v91
	v_dual_fmac_f32 v20, v37, v89 :: v_dual_fmac_f32 v23, v47, v91
	v_add_co_u32 v13, vcc_lo, 0x400, v13
	s_delay_alu instid0(VALU_DEP_3) | instskip(NEXT) | instid1(VALU_DEP_3)
	v_fmac_f32_e32 v22, v42, v90
	v_fmac_f32_e32 v20, v38, v90
	v_add_co_ci_u32_e32 v14, vcc_lo, 0, v14, vcc_lo
	v_add_co_u32 v11, vcc_lo, 0x4000, v11
	v_add_co_ci_u32_e32 v12, vcc_lo, 0, v12, vcc_lo
	v_cmp_ge_i64_e32 vcc_lo, v[9:10], v[2:3]
	s_or_b32 s10, vcc_lo, s10
	s_waitcnt vmcnt(1)
	v_dual_fmac_f32 v23, v64, v92 :: v_dual_fmac_f32 v20, v39, v91
	v_dual_fmac_f32 v21, v52, v92 :: v_dual_fmac_f32 v22, v43, v91
	s_delay_alu instid0(VALU_DEP_2) | instskip(NEXT) | instid1(VALU_DEP_2)
	v_dual_fmac_f32 v23, v65, v93 :: v_dual_fmac_f32 v20, v56, v92
	v_dual_fmac_f32 v21, v53, v93 :: v_dual_fmac_f32 v22, v60, v92
	s_delay_alu instid0(VALU_DEP_2) | instskip(NEXT) | instid1(VALU_DEP_2)
	;; [unrolled: 3-line block ×3, first 2 shown]
	v_dual_fmac_f32 v23, v67, v95 :: v_dual_fmac_f32 v20, v58, v94
	v_dual_fmac_f32 v21, v55, v95 :: v_dual_fmac_f32 v22, v62, v94
	s_waitcnt vmcnt(0)
	s_delay_alu instid0(VALU_DEP_2) | instskip(NEXT) | instid1(VALU_DEP_2)
	v_dual_fmac_f32 v23, v80, v96 :: v_dual_fmac_f32 v20, v59, v95
	v_dual_fmac_f32 v21, v76, v96 :: v_dual_fmac_f32 v22, v63, v95
	s_delay_alu instid0(VALU_DEP_2) | instskip(NEXT) | instid1(VALU_DEP_2)
	v_dual_fmac_f32 v23, v81, v97 :: v_dual_fmac_f32 v20, v68, v96
	v_dual_fmac_f32 v21, v77, v97 :: v_dual_fmac_f32 v22, v72, v96
	s_delay_alu instid0(VALU_DEP_2) | instskip(NEXT) | instid1(VALU_DEP_2)
	v_dual_fmac_f32 v23, v82, v98 :: v_dual_fmac_f32 v20, v69, v97
	v_dual_fmac_f32 v21, v78, v98 :: v_dual_fmac_f32 v22, v73, v97
	s_delay_alu instid0(VALU_DEP_2) | instskip(NEXT) | instid1(VALU_DEP_2)
	v_dual_fmac_f32 v23, v83, v99 :: v_dual_fmac_f32 v20, v70, v98
	v_dual_fmac_f32 v21, v79, v99 :: v_dual_fmac_f32 v22, v74, v98
	s_delay_alu instid0(VALU_DEP_2) | instskip(NEXT) | instid1(VALU_DEP_2)
	v_fmac_f32_e32 v20, v71, v99
	v_fmac_f32_e32 v22, v75, v99
	s_and_not1_b32 exec_lo, exec_lo, s10
	s_cbranch_execnz .LBB24_21
; %bb.22:
	s_or_b32 exec_lo, exec_lo, s10
.LBB24_23:
	s_delay_alu instid0(SALU_CYCLE_1)
	s_or_b32 exec_lo, exec_lo, s7
.LBB24_24:
	s_delay_alu instid0(SALU_CYCLE_1) | instskip(NEXT) | instid1(SALU_CYCLE_1)
	s_or_b32 exec_lo, exec_lo, s6
	s_and_not1_b32 vcc_lo, exec_lo, s3
	s_cbranch_vccz .LBB24_26
	s_branch .LBB24_37
.LBB24_25:
                                        ; implicit-def: $vgpr20
                                        ; implicit-def: $vgpr22
                                        ; implicit-def: $vgpr23
                                        ; implicit-def: $vgpr21
.LBB24_26:
	v_dual_mov_b32 v20, 0 :: v_dual_mov_b32 v23, 0
	v_dual_mov_b32 v22, 0 :: v_dual_mov_b32 v21, 0
	s_delay_alu instid0(VALU_DEP_4)
	s_and_saveexec_b32 s3, s2
	s_cbranch_execz .LBB24_36
; %bb.27:
	v_or_b32_e32 v9, 64, v19
	v_mov_b32_e32 v21, 0
	v_dual_mov_b32 v23, 0 :: v_dual_mov_b32 v22, 0
	v_mov_b32_e32 v20, 0
	s_delay_alu instid0(VALU_DEP_4) | instskip(NEXT) | instid1(VALU_DEP_1)
	v_sub_co_u32 v9, s2, v9, s18
	v_sub_co_ci_u32_e64 v10, null, 0, 0, s2
	v_sub_co_u32 v11, s2, s18, v19
	s_delay_alu instid0(VALU_DEP_3) | instskip(NEXT) | instid1(VALU_DEP_3)
	v_add_co_u32 v9, vcc_lo, v9, v7
	v_add_co_ci_u32_e32 v10, vcc_lo, v10, v8, vcc_lo
	v_not_b32_e32 v7, v7
	v_not_b32_e32 v8, v8
	v_sub_co_ci_u32_e64 v12, null, 0, 0, s2
	s_delay_alu instid0(VALU_DEP_4) | instskip(SKIP_4) | instid1(VALU_DEP_2)
	v_cmp_gt_i64_e32 vcc_lo, v[9:10], v[2:3]
	s_mov_b32 s2, exec_lo
	v_dual_cndmask_b32 v10, v3, v10 :: v_dual_cndmask_b32 v9, v2, v9
	v_add_co_u32 v7, vcc_lo, v11, v7
	v_add_co_ci_u32_e32 v8, vcc_lo, v12, v8, vcc_lo
	v_add_co_u32 v7, vcc_lo, v7, v9
	s_delay_alu instid0(VALU_DEP_2) | instskip(NEXT) | instid1(VALU_DEP_2)
	v_add_co_ci_u32_e32 v8, vcc_lo, v8, v10, vcc_lo
	v_lshrrev_b32_e32 v9, 6, v7
	s_delay_alu instid0(VALU_DEP_1) | instskip(NEXT) | instid1(VALU_DEP_1)
	v_add_nc_u32_e32 v9, 1, v9
	v_and_b32_e32 v9, 3, v9
	s_delay_alu instid0(VALU_DEP_1)
	v_cmpx_ne_u32_e32 0, v9
	s_cbranch_execz .LBB24_31
; %bb.28:
	v_lshlrev_b64 v[11:12], 2, v[0:1]
	v_dual_mov_b32 v10, 0 :: v_dual_lshlrev_b32 v9, 4, v9
	s_mov_b32 s6, 0
	s_delay_alu instid0(VALU_DEP_1) | instskip(NEXT) | instid1(VALU_DEP_3)
	v_mov_b32_e32 v20, v10
	v_add_co_u32 v11, vcc_lo, s8, v11
	s_delay_alu instid0(VALU_DEP_4)
	v_add_co_ci_u32_e32 v12, vcc_lo, s9, v12, vcc_lo
	v_mov_b32_e32 v22, v10
	v_mov_b32_e32 v23, v10
	;; [unrolled: 1-line block ×3, first 2 shown]
.LBB24_29:                              ; =>This Inner Loop Header: Depth=1
	global_load_b32 v17, v[11:12], off
	s_clause 0x1
	global_load_b128 v[13:16], v[5:6], off offset:16
	global_load_b128 v[24:27], v[5:6], off
	s_waitcnt vmcnt(2)
	v_subrev_nc_u32_e32 v17, s18, v17
	s_delay_alu instid0(VALU_DEP_1) | instskip(NEXT) | instid1(VALU_DEP_1)
	v_lshlrev_b32_e32 v17, 2, v17
	v_ashrrev_i32_e32 v18, 31, v17
	s_delay_alu instid0(VALU_DEP_1) | instskip(SKIP_1) | instid1(VALU_DEP_1)
	v_lshlrev_b64 v[17:18], 2, v[17:18]
	s_waitcnt lgkmcnt(0)
	v_add_co_u32 v17, vcc_lo, s4, v17
	s_delay_alu instid0(VALU_DEP_2)
	v_add_co_ci_u32_e32 v18, vcc_lo, s5, v18, vcc_lo
	global_load_b128 v[28:31], v[17:18], off
	s_clause 0x1
	global_load_b128 v[32:35], v[5:6], off offset:32
	global_load_b128 v[36:39], v[5:6], off offset:48
	v_add_co_u32 v5, vcc_lo, 0x1000, v5
	v_add_co_ci_u32_e32 v6, vcc_lo, 0, v6, vcc_lo
	v_add_co_u32 v0, vcc_lo, v0, 64
	v_add_co_ci_u32_e32 v1, vcc_lo, 0, v1, vcc_lo
	;; [unrolled: 2-line block ×3, first 2 shown]
	v_add_co_u32 v9, vcc_lo, v9, -16
	v_add_co_ci_u32_e32 v10, vcc_lo, -1, v10, vcc_lo
	s_delay_alu instid0(VALU_DEP_1) | instskip(SKIP_3) | instid1(VALU_DEP_1)
	v_cmp_eq_u64_e32 vcc_lo, 0, v[9:10]
	s_or_b32 s6, vcc_lo, s6
	s_waitcnt vmcnt(2)
	v_fmac_f32_e32 v22, v26, v28
	v_dual_fmac_f32 v21, v24, v28 :: v_dual_fmac_f32 v22, v15, v29
	s_delay_alu instid0(VALU_DEP_1) | instskip(SKIP_1) | instid1(VALU_DEP_2)
	v_dual_fmac_f32 v20, v27, v28 :: v_dual_fmac_f32 v21, v13, v29
	s_waitcnt vmcnt(1)
	v_dual_fmac_f32 v23, v25, v28 :: v_dual_fmac_f32 v22, v34, v30
	s_delay_alu instid0(VALU_DEP_2) | instskip(NEXT) | instid1(VALU_DEP_3)
	v_fmac_f32_e32 v20, v16, v29
	v_fmac_f32_e32 v21, v32, v30
	s_delay_alu instid0(VALU_DEP_3) | instskip(SKIP_2) | instid1(VALU_DEP_3)
	v_fmac_f32_e32 v23, v14, v29
	s_waitcnt vmcnt(0)
	v_fmac_f32_e32 v22, v38, v31
	v_dual_fmac_f32 v20, v35, v30 :: v_dual_fmac_f32 v21, v36, v31
	s_delay_alu instid0(VALU_DEP_1) | instskip(NEXT) | instid1(VALU_DEP_1)
	v_dual_fmac_f32 v23, v33, v30 :: v_dual_fmac_f32 v20, v39, v31
	v_fmac_f32_e32 v23, v37, v31
	s_and_not1_b32 exec_lo, exec_lo, s6
	s_cbranch_execnz .LBB24_29
; %bb.30:
	s_or_b32 exec_lo, exec_lo, s6
.LBB24_31:
	s_delay_alu instid0(SALU_CYCLE_1) | instskip(NEXT) | instid1(SALU_CYCLE_1)
	s_or_b32 exec_lo, exec_lo, s2
	s_mov_b32 s2, exec_lo
	v_cmpx_lt_u64_e32 0xbf, v[7:8]
	s_cbranch_execz .LBB24_35
; %bb.32:
	v_lshlrev_b64 v[7:8], 2, v[0:1]
	s_mov_b32 s6, 0
	s_delay_alu instid0(VALU_DEP_1) | instskip(NEXT) | instid1(VALU_DEP_2)
	v_add_co_u32 v7, vcc_lo, v7, s8
	v_add_co_ci_u32_e32 v8, vcc_lo, s9, v8, vcc_lo
	s_delay_alu instid0(VALU_DEP_2) | instskip(NEXT) | instid1(VALU_DEP_2)
	v_add_co_u32 v7, vcc_lo, 0x200, v7
	v_add_co_ci_u32_e32 v8, vcc_lo, 0, v8, vcc_lo
.LBB24_33:                              ; =>This Inner Loop Header: Depth=1
	s_clause 0x3
	global_load_b32 v68, v[7:8], off offset:-512
	global_load_b32 v69, v[7:8], off offset:-256
	global_load_b32 v70, v[7:8], off
	global_load_b32 v71, v[7:8], off offset:256
	s_clause 0x3
	global_load_b128 v[9:12], v[5:6], off offset:48
	global_load_b128 v[13:16], v[5:6], off offset:32
	;; [unrolled: 1-line block ×3, first 2 shown]
	global_load_b128 v[28:31], v[5:6], off
	v_add_co_u32 v17, vcc_lo, 0x1000, v5
	v_add_co_ci_u32_e32 v18, vcc_lo, 0, v6, vcc_lo
	v_add_co_u32 v48, vcc_lo, v5, 0x2000
	v_add_co_ci_u32_e32 v49, vcc_lo, 0, v6, vcc_lo
	;; [unrolled: 2-line block ×4, first 2 shown]
	s_clause 0x8
	global_load_b128 v[32:35], v[17:18], off offset:48
	global_load_b128 v[36:39], v[17:18], off offset:32
	;; [unrolled: 1-line block ×3, first 2 shown]
	global_load_b128 v[44:47], v[48:49], off offset:-4096
	global_load_b128 v[48:51], v[48:49], off
	global_load_b128 v[52:55], v[60:61], off offset:48
	global_load_b128 v[56:59], v[60:61], off offset:32
	;; [unrolled: 1-line block ×3, first 2 shown]
	global_load_b128 v[64:67], v[92:93], off
	s_waitcnt vmcnt(16)
	v_subrev_nc_u32_e32 v17, s18, v68
	s_waitcnt vmcnt(15)
	v_subrev_nc_u32_e32 v18, s18, v69
	;; [unrolled: 2-line block ×4, first 2 shown]
	v_lshlrev_b32_e32 v17, 2, v17
	v_lshlrev_b32_e32 v72, 2, v18
	;; [unrolled: 1-line block ×3, first 2 shown]
	s_delay_alu instid0(VALU_DEP_4) | instskip(NEXT) | instid1(VALU_DEP_4)
	v_lshlrev_b32_e32 v80, 2, v69
	v_ashrrev_i32_e32 v18, 31, v17
	s_delay_alu instid0(VALU_DEP_1) | instskip(SKIP_1) | instid1(VALU_DEP_1)
	v_lshlrev_b64 v[17:18], 2, v[17:18]
	s_waitcnt lgkmcnt(0)
	v_add_co_u32 v17, vcc_lo, s4, v17
	s_delay_alu instid0(VALU_DEP_2)
	v_add_co_ci_u32_e32 v18, vcc_lo, s5, v18, vcc_lo
	global_load_b128 v[68:71], v[17:18], off
	s_waitcnt vmcnt(0)
	v_fmac_f32_e32 v23, v29, v68
	v_fmac_f32_e32 v21, v28, v68
	v_ashrrev_i32_e32 v73, 31, v72
	v_ashrrev_i32_e32 v81, 31, v80
	v_fmac_f32_e32 v22, v30, v68
	v_dual_fmac_f32 v20, v31, v68 :: v_dual_fmac_f32 v23, v25, v69
	s_delay_alu instid0(VALU_DEP_4)
	v_lshlrev_b64 v[17:18], 2, v[72:73]
	v_fmac_f32_e32 v21, v24, v69
	v_ashrrev_i32_e32 v77, 31, v76
	v_fmac_f32_e32 v22, v26, v69
	v_dual_fmac_f32 v20, v27, v69 :: v_dual_fmac_f32 v23, v14, v70
	v_add_co_u32 v17, vcc_lo, s4, v17
	v_add_co_ci_u32_e32 v18, vcc_lo, s5, v18, vcc_lo
	v_fmac_f32_e32 v21, v13, v70
	v_fmac_f32_e32 v22, v15, v70
	v_dual_fmac_f32 v20, v16, v70 :: v_dual_fmac_f32 v23, v10, v71
	global_load_b128 v[72:75], v[17:18], off
	v_lshlrev_b64 v[17:18], 2, v[76:77]
	v_fmac_f32_e32 v21, v9, v71
	v_fmac_f32_e32 v22, v11, v71
	;; [unrolled: 1-line block ×3, first 2 shown]
	s_delay_alu instid0(VALU_DEP_4) | instskip(SKIP_3) | instid1(VALU_DEP_1)
	v_add_co_u32 v17, vcc_lo, s4, v17
	v_add_co_ci_u32_e32 v18, vcc_lo, s5, v18, vcc_lo
	global_load_b128 v[76:79], v[17:18], off
	v_lshlrev_b64 v[17:18], 2, v[80:81]
	v_add_co_u32 v17, vcc_lo, s4, v17
	s_delay_alu instid0(VALU_DEP_2)
	v_add_co_ci_u32_e32 v18, vcc_lo, s5, v18, vcc_lo
	global_load_b128 v[80:83], v[17:18], off
	s_clause 0x2
	global_load_b128 v[84:87], v[92:93], off offset:16
	global_load_b128 v[88:91], v[92:93], off offset:32
	;; [unrolled: 1-line block ×3, first 2 shown]
	v_add_co_u32 v0, vcc_lo, 0x100, v0
	v_add_co_ci_u32_e32 v1, vcc_lo, 0, v1, vcc_lo
	v_add_co_u32 v7, vcc_lo, 0x400, v7
	v_add_co_ci_u32_e32 v8, vcc_lo, 0, v8, vcc_lo
	;; [unrolled: 2-line block ×3, first 2 shown]
	v_cmp_ge_i64_e32 vcc_lo, v[0:1], v[2:3]
	s_or_b32 s6, vcc_lo, s6
	s_waitcnt vmcnt(5)
	v_fmac_f32_e32 v23, v45, v72
	v_fmac_f32_e32 v21, v44, v72
	;; [unrolled: 1-line block ×3, first 2 shown]
	s_delay_alu instid0(VALU_DEP_3) | instskip(NEXT) | instid1(VALU_DEP_3)
	v_dual_fmac_f32 v20, v47, v72 :: v_dual_fmac_f32 v23, v41, v73
	v_fmac_f32_e32 v21, v40, v73
	s_delay_alu instid0(VALU_DEP_3) | instskip(NEXT) | instid1(VALU_DEP_3)
	v_fmac_f32_e32 v22, v42, v73
	v_dual_fmac_f32 v20, v43, v73 :: v_dual_fmac_f32 v23, v37, v74
	s_delay_alu instid0(VALU_DEP_3) | instskip(NEXT) | instid1(VALU_DEP_3)
	v_fmac_f32_e32 v21, v36, v74
	v_fmac_f32_e32 v22, v38, v74
	s_delay_alu instid0(VALU_DEP_3) | instskip(NEXT) | instid1(VALU_DEP_3)
	v_dual_fmac_f32 v20, v39, v74 :: v_dual_fmac_f32 v23, v33, v75
	v_fmac_f32_e32 v21, v32, v75
	s_delay_alu instid0(VALU_DEP_3) | instskip(SKIP_1) | instid1(VALU_DEP_3)
	v_fmac_f32_e32 v22, v34, v75
	s_waitcnt vmcnt(4)
	v_dual_fmac_f32 v20, v35, v75 :: v_dual_fmac_f32 v23, v49, v76
	s_delay_alu instid0(VALU_DEP_3) | instskip(NEXT) | instid1(VALU_DEP_3)
	v_fmac_f32_e32 v21, v48, v76
	v_fmac_f32_e32 v22, v50, v76
	s_delay_alu instid0(VALU_DEP_3) | instskip(NEXT) | instid1(VALU_DEP_3)
	v_dual_fmac_f32 v20, v51, v76 :: v_dual_fmac_f32 v23, v61, v77
	v_fmac_f32_e32 v21, v60, v77
	s_delay_alu instid0(VALU_DEP_3) | instskip(NEXT) | instid1(VALU_DEP_3)
	v_fmac_f32_e32 v22, v62, v77
	v_dual_fmac_f32 v20, v63, v77 :: v_dual_fmac_f32 v23, v57, v78
	s_delay_alu instid0(VALU_DEP_3) | instskip(NEXT) | instid1(VALU_DEP_3)
	v_fmac_f32_e32 v21, v56, v78
	v_fmac_f32_e32 v22, v58, v78
	s_delay_alu instid0(VALU_DEP_3) | instskip(NEXT) | instid1(VALU_DEP_3)
	v_dual_fmac_f32 v20, v59, v78 :: v_dual_fmac_f32 v23, v53, v79
	v_fmac_f32_e32 v21, v52, v79
	s_delay_alu instid0(VALU_DEP_3) | instskip(SKIP_1) | instid1(VALU_DEP_3)
	v_fmac_f32_e32 v22, v54, v79
	s_waitcnt vmcnt(3)
	v_dual_fmac_f32 v20, v55, v79 :: v_dual_fmac_f32 v23, v65, v80
	s_delay_alu instid0(VALU_DEP_3) | instskip(NEXT) | instid1(VALU_DEP_3)
	v_fmac_f32_e32 v21, v64, v80
	v_fmac_f32_e32 v22, v66, v80
	s_waitcnt vmcnt(2)
	s_delay_alu instid0(VALU_DEP_3) | instskip(NEXT) | instid1(VALU_DEP_3)
	v_dual_fmac_f32 v20, v67, v80 :: v_dual_fmac_f32 v23, v85, v81
	v_fmac_f32_e32 v21, v84, v81
	s_delay_alu instid0(VALU_DEP_3) | instskip(SKIP_1) | instid1(VALU_DEP_3)
	v_fmac_f32_e32 v22, v86, v81
	s_waitcnt vmcnt(1)
	v_dual_fmac_f32 v20, v87, v81 :: v_dual_fmac_f32 v23, v89, v82
	s_delay_alu instid0(VALU_DEP_3) | instskip(NEXT) | instid1(VALU_DEP_3)
	v_fmac_f32_e32 v21, v88, v82
	v_fmac_f32_e32 v22, v90, v82
	s_waitcnt vmcnt(0)
	s_delay_alu instid0(VALU_DEP_3) | instskip(NEXT) | instid1(VALU_DEP_3)
	v_dual_fmac_f32 v20, v91, v82 :: v_dual_fmac_f32 v23, v93, v83
	v_fmac_f32_e32 v21, v92, v83
	s_delay_alu instid0(VALU_DEP_3) | instskip(NEXT) | instid1(VALU_DEP_3)
	v_fmac_f32_e32 v22, v94, v83
	v_fmac_f32_e32 v20, v95, v83
	s_and_not1_b32 exec_lo, exec_lo, s6
	s_cbranch_execnz .LBB24_33
; %bb.34:
	s_or_b32 exec_lo, exec_lo, s6
.LBB24_35:
	s_delay_alu instid0(SALU_CYCLE_1)
	s_or_b32 exec_lo, exec_lo, s2
.LBB24_36:
	s_delay_alu instid0(SALU_CYCLE_1)
	s_or_b32 exec_lo, exec_lo, s3
.LBB24_37:
	v_mbcnt_lo_u32_b32 v0, -1, 0
	s_mov_b32 s2, -1
	s_delay_alu instid0(VALU_DEP_1) | instskip(SKIP_2) | instid1(VALU_DEP_3)
	v_or_b32_e32 v1, 32, v0
	v_xor_b32_e32 v6, 16, v0
	v_xor_b32_e32 v10, 8, v0
	v_cmp_gt_i32_e32 vcc_lo, 32, v1
	v_cndmask_b32_e32 v1, v0, v1, vcc_lo
	s_delay_alu instid0(VALU_DEP_4) | instskip(SKIP_2) | instid1(VALU_DEP_2)
	v_cmp_gt_i32_e32 vcc_lo, 32, v6
	v_cndmask_b32_e32 v6, v0, v6, vcc_lo
	v_cmp_gt_i32_e32 vcc_lo, 32, v10
	v_lshlrev_b32_e32 v6, 2, v6
	v_dual_cndmask_b32 v10, v0, v10 :: v_dual_lshlrev_b32 v1, 2, v1
	ds_bpermute_b32 v2, v1, v21
	v_lshlrev_b32_e32 v10, 2, v10
	s_waitcnt lgkmcnt(0)
	v_add_f32_e32 v2, v21, v2
	ds_bpermute_b32 v3, v1, v23
	ds_bpermute_b32 v5, v1, v22
	;; [unrolled: 1-line block ×4, first 2 shown]
	s_waitcnt lgkmcnt(3)
	v_add_f32_e32 v3, v23, v3
	s_waitcnt lgkmcnt(2)
	v_add_f32_e32 v5, v22, v5
	;; [unrolled: 2-line block ×3, first 2 shown]
	ds_bpermute_b32 v8, v6, v3
	ds_bpermute_b32 v9, v6, v5
	;; [unrolled: 1-line block ×3, first 2 shown]
	s_waitcnt lgkmcnt(2)
	v_dual_add_f32 v2, v2, v7 :: v_dual_add_f32 v3, v3, v8
	s_waitcnt lgkmcnt(1)
	v_add_f32_e32 v5, v5, v9
	s_waitcnt lgkmcnt(0)
	v_add_f32_e32 v1, v1, v6
	ds_bpermute_b32 v6, v10, v2
	ds_bpermute_b32 v7, v10, v3
	;; [unrolled: 1-line block ×4, first 2 shown]
	v_xor_b32_e32 v10, 4, v0
	s_delay_alu instid0(VALU_DEP_1) | instskip(SKIP_1) | instid1(VALU_DEP_1)
	v_cmp_gt_i32_e32 vcc_lo, 32, v10
	v_cndmask_b32_e32 v10, v0, v10, vcc_lo
	v_lshlrev_b32_e32 v10, 2, v10
	s_waitcnt lgkmcnt(2)
	v_dual_add_f32 v2, v2, v6 :: v_dual_add_f32 v3, v3, v7
	s_waitcnt lgkmcnt(1)
	v_add_f32_e32 v5, v5, v8
	s_waitcnt lgkmcnt(0)
	v_add_f32_e32 v1, v1, v9
	ds_bpermute_b32 v6, v10, v2
	ds_bpermute_b32 v7, v10, v3
	;; [unrolled: 1-line block ×4, first 2 shown]
	v_xor_b32_e32 v10, 2, v0
	s_delay_alu instid0(VALU_DEP_1) | instskip(SKIP_1) | instid1(VALU_DEP_1)
	v_cmp_gt_i32_e32 vcc_lo, 32, v10
	v_cndmask_b32_e32 v10, v0, v10, vcc_lo
	v_lshlrev_b32_e32 v10, 2, v10
	s_waitcnt lgkmcnt(2)
	v_dual_add_f32 v2, v2, v6 :: v_dual_add_f32 v3, v3, v7
	s_waitcnt lgkmcnt(1)
	v_add_f32_e32 v5, v5, v8
	ds_bpermute_b32 v7, v10, v3
	s_waitcnt lgkmcnt(1)
	v_add_f32_e32 v6, v1, v9
	ds_bpermute_b32 v1, v10, v2
	ds_bpermute_b32 v8, v10, v5
	;; [unrolled: 1-line block ×3, first 2 shown]
	v_xor_b32_e32 v10, 1, v0
	s_delay_alu instid0(VALU_DEP_1) | instskip(SKIP_2) | instid1(VALU_DEP_2)
	v_cmp_gt_i32_e32 vcc_lo, 32, v10
	v_cndmask_b32_e32 v0, v0, v10, vcc_lo
	v_cmp_eq_u32_e32 vcc_lo, 63, v19
	v_lshlrev_b32_e32 v10, 2, v0
	s_waitcnt lgkmcnt(2)
	v_dual_add_f32 v0, v2, v1 :: v_dual_add_f32 v1, v3, v7
	s_waitcnt lgkmcnt(0)
	v_dual_add_f32 v2, v5, v8 :: v_dual_add_f32 v3, v6, v9
	ds_bpermute_b32 v5, v10, v0
	ds_bpermute_b32 v6, v10, v1
	;; [unrolled: 1-line block ×4, first 2 shown]
	s_and_b32 exec_lo, exec_lo, vcc_lo
	s_cbranch_execz .LBB24_10
; %bb.38:
	s_load_b64 s[0:1], s[0:1], 0x50
	s_waitcnt lgkmcnt(0)
	v_dual_add_f32 v0, v0, v5 :: v_dual_add_f32 v1, v1, v6
	v_dual_add_f32 v2, v2, v7 :: v_dual_add_f32 v3, v3, v8
	v_cmp_eq_f32_e64 s3, s12, 0
	s_delay_alu instid0(VALU_DEP_3) | instskip(NEXT) | instid1(VALU_DEP_3)
	v_dual_mul_f32 v0, s16, v0 :: v_dual_mul_f32 v1, s16, v1
	v_dual_mul_f32 v2, s16, v2 :: v_dual_mul_f32 v3, s16, v3
	v_lshlrev_b32_e32 v4, 2, v4
	s_delay_alu instid0(VALU_DEP_4)
	s_and_b32 vcc_lo, exec_lo, s3
	s_cbranch_vccz .LBB24_40
; %bb.39:
	s_delay_alu instid0(VALU_DEP_1) | instskip(SKIP_1) | instid1(VALU_DEP_1)
	v_ashrrev_i32_e32 v5, 31, v4
	s_mov_b32 s2, 0
	v_lshlrev_b64 v[5:6], 2, v[4:5]
	s_delay_alu instid0(VALU_DEP_1) | instskip(NEXT) | instid1(VALU_DEP_2)
	v_add_co_u32 v5, vcc_lo, s0, v5
	v_add_co_ci_u32_e32 v6, vcc_lo, s1, v6, vcc_lo
	global_store_b128 v[5:6], v[0:3], off
.LBB24_40:
	s_and_not1_b32 vcc_lo, exec_lo, s2
	s_cbranch_vccnz .LBB24_10
; %bb.41:
	v_ashrrev_i32_e32 v5, 31, v4
	s_delay_alu instid0(VALU_DEP_1) | instskip(NEXT) | instid1(VALU_DEP_1)
	v_lshlrev_b64 v[4:5], 2, v[4:5]
	v_add_co_u32 v8, vcc_lo, s0, v4
	s_delay_alu instid0(VALU_DEP_2)
	v_add_co_ci_u32_e32 v9, vcc_lo, s1, v5, vcc_lo
	global_load_b128 v[4:7], v[8:9], off
	s_waitcnt vmcnt(0)
	v_dual_fmac_f32 v0, s12, v4 :: v_dual_fmac_f32 v1, s12, v5
	v_dual_fmac_f32 v2, s12, v6 :: v_dual_fmac_f32 v3, s12, v7
	global_store_b128 v[8:9], v[0:3], off
	s_nop 0
	s_sendmsg sendmsg(MSG_DEALLOC_VGPRS)
	s_endpgm
	.section	.rodata,"a",@progbits
	.p2align	6, 0x0
	.amdhsa_kernel _ZN9rocsparseL18bsrxmvn_4x4_kernelILj128ELj64EflifffEEvT3_20rocsparse_direction_NS_24const_host_device_scalarIT1_EES1_PKS1_PKT2_SA_S7_PKT4_PKT5_S5_PT6_21rocsparse_index_base_b
		.amdhsa_group_segment_fixed_size 0
		.amdhsa_private_segment_fixed_size 0
		.amdhsa_kernarg_size 96
		.amdhsa_user_sgpr_count 15
		.amdhsa_user_sgpr_dispatch_ptr 0
		.amdhsa_user_sgpr_queue_ptr 0
		.amdhsa_user_sgpr_kernarg_segment_ptr 1
		.amdhsa_user_sgpr_dispatch_id 0
		.amdhsa_user_sgpr_private_segment_size 0
		.amdhsa_wavefront_size32 1
		.amdhsa_uses_dynamic_stack 0
		.amdhsa_enable_private_segment 0
		.amdhsa_system_sgpr_workgroup_id_x 1
		.amdhsa_system_sgpr_workgroup_id_y 0
		.amdhsa_system_sgpr_workgroup_id_z 0
		.amdhsa_system_sgpr_workgroup_info 0
		.amdhsa_system_vgpr_workitem_id 0
		.amdhsa_next_free_vgpr 100
		.amdhsa_next_free_sgpr 20
		.amdhsa_reserve_vcc 1
		.amdhsa_float_round_mode_32 0
		.amdhsa_float_round_mode_16_64 0
		.amdhsa_float_denorm_mode_32 3
		.amdhsa_float_denorm_mode_16_64 3
		.amdhsa_dx10_clamp 1
		.amdhsa_ieee_mode 1
		.amdhsa_fp16_overflow 0
		.amdhsa_workgroup_processor_mode 1
		.amdhsa_memory_ordered 1
		.amdhsa_forward_progress 0
		.amdhsa_shared_vgpr_count 0
		.amdhsa_exception_fp_ieee_invalid_op 0
		.amdhsa_exception_fp_denorm_src 0
		.amdhsa_exception_fp_ieee_div_zero 0
		.amdhsa_exception_fp_ieee_overflow 0
		.amdhsa_exception_fp_ieee_underflow 0
		.amdhsa_exception_fp_ieee_inexact 0
		.amdhsa_exception_int_div_zero 0
	.end_amdhsa_kernel
	.section	.text._ZN9rocsparseL18bsrxmvn_4x4_kernelILj128ELj64EflifffEEvT3_20rocsparse_direction_NS_24const_host_device_scalarIT1_EES1_PKS1_PKT2_SA_S7_PKT4_PKT5_S5_PT6_21rocsparse_index_base_b,"axG",@progbits,_ZN9rocsparseL18bsrxmvn_4x4_kernelILj128ELj64EflifffEEvT3_20rocsparse_direction_NS_24const_host_device_scalarIT1_EES1_PKS1_PKT2_SA_S7_PKT4_PKT5_S5_PT6_21rocsparse_index_base_b,comdat
.Lfunc_end24:
	.size	_ZN9rocsparseL18bsrxmvn_4x4_kernelILj128ELj64EflifffEEvT3_20rocsparse_direction_NS_24const_host_device_scalarIT1_EES1_PKS1_PKT2_SA_S7_PKT4_PKT5_S5_PT6_21rocsparse_index_base_b, .Lfunc_end24-_ZN9rocsparseL18bsrxmvn_4x4_kernelILj128ELj64EflifffEEvT3_20rocsparse_direction_NS_24const_host_device_scalarIT1_EES1_PKS1_PKT2_SA_S7_PKT4_PKT5_S5_PT6_21rocsparse_index_base_b
                                        ; -- End function
	.section	.AMDGPU.csdata,"",@progbits
; Kernel info:
; codeLenInByte = 4168
; NumSgprs: 22
; NumVgprs: 100
; ScratchSize: 0
; MemoryBound: 0
; FloatMode: 240
; IeeeMode: 1
; LDSByteSize: 0 bytes/workgroup (compile time only)
; SGPRBlocks: 2
; VGPRBlocks: 12
; NumSGPRsForWavesPerEU: 22
; NumVGPRsForWavesPerEU: 100
; Occupancy: 12
; WaveLimiterHint : 1
; COMPUTE_PGM_RSRC2:SCRATCH_EN: 0
; COMPUTE_PGM_RSRC2:USER_SGPR: 15
; COMPUTE_PGM_RSRC2:TRAP_HANDLER: 0
; COMPUTE_PGM_RSRC2:TGID_X_EN: 1
; COMPUTE_PGM_RSRC2:TGID_Y_EN: 0
; COMPUTE_PGM_RSRC2:TGID_Z_EN: 0
; COMPUTE_PGM_RSRC2:TIDIG_COMP_CNT: 0
	.section	.text._ZN9rocsparseL18bsrxmvn_4x4_kernelILj128ELj4EdlidddEEvT3_20rocsparse_direction_NS_24const_host_device_scalarIT1_EES1_PKS1_PKT2_SA_S7_PKT4_PKT5_S5_PT6_21rocsparse_index_base_b,"axG",@progbits,_ZN9rocsparseL18bsrxmvn_4x4_kernelILj128ELj4EdlidddEEvT3_20rocsparse_direction_NS_24const_host_device_scalarIT1_EES1_PKS1_PKT2_SA_S7_PKT4_PKT5_S5_PT6_21rocsparse_index_base_b,comdat
	.globl	_ZN9rocsparseL18bsrxmvn_4x4_kernelILj128ELj4EdlidddEEvT3_20rocsparse_direction_NS_24const_host_device_scalarIT1_EES1_PKS1_PKT2_SA_S7_PKT4_PKT5_S5_PT6_21rocsparse_index_base_b ; -- Begin function _ZN9rocsparseL18bsrxmvn_4x4_kernelILj128ELj4EdlidddEEvT3_20rocsparse_direction_NS_24const_host_device_scalarIT1_EES1_PKS1_PKT2_SA_S7_PKT4_PKT5_S5_PT6_21rocsparse_index_base_b
	.p2align	8
	.type	_ZN9rocsparseL18bsrxmvn_4x4_kernelILj128ELj4EdlidddEEvT3_20rocsparse_direction_NS_24const_host_device_scalarIT1_EES1_PKS1_PKT2_SA_S7_PKT4_PKT5_S5_PT6_21rocsparse_index_base_b,@function
_ZN9rocsparseL18bsrxmvn_4x4_kernelILj128ELj4EdlidddEEvT3_20rocsparse_direction_NS_24const_host_device_scalarIT1_EES1_PKS1_PKT2_SA_S7_PKT4_PKT5_S5_PT6_21rocsparse_index_base_b: ; @_ZN9rocsparseL18bsrxmvn_4x4_kernelILj128ELj4EdlidddEEvT3_20rocsparse_direction_NS_24const_host_device_scalarIT1_EES1_PKS1_PKT2_SA_S7_PKT4_PKT5_S5_PT6_21rocsparse_index_base_b
; %bb.0:
	s_clause 0x2
	s_load_b64 s[12:13], s[0:1], 0x58
	s_load_b64 s[4:5], s[0:1], 0x8
	;; [unrolled: 1-line block ×3, first 2 shown]
	s_waitcnt lgkmcnt(0)
	s_bitcmp1_b32 s13, 0
	v_dual_mov_b32 v2, s4 :: v_dual_mov_b32 v3, s5
	s_cselect_b32 s6, -1, 0
	s_delay_alu instid0(SALU_CYCLE_1)
	s_and_b32 vcc_lo, exec_lo, s6
	s_xor_b32 s6, s6, -1
	s_cbranch_vccnz .LBB25_2
; %bb.1:
	v_dual_mov_b32 v1, s4 :: v_dual_mov_b32 v2, s5
	flat_load_b64 v[2:3], v[1:2]
.LBB25_2:
	v_dual_mov_b32 v9, s3 :: v_dual_mov_b32 v8, s2
	s_and_not1_b32 vcc_lo, exec_lo, s6
	s_cbranch_vccnz .LBB25_4
; %bb.3:
	v_dual_mov_b32 v5, s3 :: v_dual_mov_b32 v4, s2
	flat_load_b64 v[8:9], v[4:5]
.LBB25_4:
	s_waitcnt vmcnt(0) lgkmcnt(0)
	v_cmp_neq_f64_e32 vcc_lo, 0, v[2:3]
	v_cmp_neq_f64_e64 s2, 1.0, v[8:9]
	s_delay_alu instid0(VALU_DEP_1) | instskip(NEXT) | instid1(SALU_CYCLE_1)
	s_or_b32 s2, vcc_lo, s2
	s_and_saveexec_b32 s3, s2
	s_cbranch_execz .LBB25_10
; %bb.5:
	s_clause 0x1
	s_load_b64 s[4:5], s[0:1], 0x18
	s_load_b64 s[2:3], s[0:1], 0x0
	v_lshrrev_b32_e32 v1, 2, v0
	s_delay_alu instid0(VALU_DEP_1)
	v_lshl_or_b32 v10, s15, 5, v1
	s_waitcnt lgkmcnt(0)
	s_cmp_lg_u64 s[4:5], 0
	s_cbranch_scc0 .LBB25_11
; %bb.6:
	s_load_b32 s6, s[0:1], 0x10
	s_mov_b32 s7, 0
                                        ; implicit-def: $vgpr1
	s_waitcnt lgkmcnt(0)
	v_cmp_gt_i32_e32 vcc_lo, s6, v10
	s_mov_b32 s6, 0
	s_and_saveexec_b32 s8, vcc_lo
	s_delay_alu instid0(SALU_CYCLE_1)
	s_xor_b32 s8, exec_lo, s8
	s_cbranch_execz .LBB25_8
; %bb.7:
	v_ashrrev_i32_e32 v11, 31, v10
	s_mov_b32 s6, exec_lo
	s_delay_alu instid0(VALU_DEP_1) | instskip(NEXT) | instid1(VALU_DEP_1)
	v_lshlrev_b64 v[4:5], 2, v[10:11]
	v_add_co_u32 v4, vcc_lo, s4, v4
	s_delay_alu instid0(VALU_DEP_2)
	v_add_co_ci_u32_e32 v5, vcc_lo, s5, v5, vcc_lo
	global_load_b32 v1, v[4:5], off
	s_waitcnt vmcnt(0)
	v_subrev_nc_u32_e32 v1, s12, v1
.LBB25_8:
	s_or_b32 exec_lo, exec_lo, s8
	s_delay_alu instid0(SALU_CYCLE_1)
	s_and_b32 vcc_lo, exec_lo, s7
	s_cbranch_vccz .LBB25_12
.LBB25_9:
	v_cmp_gt_i32_e32 vcc_lo, s2, v10
	s_and_not1_b32 s2, s6, exec_lo
	s_and_b32 s4, vcc_lo, exec_lo
	s_delay_alu instid0(SALU_CYCLE_1) | instskip(NEXT) | instid1(SALU_CYCLE_1)
	s_or_b32 s6, s2, s4
	s_and_b32 exec_lo, exec_lo, s6
	s_cbranch_execnz .LBB25_13
.LBB25_10:
	s_nop 0
	s_sendmsg sendmsg(MSG_DEALLOC_VGPRS)
	s_endpgm
.LBB25_11:
	s_mov_b32 s6, 0
                                        ; implicit-def: $vgpr1
	s_cbranch_execnz .LBB25_9
.LBB25_12:
	s_delay_alu instid0(VALU_DEP_1)
	v_mov_b32_e32 v10, v1
	s_and_b32 exec_lo, exec_lo, s6
	s_cbranch_execz .LBB25_10
.LBB25_13:
	s_load_b256 s[4:11], s[0:1], 0x20
	s_delay_alu instid0(VALU_DEP_1) | instskip(SKIP_1) | instid1(VALU_DEP_2)
	v_ashrrev_i32_e32 v11, 31, v10
	v_and_b32_e32 v31, 3, v0
	v_lshlrev_b64 v[4:5], 3, v[10:11]
	s_waitcnt lgkmcnt(0)
	s_delay_alu instid0(VALU_DEP_1) | instskip(NEXT) | instid1(VALU_DEP_2)
	v_add_co_u32 v6, vcc_lo, s4, v4
	v_add_co_ci_u32_e32 v7, vcc_lo, s5, v5, vcc_lo
	v_add_co_u32 v1, vcc_lo, s6, v4
	v_add_co_ci_u32_e32 v4, vcc_lo, s7, v5, vcc_lo
	s_delay_alu instid0(VALU_DEP_4)
	v_add_co_u32 v11, vcc_lo, v6, 8
	global_load_b64 v[19:20], v[6:7], off
	v_add_co_ci_u32_e32 v5, vcc_lo, 0, v7, vcc_lo
	s_cmp_eq_u64 s[6:7], 0
	s_load_b64 s[4:5], s[0:1], 0x40
	s_cselect_b32 vcc_lo, -1, 0
	s_cmp_eq_u32 s3, 1
	v_dual_cndmask_b32 v5, v4, v5 :: v_dual_cndmask_b32 v4, v1, v11
	global_load_b64 v[4:5], v[4:5], off
	s_waitcnt vmcnt(1)
	v_sub_co_u32 v0, vcc_lo, v19, s12
	v_subrev_co_ci_u32_e32 v1, vcc_lo, 0, v20, vcc_lo
	s_delay_alu instid0(VALU_DEP_2) | instskip(NEXT) | instid1(VALU_DEP_2)
	v_add_co_u32 v0, vcc_lo, v0, v31
	v_add_co_ci_u32_e32 v1, vcc_lo, 0, v1, vcc_lo
	s_delay_alu instid0(VALU_DEP_1) | instskip(SKIP_3) | instid1(VALU_DEP_3)
	v_lshlrev_b64 v[6:7], 7, v[0:1]
	s_waitcnt vmcnt(0)
	v_sub_co_u32 v4, vcc_lo, v4, s12
	v_subrev_co_ci_u32_e32 v5, vcc_lo, 0, v5, vcc_lo
	v_add_co_u32 v6, vcc_lo, s10, v6
	s_delay_alu instid0(VALU_DEP_2)
	v_cmp_lt_i64_e64 s2, v[0:1], v[4:5]
	v_add_co_ci_u32_e32 v7, vcc_lo, s11, v7, vcc_lo
	s_cbranch_scc1 .LBB25_25
; %bb.14:
	v_mov_b32_e32 v11, 0
	v_mov_b32_e32 v12, 0
	s_delay_alu instid0(VALU_DEP_1)
	v_dual_mov_b32 v14, v12 :: v_dual_mov_b32 v13, v11
	v_dual_mov_b32 v18, v12 :: v_dual_mov_b32 v17, v11
	v_dual_mov_b32 v16, v12 :: v_dual_mov_b32 v15, v11
	s_and_saveexec_b32 s6, s2
	s_cbranch_execz .LBB25_24
; %bb.15:
	v_or_b32_e32 v11, 4, v31
	v_not_b32_e32 v14, v19
	v_not_b32_e32 v13, v20
	s_mov_b32 s10, 0
	s_mov_b32 s7, exec_lo
	v_sub_co_u32 v11, s3, v11, s12
	s_delay_alu instid0(VALU_DEP_1) | instskip(SKIP_1) | instid1(VALU_DEP_3)
	v_sub_co_ci_u32_e64 v12, null, 0, 0, s3
	v_sub_co_u32 v15, s3, s12, v31
	v_add_co_u32 v11, vcc_lo, v11, v19
	s_delay_alu instid0(VALU_DEP_3) | instskip(SKIP_2) | instid1(VALU_DEP_3)
	v_add_co_ci_u32_e32 v12, vcc_lo, v12, v20, vcc_lo
	v_sub_co_ci_u32_e64 v16, null, 0, 0, s3
	v_mov_b32_e32 v22, v1
	v_cmp_gt_i64_e32 vcc_lo, v[11:12], v[4:5]
	v_dual_mov_b32 v21, v0 :: v_dual_mov_b32 v24, v7
	v_dual_mov_b32 v23, v6 :: v_dual_cndmask_b32 v12, v5, v12
	v_cndmask_b32_e32 v11, v4, v11, vcc_lo
	v_add_co_u32 v14, vcc_lo, v15, v14
	v_add_co_ci_u32_e32 v13, vcc_lo, v16, v13, vcc_lo
	v_mov_b32_e32 v15, 0
	s_delay_alu instid0(VALU_DEP_3) | instskip(NEXT) | instid1(VALU_DEP_3)
	v_add_co_u32 v25, vcc_lo, v14, v11
	v_add_co_ci_u32_e32 v26, vcc_lo, v13, v12, vcc_lo
	v_mov_b32_e32 v16, 0
	s_delay_alu instid0(VALU_DEP_3) | instskip(NEXT) | instid1(VALU_DEP_2)
	v_lshrrev_b32_e32 v11, 2, v25
	v_dual_mov_b32 v13, v15 :: v_dual_mov_b32 v18, v16
	s_delay_alu instid0(VALU_DEP_2) | instskip(SKIP_1) | instid1(VALU_DEP_2)
	v_add_nc_u32_e32 v11, 1, v11
	v_dual_mov_b32 v17, v15 :: v_dual_mov_b32 v14, v16
	v_and_b32_e32 v27, 3, v11
	v_dual_mov_b32 v11, v15 :: v_dual_mov_b32 v12, v16
	s_delay_alu instid0(VALU_DEP_2)
	v_cmpx_ne_u32_e32 0, v27
	s_cbranch_execz .LBB25_19
; %bb.16:
	v_lshlrev_b64 v[13:14], 2, v[0:1]
	v_dual_mov_b32 v28, 0 :: v_dual_mov_b32 v11, 0
	v_dual_mov_b32 v12, 0 :: v_dual_lshlrev_b32 v27, 5, v27
	v_dual_mov_b32 v24, v7 :: v_dual_mov_b32 v23, v6
	s_delay_alu instid0(VALU_DEP_4)
	v_add_co_u32 v29, vcc_lo, s8, v13
	v_add_co_ci_u32_e32 v30, vcc_lo, s9, v14, vcc_lo
	v_dual_mov_b32 v22, v1 :: v_dual_mov_b32 v21, v0
	v_dual_mov_b32 v14, v12 :: v_dual_mov_b32 v13, v11
	v_dual_mov_b32 v18, v12 :: v_dual_mov_b32 v17, v11
	v_dual_mov_b32 v16, v12 :: v_dual_mov_b32 v15, v11
.LBB25_17:                              ; =>This Inner Loop Header: Depth=1
	global_load_b32 v60, v[29:30], off
	s_clause 0x6
	global_load_b128 v[32:35], v[23:24], off offset:48
	global_load_b128 v[36:39], v[23:24], off offset:32
	;; [unrolled: 1-line block ×3, first 2 shown]
	global_load_b128 v[44:47], v[23:24], off
	global_load_b128 v[48:51], v[23:24], off offset:112
	global_load_b128 v[52:55], v[23:24], off offset:96
	global_load_b128 v[56:59], v[23:24], off offset:80
	v_add_co_u32 v29, s3, v29, 16
	s_delay_alu instid0(VALU_DEP_1) | instskip(SKIP_2) | instid1(VALU_DEP_1)
	v_add_co_ci_u32_e64 v30, s3, 0, v30, s3
	s_waitcnt vmcnt(7)
	v_subrev_nc_u32_e32 v60, s12, v60
	v_lshlrev_b32_e32 v60, 2, v60
	s_delay_alu instid0(VALU_DEP_1) | instskip(NEXT) | instid1(VALU_DEP_1)
	v_ashrrev_i32_e32 v61, 31, v60
	v_lshlrev_b64 v[60:61], 3, v[60:61]
	s_waitcnt lgkmcnt(0)
	s_delay_alu instid0(VALU_DEP_1) | instskip(NEXT) | instid1(VALU_DEP_2)
	v_add_co_u32 v68, vcc_lo, s4, v60
	v_add_co_ci_u32_e32 v69, vcc_lo, s5, v61, vcc_lo
	global_load_b128 v[60:63], v[23:24], off offset:64
	s_clause 0x1
	global_load_b128 v[64:67], v[68:69], off
	global_load_b128 v[68:71], v[68:69], off offset:16
	v_add_co_u32 v23, vcc_lo, 0x200, v23
	v_add_co_ci_u32_e32 v24, vcc_lo, 0, v24, vcc_lo
	v_add_co_u32 v27, vcc_lo, 0xffffffe0, v27
	v_add_co_ci_u32_e32 v28, vcc_lo, -1, v28, vcc_lo
	v_add_co_u32 v21, vcc_lo, v21, 4
	v_add_co_ci_u32_e32 v22, vcc_lo, 0, v22, vcc_lo
	s_delay_alu instid0(VALU_DEP_3)
	v_cmp_eq_u64_e32 vcc_lo, 0, v[27:28]
	s_or_b32 s10, vcc_lo, s10
	s_waitcnt vmcnt(1)
	v_fma_f64 v[15:16], v[44:45], v[64:65], v[15:16]
	v_fma_f64 v[17:18], v[36:37], v[64:65], v[17:18]
	;; [unrolled: 1-line block ×4, first 2 shown]
	s_delay_alu instid0(VALU_DEP_4) | instskip(NEXT) | instid1(VALU_DEP_4)
	v_fma_f64 v[15:16], v[46:47], v[66:67], v[15:16]
	v_fma_f64 v[17:18], v[38:39], v[66:67], v[17:18]
	s_delay_alu instid0(VALU_DEP_4) | instskip(NEXT) | instid1(VALU_DEP_4)
	v_fma_f64 v[13:14], v[62:63], v[66:67], v[13:14]
	v_fma_f64 v[11:12], v[54:55], v[66:67], v[11:12]
	s_waitcnt vmcnt(0)
	s_delay_alu instid0(VALU_DEP_4) | instskip(NEXT) | instid1(VALU_DEP_4)
	v_fma_f64 v[15:16], v[40:41], v[68:69], v[15:16]
	v_fma_f64 v[17:18], v[32:33], v[68:69], v[17:18]
	s_delay_alu instid0(VALU_DEP_4) | instskip(NEXT) | instid1(VALU_DEP_4)
	v_fma_f64 v[13:14], v[56:57], v[68:69], v[13:14]
	v_fma_f64 v[11:12], v[48:49], v[68:69], v[11:12]
	;; [unrolled: 3-line block ×4, first 2 shown]
	s_and_not1_b32 exec_lo, exec_lo, s10
	s_cbranch_execnz .LBB25_17
; %bb.18:
	s_or_b32 exec_lo, exec_lo, s10
.LBB25_19:
	s_delay_alu instid0(SALU_CYCLE_1) | instskip(NEXT) | instid1(SALU_CYCLE_1)
	s_or_b32 exec_lo, exec_lo, s7
	s_mov_b32 s7, exec_lo
	v_cmpx_lt_u64_e32 11, v[25:26]
	s_cbranch_execz .LBB25_23
; %bb.20:
	v_lshlrev_b64 v[25:26], 2, v[21:22]
	s_mov_b32 s10, 0
	s_delay_alu instid0(VALU_DEP_1) | instskip(NEXT) | instid1(VALU_DEP_2)
	v_add_co_u32 v25, vcc_lo, v25, s8
	v_add_co_ci_u32_e32 v26, vcc_lo, s9, v26, vcc_lo
	s_delay_alu instid0(VALU_DEP_2) | instskip(NEXT) | instid1(VALU_DEP_2)
	v_add_co_u32 v25, vcc_lo, v25, 32
	v_add_co_ci_u32_e32 v26, vcc_lo, 0, v26, vcc_lo
.LBB25_21:                              ; =>This Inner Loop Header: Depth=1
	s_clause 0x2
	global_load_b32 v56, v[25:26], off offset:-32
	global_load_b32 v96, v[25:26], off offset:-16
	global_load_b32 v136, v[25:26], off
	s_clause 0x6
	global_load_b128 v[27:30], v[23:24], off offset:48
	global_load_b128 v[32:35], v[23:24], off offset:32
	global_load_b128 v[36:39], v[23:24], off offset:16
	global_load_b128 v[40:43], v[23:24], off
	global_load_b128 v[44:47], v[23:24], off offset:112
	global_load_b128 v[48:51], v[23:24], off offset:96
	;; [unrolled: 1-line block ×3, first 2 shown]
	global_load_b32 v146, v[25:26], off offset:16
	v_add_co_u32 v25, s3, v25, 64
	s_delay_alu instid0(VALU_DEP_1)
	v_add_co_ci_u32_e64 v26, s3, 0, v26, s3
	s_waitcnt vmcnt(10)
	v_subrev_nc_u32_e32 v56, s12, v56
	s_waitcnt vmcnt(9)
	v_subrev_nc_u32_e32 v96, s12, v96
	;; [unrolled: 2-line block ×3, first 2 shown]
	v_lshlrev_b32_e32 v56, 2, v56
	s_delay_alu instid0(VALU_DEP_3) | instskip(NEXT) | instid1(VALU_DEP_3)
	v_lshlrev_b32_e32 v96, 2, v96
	v_lshlrev_b32_e32 v136, 2, v136
	s_delay_alu instid0(VALU_DEP_3) | instskip(NEXT) | instid1(VALU_DEP_3)
	v_ashrrev_i32_e32 v57, 31, v56
	v_ashrrev_i32_e32 v97, 31, v96
	s_delay_alu instid0(VALU_DEP_3) | instskip(NEXT) | instid1(VALU_DEP_3)
	v_ashrrev_i32_e32 v137, 31, v136
	v_lshlrev_b64 v[56:57], 3, v[56:57]
	s_delay_alu instid0(VALU_DEP_3) | instskip(NEXT) | instid1(VALU_DEP_3)
	v_lshlrev_b64 v[96:97], 3, v[96:97]
	v_lshlrev_b64 v[136:137], 3, v[136:137]
	s_waitcnt lgkmcnt(0)
	s_delay_alu instid0(VALU_DEP_3) | instskip(NEXT) | instid1(VALU_DEP_4)
	v_add_co_u32 v64, vcc_lo, s4, v56
	v_add_co_ci_u32_e32 v65, vcc_lo, s5, v57, vcc_lo
	s_delay_alu instid0(VALU_DEP_4)
	v_add_co_u32 v104, vcc_lo, s4, v96
	global_load_b128 v[56:59], v[23:24], off offset:64
	s_clause 0x1
	global_load_b128 v[60:63], v[64:65], off
	global_load_b128 v[64:67], v[64:65], off offset:16
	s_clause 0x6
	global_load_b128 v[68:71], v[23:24], off offset:560
	global_load_b128 v[72:75], v[23:24], off offset:544
	;; [unrolled: 1-line block ×7, first 2 shown]
	v_add_co_ci_u32_e32 v105, vcc_lo, s5, v97, vcc_lo
	global_load_b128 v[96:99], v[23:24], off offset:576
	s_clause 0x1
	global_load_b128 v[100:103], v[104:105], off
	global_load_b128 v[104:107], v[104:105], off offset:16
	s_clause 0x6
	global_load_b128 v[108:111], v[23:24], off offset:1072
	global_load_b128 v[112:115], v[23:24], off offset:1056
	;; [unrolled: 1-line block ×7, first 2 shown]
	v_add_co_u32 v144, vcc_lo, s4, v136
	v_add_co_ci_u32_e32 v145, vcc_lo, s5, v137, vcc_lo
	global_load_b128 v[136:139], v[23:24], off offset:1088
	global_load_b128 v[140:143], v[144:145], off
	s_waitcnt vmcnt(20)
	v_fma_f64 v[15:16], v[40:41], v[60:61], v[15:16]
	v_fma_f64 v[17:18], v[32:33], v[60:61], v[17:18]
	;; [unrolled: 1-line block ×4, first 2 shown]
	v_subrev_nc_u32_e32 v60, s12, v146
	s_delay_alu instid0(VALU_DEP_1) | instskip(NEXT) | instid1(VALU_DEP_1)
	v_lshlrev_b32_e32 v60, 2, v60
	v_ashrrev_i32_e32 v61, 31, v60
	v_fma_f64 v[15:16], v[42:43], v[62:63], v[15:16]
	v_fma_f64 v[17:18], v[34:35], v[62:63], v[17:18]
	;; [unrolled: 1-line block ×4, first 2 shown]
	global_load_b128 v[11:14], v[144:145], off offset:16
	s_waitcnt vmcnt(20)
	v_fma_f64 v[36:37], v[36:37], v[64:65], v[15:16]
	v_fma_f64 v[27:28], v[27:28], v[64:65], v[17:18]
	v_fma_f64 v[52:53], v[52:53], v[64:65], v[32:33]
	v_fma_f64 v[44:45], v[44:45], v[64:65], v[34:35]
	s_clause 0x4
	global_load_b128 v[15:18], v[23:24], off offset:1584
	global_load_b128 v[32:35], v[23:24], off offset:1568
	;; [unrolled: 1-line block ×5, first 2 shown]
	v_fma_f64 v[62:63], v[38:39], v[66:67], v[36:37]
	v_fma_f64 v[64:65], v[29:30], v[66:67], v[27:28]
	;; [unrolled: 1-line block ×4, first 2 shown]
	v_lshlrev_b64 v[27:28], 3, v[60:61]
	s_delay_alu instid0(VALU_DEP_1) | instskip(NEXT) | instid1(VALU_DEP_2)
	v_add_co_u32 v60, vcc_lo, s4, v27
	v_add_co_ci_u32_e32 v61, vcc_lo, s5, v28, vcc_lo
	global_load_b128 v[27:30], v[23:24], off offset:1632
	global_load_b128 v[36:39], v[60:61], off
	v_add_co_u32 v21, vcc_lo, v21, 16
	v_add_co_ci_u32_e32 v22, vcc_lo, 0, v22, vcc_lo
	s_waitcnt vmcnt(18)
	v_fma_f64 v[46:47], v[80:81], v[100:101], v[62:63]
	v_fma_f64 v[54:55], v[72:73], v[100:101], v[64:65]
	;; [unrolled: 1-line block ×4, first 2 shown]
	s_delay_alu instid0(VALU_DEP_4) | instskip(NEXT) | instid1(VALU_DEP_4)
	v_fma_f64 v[64:65], v[82:83], v[102:103], v[46:47]
	v_fma_f64 v[66:67], v[74:75], v[102:103], v[54:55]
	s_delay_alu instid0(VALU_DEP_4) | instskip(NEXT) | instid1(VALU_DEP_4)
	v_fma_f64 v[72:73], v[98:99], v[102:103], v[52:53]
	v_fma_f64 v[74:75], v[90:91], v[102:103], v[44:45]
	s_clause 0x1
	global_load_b128 v[44:47], v[23:24], off offset:1648
	global_load_b128 v[52:55], v[23:24], off offset:1616
	;; [unrolled: 1-line block ×3, first 2 shown]
	v_add_co_u32 v23, vcc_lo, 0x800, v23
	v_add_co_ci_u32_e32 v24, vcc_lo, 0, v24, vcc_lo
	v_cmp_ge_i64_e32 vcc_lo, v[21:22], v[4:5]
	s_or_b32 s10, vcc_lo, s10
	s_waitcnt vmcnt(20)
	v_fma_f64 v[64:65], v[76:77], v[104:105], v[64:65]
	v_fma_f64 v[66:67], v[68:69], v[104:105], v[66:67]
	;; [unrolled: 1-line block ×4, first 2 shown]
	s_delay_alu instid0(VALU_DEP_4) | instskip(NEXT) | instid1(VALU_DEP_4)
	v_fma_f64 v[64:65], v[78:79], v[106:107], v[64:65]
	v_fma_f64 v[66:67], v[70:71], v[106:107], v[66:67]
	s_delay_alu instid0(VALU_DEP_4) | instskip(NEXT) | instid1(VALU_DEP_4)
	v_fma_f64 v[68:69], v[94:95], v[106:107], v[68:69]
	v_fma_f64 v[70:71], v[86:87], v[106:107], v[72:73]
	s_waitcnt vmcnt(11)
	s_delay_alu instid0(VALU_DEP_4) | instskip(NEXT) | instid1(VALU_DEP_4)
	v_fma_f64 v[64:65], v[120:121], v[140:141], v[64:65]
	v_fma_f64 v[66:67], v[112:113], v[140:141], v[66:67]
	s_delay_alu instid0(VALU_DEP_4) | instskip(NEXT) | instid1(VALU_DEP_4)
	v_fma_f64 v[68:69], v[136:137], v[140:141], v[68:69]
	v_fma_f64 v[70:71], v[128:129], v[140:141], v[70:71]
	s_delay_alu instid0(VALU_DEP_4) | instskip(NEXT) | instid1(VALU_DEP_4)
	v_fma_f64 v[64:65], v[122:123], v[142:143], v[64:65]
	v_fma_f64 v[66:67], v[114:115], v[142:143], v[66:67]
	s_delay_alu instid0(VALU_DEP_4) | instskip(NEXT) | instid1(VALU_DEP_4)
	v_fma_f64 v[68:69], v[138:139], v[142:143], v[68:69]
	v_fma_f64 v[70:71], v[130:131], v[142:143], v[70:71]
	s_waitcnt vmcnt(10)
	s_delay_alu instid0(VALU_DEP_4) | instskip(NEXT) | instid1(VALU_DEP_4)
	v_fma_f64 v[64:65], v[116:117], v[11:12], v[64:65]
	v_fma_f64 v[66:67], v[108:109], v[11:12], v[66:67]
	s_delay_alu instid0(VALU_DEP_4) | instskip(NEXT) | instid1(VALU_DEP_4)
	v_fma_f64 v[68:69], v[132:133], v[11:12], v[68:69]
	v_fma_f64 v[11:12], v[124:125], v[11:12], v[70:71]
	;; [unrolled: 13-line block ×4, first 2 shown]
	s_delay_alu instid0(VALU_DEP_4) | instskip(NEXT) | instid1(VALU_DEP_4)
	v_fma_f64 v[15:16], v[42:43], v[62:63], v[13:14]
	v_fma_f64 v[17:18], v[17:18], v[62:63], v[27:28]
	s_delay_alu instid0(VALU_DEP_4) | instskip(NEXT) | instid1(VALU_DEP_4)
	v_fma_f64 v[13:14], v[54:55], v[62:63], v[29:30]
	v_fma_f64 v[11:12], v[46:47], v[62:63], v[11:12]
	s_and_not1_b32 exec_lo, exec_lo, s10
	s_cbranch_execnz .LBB25_21
; %bb.22:
	s_or_b32 exec_lo, exec_lo, s10
.LBB25_23:
	s_delay_alu instid0(SALU_CYCLE_1)
	s_or_b32 exec_lo, exec_lo, s7
.LBB25_24:
	s_delay_alu instid0(SALU_CYCLE_1)
	s_or_b32 exec_lo, exec_lo, s6
	s_cbranch_execz .LBB25_26
	s_branch .LBB25_37
.LBB25_25:
                                        ; implicit-def: $vgpr11_vgpr12
                                        ; implicit-def: $vgpr13_vgpr14
                                        ; implicit-def: $vgpr17_vgpr18
                                        ; implicit-def: $vgpr15_vgpr16
.LBB25_26:
	v_mov_b32_e32 v11, 0
	v_mov_b32_e32 v12, 0
	s_delay_alu instid0(VALU_DEP_1)
	v_dual_mov_b32 v14, v12 :: v_dual_mov_b32 v13, v11
	v_dual_mov_b32 v18, v12 :: v_dual_mov_b32 v17, v11
	;; [unrolled: 1-line block ×3, first 2 shown]
	s_and_saveexec_b32 s3, s2
	s_cbranch_execz .LBB25_36
; %bb.27:
	v_or_b32_e32 v11, 4, v31
	v_not_b32_e32 v14, v19
	v_not_b32_e32 v13, v20
	s_mov_b32 s7, 0
	s_mov_b32 s6, exec_lo
	v_sub_co_u32 v11, s2, v11, s12
	s_delay_alu instid0(VALU_DEP_1) | instskip(SKIP_1) | instid1(VALU_DEP_3)
	v_sub_co_ci_u32_e64 v12, null, 0, 0, s2
	v_sub_co_u32 v15, s2, s12, v31
	v_add_co_u32 v11, vcc_lo, v11, v19
	s_delay_alu instid0(VALU_DEP_3) | instskip(SKIP_1) | instid1(VALU_DEP_2)
	v_add_co_ci_u32_e32 v12, vcc_lo, v12, v20, vcc_lo
	v_sub_co_ci_u32_e64 v16, null, 0, 0, s2
	v_cmp_gt_i64_e32 vcc_lo, v[11:12], v[4:5]
	v_dual_cndmask_b32 v12, v5, v12 :: v_dual_cndmask_b32 v11, v4, v11
	v_add_co_u32 v14, vcc_lo, v15, v14
	s_delay_alu instid0(VALU_DEP_4) | instskip(SKIP_1) | instid1(VALU_DEP_3)
	v_add_co_ci_u32_e32 v13, vcc_lo, v16, v13, vcc_lo
	v_mov_b32_e32 v15, 0
	v_add_co_u32 v19, vcc_lo, v14, v11
	s_delay_alu instid0(VALU_DEP_3) | instskip(SKIP_1) | instid1(VALU_DEP_3)
	v_add_co_ci_u32_e32 v20, vcc_lo, v13, v12, vcc_lo
	v_mov_b32_e32 v16, 0
	v_lshrrev_b32_e32 v11, 2, v19
	s_delay_alu instid0(VALU_DEP_2) | instskip(NEXT) | instid1(VALU_DEP_2)
	v_dual_mov_b32 v13, v15 :: v_dual_mov_b32 v18, v16
	v_add_nc_u32_e32 v11, 1, v11
	v_dual_mov_b32 v17, v15 :: v_dual_mov_b32 v14, v16
	s_delay_alu instid0(VALU_DEP_2) | instskip(SKIP_1) | instid1(VALU_DEP_2)
	v_and_b32_e32 v21, 3, v11
	v_dual_mov_b32 v11, v15 :: v_dual_mov_b32 v12, v16
	v_cmpx_ne_u32_e32 0, v21
	s_cbranch_execz .LBB25_31
; %bb.28:
	v_lshlrev_b64 v[13:14], 2, v[0:1]
	v_dual_mov_b32 v22, 0 :: v_dual_mov_b32 v11, 0
	v_dual_mov_b32 v12, 0 :: v_dual_lshlrev_b32 v21, 5, v21
	s_delay_alu instid0(VALU_DEP_3) | instskip(NEXT) | instid1(VALU_DEP_4)
	v_add_co_u32 v23, vcc_lo, s8, v13
	v_add_co_ci_u32_e32 v24, vcc_lo, s9, v14, vcc_lo
	s_delay_alu instid0(VALU_DEP_3)
	v_dual_mov_b32 v14, v12 :: v_dual_mov_b32 v13, v11
	v_dual_mov_b32 v18, v12 :: v_dual_mov_b32 v17, v11
	;; [unrolled: 1-line block ×3, first 2 shown]
.LBB25_29:                              ; =>This Inner Loop Header: Depth=1
	global_load_b32 v29, v[23:24], off
	global_load_b128 v[25:28], v[6:7], off offset:16
	v_add_co_u32 v23, s2, v23, 16
	s_delay_alu instid0(VALU_DEP_1) | instskip(SKIP_2) | instid1(VALU_DEP_1)
	v_add_co_ci_u32_e64 v24, s2, 0, v24, s2
	s_waitcnt vmcnt(1)
	v_subrev_nc_u32_e32 v29, s12, v29
	v_lshlrev_b32_e32 v29, 2, v29
	s_delay_alu instid0(VALU_DEP_1) | instskip(NEXT) | instid1(VALU_DEP_1)
	v_ashrrev_i32_e32 v30, 31, v29
	v_lshlrev_b64 v[29:30], 3, v[29:30]
	s_waitcnt lgkmcnt(0)
	s_delay_alu instid0(VALU_DEP_1) | instskip(NEXT) | instid1(VALU_DEP_2)
	v_add_co_u32 v29, vcc_lo, s4, v29
	v_add_co_ci_u32_e32 v30, vcc_lo, s5, v30, vcc_lo
	global_load_b128 v[32:35], v[6:7], off
	s_clause 0x1
	global_load_b128 v[36:39], v[29:30], off
	global_load_b128 v[40:43], v[29:30], off offset:16
	s_clause 0x5
	global_load_b128 v[44:47], v[6:7], off offset:32
	global_load_b128 v[48:51], v[6:7], off offset:48
	;; [unrolled: 1-line block ×6, first 2 shown]
	v_add_co_u32 v6, vcc_lo, 0x200, v6
	v_add_co_ci_u32_e32 v7, vcc_lo, 0, v7, vcc_lo
	v_add_co_u32 v21, vcc_lo, 0xffffffe0, v21
	v_add_co_ci_u32_e32 v22, vcc_lo, -1, v22, vcc_lo
	v_add_co_u32 v0, vcc_lo, v0, 4
	v_add_co_ci_u32_e32 v1, vcc_lo, 0, v1, vcc_lo
	s_delay_alu instid0(VALU_DEP_3)
	v_cmp_eq_u64_e32 vcc_lo, 0, v[21:22]
	s_or_b32 s7, vcc_lo, s7
	s_waitcnt vmcnt(7)
	v_fma_f64 v[15:16], v[32:33], v[36:37], v[15:16]
	v_fma_f64 v[17:18], v[34:35], v[36:37], v[17:18]
	;; [unrolled: 1-line block ×4, first 2 shown]
	s_waitcnt vmcnt(5)
	s_delay_alu instid0(VALU_DEP_4) | instskip(NEXT) | instid1(VALU_DEP_4)
	v_fma_f64 v[15:16], v[44:45], v[38:39], v[15:16]
	v_fma_f64 v[17:18], v[46:47], v[38:39], v[17:18]
	s_waitcnt vmcnt(4)
	s_delay_alu instid0(VALU_DEP_4) | instskip(NEXT) | instid1(VALU_DEP_4)
	v_fma_f64 v[13:14], v[48:49], v[38:39], v[13:14]
	v_fma_f64 v[11:12], v[50:51], v[38:39], v[11:12]
	;; [unrolled: 4-line block ×6, first 2 shown]
	s_and_not1_b32 exec_lo, exec_lo, s7
	s_cbranch_execnz .LBB25_29
; %bb.30:
	s_or_b32 exec_lo, exec_lo, s7
.LBB25_31:
	s_delay_alu instid0(SALU_CYCLE_1) | instskip(NEXT) | instid1(SALU_CYCLE_1)
	s_or_b32 exec_lo, exec_lo, s6
	s_mov_b32 s6, exec_lo
	v_cmpx_lt_u64_e32 11, v[19:20]
	s_cbranch_execz .LBB25_35
; %bb.32:
	v_lshlrev_b64 v[19:20], 2, v[0:1]
	s_mov_b32 s7, 0
	s_delay_alu instid0(VALU_DEP_1) | instskip(NEXT) | instid1(VALU_DEP_2)
	v_add_co_u32 v19, vcc_lo, v19, s8
	v_add_co_ci_u32_e32 v20, vcc_lo, s9, v20, vcc_lo
	s_delay_alu instid0(VALU_DEP_2) | instskip(NEXT) | instid1(VALU_DEP_2)
	v_add_co_u32 v19, vcc_lo, v19, 32
	v_add_co_ci_u32_e32 v20, vcc_lo, 0, v20, vcc_lo
.LBB25_33:                              ; =>This Inner Loop Header: Depth=1
	s_clause 0x2
	global_load_b32 v25, v[19:20], off offset:-32
	global_load_b32 v68, v[19:20], off offset:-16
	global_load_b32 v108, v[19:20], off
	global_load_b128 v[21:24], v[6:7], off offset:16
	global_load_b32 v118, v[19:20], off offset:16
	v_add_co_u32 v19, s2, v19, 64
	s_delay_alu instid0(VALU_DEP_1) | instskip(SKIP_2) | instid1(VALU_DEP_1)
	v_add_co_ci_u32_e64 v20, s2, 0, v20, s2
	s_waitcnt vmcnt(4)
	v_subrev_nc_u32_e32 v25, s12, v25
	v_lshlrev_b32_e32 v25, 2, v25
	s_delay_alu instid0(VALU_DEP_1) | instskip(NEXT) | instid1(VALU_DEP_1)
	v_ashrrev_i32_e32 v26, 31, v25
	v_lshlrev_b64 v[25:26], 3, v[25:26]
	s_waitcnt lgkmcnt(0)
	s_delay_alu instid0(VALU_DEP_1) | instskip(NEXT) | instid1(VALU_DEP_2)
	v_add_co_u32 v29, vcc_lo, s4, v25
	v_add_co_ci_u32_e32 v30, vcc_lo, s5, v26, vcc_lo
	global_load_b128 v[25:28], v[6:7], off
	global_load_b128 v[32:35], v[29:30], off
	s_clause 0x3
	global_load_b128 v[36:39], v[6:7], off offset:32
	global_load_b128 v[40:43], v[6:7], off offset:48
	;; [unrolled: 1-line block ×5, first 2 shown]
	s_clause 0x2
	global_load_b128 v[56:59], v[6:7], off offset:96
	global_load_b128 v[60:63], v[6:7], off offset:112
	;; [unrolled: 1-line block ×3, first 2 shown]
	s_waitcnt vmcnt(13)
	v_subrev_nc_u32_e32 v29, s12, v68
	s_delay_alu instid0(VALU_DEP_1) | instskip(NEXT) | instid1(VALU_DEP_1)
	v_lshlrev_b32_e32 v29, 2, v29
	v_ashrrev_i32_e32 v30, 31, v29
	s_delay_alu instid0(VALU_DEP_1) | instskip(NEXT) | instid1(VALU_DEP_1)
	v_lshlrev_b64 v[29:30], 3, v[29:30]
	v_add_co_u32 v29, vcc_lo, s4, v29
	s_delay_alu instid0(VALU_DEP_2)
	v_add_co_ci_u32_e32 v30, vcc_lo, s5, v30, vcc_lo
	global_load_b128 v[68:71], v[6:7], off offset:512
	global_load_b128 v[72:75], v[29:30], off
	s_clause 0x3
	global_load_b128 v[76:79], v[6:7], off offset:544
	global_load_b128 v[80:83], v[6:7], off offset:560
	;; [unrolled: 1-line block ×5, first 2 shown]
	s_clause 0x2
	global_load_b128 v[96:99], v[6:7], off offset:608
	global_load_b128 v[100:103], v[6:7], off offset:624
	;; [unrolled: 1-line block ×3, first 2 shown]
	s_waitcnt vmcnt(22)
	v_subrev_nc_u32_e32 v29, s12, v108
	s_delay_alu instid0(VALU_DEP_1) | instskip(NEXT) | instid1(VALU_DEP_1)
	v_lshlrev_b32_e32 v29, 2, v29
	v_ashrrev_i32_e32 v30, 31, v29
	s_delay_alu instid0(VALU_DEP_1) | instskip(NEXT) | instid1(VALU_DEP_1)
	v_lshlrev_b64 v[29:30], 3, v[29:30]
	v_add_co_u32 v29, vcc_lo, s4, v29
	s_delay_alu instid0(VALU_DEP_2)
	v_add_co_ci_u32_e32 v30, vcc_lo, s5, v30, vcc_lo
	global_load_b128 v[108:111], v[6:7], off offset:1024
	global_load_b128 v[112:115], v[29:30], off
	s_waitcnt vmcnt(20)
	v_fma_f64 v[25:26], v[25:26], v[32:33], v[15:16]
	v_fma_f64 v[27:28], v[27:28], v[32:33], v[17:18]
	v_fma_f64 v[21:22], v[21:22], v[32:33], v[13:14]
	v_fma_f64 v[23:24], v[23:24], v[32:33], v[11:12]
	s_clause 0x1
	global_load_b128 v[11:14], v[6:7], off offset:1056
	global_load_b128 v[15:18], v[6:7], off offset:1072
	s_waitcnt vmcnt(21)
	v_fma_f64 v[36:37], v[36:37], v[34:35], v[25:26]
	v_fma_f64 v[38:39], v[38:39], v[34:35], v[27:28]
	s_waitcnt vmcnt(20)
	v_fma_f64 v[40:41], v[40:41], v[34:35], v[21:22]
	v_fma_f64 v[42:43], v[42:43], v[34:35], v[23:24]
	s_clause 0x1
	global_load_b128 v[21:24], v[6:7], off offset:1088
	global_load_b128 v[25:28], v[6:7], off offset:1104
	;; [unrolled: 1-line block ×3, first 2 shown]
	s_waitcnt vmcnt(20)
	v_fma_f64 v[29:30], v[44:45], v[52:53], v[36:37]
	v_fma_f64 v[116:117], v[46:47], v[52:53], v[38:39]
	;; [unrolled: 1-line block ×4, first 2 shown]
	s_clause 0x2
	global_load_b128 v[36:39], v[6:7], off offset:1120
	global_load_b128 v[40:43], v[6:7], off offset:1136
	;; [unrolled: 1-line block ×3, first 2 shown]
	v_subrev_nc_u32_e32 v52, s12, v118
	s_delay_alu instid0(VALU_DEP_1) | instskip(NEXT) | instid1(VALU_DEP_1)
	v_lshlrev_b32_e32 v52, 2, v52
	v_ashrrev_i32_e32 v53, 31, v52
	s_waitcnt vmcnt(22)
	v_fma_f64 v[29:30], v[56:57], v[54:55], v[29:30]
	v_fma_f64 v[56:57], v[58:59], v[54:55], v[116:117]
	s_waitcnt vmcnt(21)
	v_fma_f64 v[58:59], v[60:61], v[54:55], v[48:49]
	v_fma_f64 v[60:61], v[62:63], v[54:55], v[50:51]
	v_lshlrev_b64 v[48:49], 3, v[52:53]
	s_delay_alu instid0(VALU_DEP_1) | instskip(NEXT) | instid1(VALU_DEP_2)
	v_add_co_u32 v116, vcc_lo, s4, v48
	v_add_co_ci_u32_e32 v117, vcc_lo, s5, v49, vcc_lo
	global_load_b128 v[48:51], v[6:7], off offset:1536
	global_load_b128 v[52:55], v[116:117], off
	v_add_co_u32 v0, vcc_lo, v0, 16
	v_add_co_ci_u32_e32 v1, vcc_lo, 0, v1, vcc_lo
	s_waitcnt vmcnt(20)
	v_fma_f64 v[29:30], v[68:69], v[72:73], v[29:30]
	v_fma_f64 v[68:69], v[70:71], v[72:73], v[56:57]
	;; [unrolled: 1-line block ×4, first 2 shown]
	s_clause 0x1
	global_load_b128 v[56:59], v[6:7], off offset:1568
	global_load_b128 v[60:63], v[6:7], off offset:1584
	s_waitcnt vmcnt(21)
	v_fma_f64 v[29:30], v[76:77], v[74:75], v[29:30]
	v_fma_f64 v[76:77], v[78:79], v[74:75], v[68:69]
	s_waitcnt vmcnt(20)
	v_fma_f64 v[78:79], v[80:81], v[74:75], v[64:65]
	v_fma_f64 v[80:81], v[82:83], v[74:75], v[66:67]
	s_clause 0x1
	global_load_b128 v[64:67], v[6:7], off offset:1600
	global_load_b128 v[68:71], v[6:7], off offset:1616
	;; [unrolled: 1-line block ×3, first 2 shown]
	s_waitcnt vmcnt(20)
	v_fma_f64 v[29:30], v[84:85], v[92:93], v[29:30]
	v_fma_f64 v[84:85], v[86:87], v[92:93], v[76:77]
	;; [unrolled: 1-line block ×4, first 2 shown]
	s_clause 0x1
	global_load_b128 v[76:79], v[6:7], off offset:1632
	global_load_b128 v[80:83], v[6:7], off offset:1648
	v_add_co_u32 v6, vcc_lo, 0x800, v6
	v_add_co_ci_u32_e32 v7, vcc_lo, 0, v7, vcc_lo
	v_cmp_ge_i64_e32 vcc_lo, v[0:1], v[4:5]
	s_or_b32 s7, vcc_lo, s7
	s_waitcnt vmcnt(21)
	v_fma_f64 v[29:30], v[96:97], v[94:95], v[29:30]
	v_fma_f64 v[84:85], v[98:99], v[94:95], v[84:85]
	s_waitcnt vmcnt(20)
	v_fma_f64 v[86:87], v[100:101], v[94:95], v[86:87]
	v_fma_f64 v[88:89], v[102:103], v[94:95], v[88:89]
	s_waitcnt vmcnt(17)
	s_delay_alu instid0(VALU_DEP_4) | instskip(NEXT) | instid1(VALU_DEP_4)
	v_fma_f64 v[29:30], v[108:109], v[112:113], v[29:30]
	v_fma_f64 v[84:85], v[110:111], v[112:113], v[84:85]
	s_delay_alu instid0(VALU_DEP_4) | instskip(NEXT) | instid1(VALU_DEP_4)
	v_fma_f64 v[86:87], v[104:105], v[112:113], v[86:87]
	v_fma_f64 v[88:89], v[106:107], v[112:113], v[88:89]
	s_waitcnt vmcnt(16)
	s_delay_alu instid0(VALU_DEP_4) | instskip(NEXT) | instid1(VALU_DEP_4)
	v_fma_f64 v[11:12], v[11:12], v[114:115], v[29:30]
	v_fma_f64 v[13:14], v[13:14], v[114:115], v[84:85]
	s_waitcnt vmcnt(15)
	s_delay_alu instid0(VALU_DEP_4) | instskip(NEXT) | instid1(VALU_DEP_4)
	v_fma_f64 v[15:16], v[15:16], v[114:115], v[86:87]
	v_fma_f64 v[17:18], v[17:18], v[114:115], v[88:89]
	s_waitcnt vmcnt(12)
	s_delay_alu instid0(VALU_DEP_4) | instskip(NEXT) | instid1(VALU_DEP_4)
	v_fma_f64 v[11:12], v[21:22], v[32:33], v[11:12]
	v_fma_f64 v[13:14], v[23:24], v[32:33], v[13:14]
	s_delay_alu instid0(VALU_DEP_4) | instskip(NEXT) | instid1(VALU_DEP_4)
	v_fma_f64 v[15:16], v[25:26], v[32:33], v[15:16]
	v_fma_f64 v[17:18], v[27:28], v[32:33], v[17:18]
	s_waitcnt vmcnt(11)
	s_delay_alu instid0(VALU_DEP_4) | instskip(NEXT) | instid1(VALU_DEP_4)
	v_fma_f64 v[11:12], v[36:37], v[34:35], v[11:12]
	v_fma_f64 v[13:14], v[38:39], v[34:35], v[13:14]
	s_waitcnt vmcnt(10)
	s_delay_alu instid0(VALU_DEP_4) | instskip(NEXT) | instid1(VALU_DEP_4)
	v_fma_f64 v[15:16], v[40:41], v[34:35], v[15:16]
	v_fma_f64 v[17:18], v[42:43], v[34:35], v[17:18]
	s_waitcnt vmcnt(7)
	s_delay_alu instid0(VALU_DEP_4) | instskip(NEXT) | instid1(VALU_DEP_4)
	v_fma_f64 v[11:12], v[48:49], v[52:53], v[11:12]
	v_fma_f64 v[13:14], v[50:51], v[52:53], v[13:14]
	s_delay_alu instid0(VALU_DEP_4) | instskip(NEXT) | instid1(VALU_DEP_4)
	v_fma_f64 v[15:16], v[44:45], v[52:53], v[15:16]
	v_fma_f64 v[17:18], v[46:47], v[52:53], v[17:18]
	s_waitcnt vmcnt(6)
	s_delay_alu instid0(VALU_DEP_4) | instskip(NEXT) | instid1(VALU_DEP_4)
	v_fma_f64 v[11:12], v[56:57], v[54:55], v[11:12]
	v_fma_f64 v[13:14], v[58:59], v[54:55], v[13:14]
	s_waitcnt vmcnt(5)
	s_delay_alu instid0(VALU_DEP_4) | instskip(NEXT) | instid1(VALU_DEP_4)
	v_fma_f64 v[15:16], v[60:61], v[54:55], v[15:16]
	v_fma_f64 v[17:18], v[62:63], v[54:55], v[17:18]
	s_waitcnt vmcnt(2)
	s_delay_alu instid0(VALU_DEP_4) | instskip(NEXT) | instid1(VALU_DEP_4)
	v_fma_f64 v[11:12], v[64:65], v[72:73], v[11:12]
	v_fma_f64 v[13:14], v[66:67], v[72:73], v[13:14]
	s_delay_alu instid0(VALU_DEP_4) | instskip(NEXT) | instid1(VALU_DEP_4)
	v_fma_f64 v[21:22], v[68:69], v[72:73], v[15:16]
	v_fma_f64 v[23:24], v[70:71], v[72:73], v[17:18]
	s_waitcnt vmcnt(1)
	s_delay_alu instid0(VALU_DEP_4) | instskip(NEXT) | instid1(VALU_DEP_4)
	v_fma_f64 v[15:16], v[76:77], v[74:75], v[11:12]
	v_fma_f64 v[17:18], v[78:79], v[74:75], v[13:14]
	s_waitcnt vmcnt(0)
	s_delay_alu instid0(VALU_DEP_4) | instskip(NEXT) | instid1(VALU_DEP_4)
	v_fma_f64 v[13:14], v[80:81], v[74:75], v[21:22]
	v_fma_f64 v[11:12], v[82:83], v[74:75], v[23:24]
	s_and_not1_b32 exec_lo, exec_lo, s7
	s_cbranch_execnz .LBB25_33
; %bb.34:
	s_or_b32 exec_lo, exec_lo, s7
.LBB25_35:
	s_delay_alu instid0(SALU_CYCLE_1)
	s_or_b32 exec_lo, exec_lo, s6
.LBB25_36:
	s_delay_alu instid0(SALU_CYCLE_1)
	s_or_b32 exec_lo, exec_lo, s3
.LBB25_37:
	v_mbcnt_lo_u32_b32 v23, -1, 0
	s_delay_alu instid0(VALU_DEP_1) | instskip(NEXT) | instid1(VALU_DEP_1)
	v_xor_b32_e32 v0, 2, v23
	v_cmp_gt_i32_e32 vcc_lo, 32, v0
	v_cndmask_b32_e32 v0, v23, v0, vcc_lo
	s_delay_alu instid0(VALU_DEP_1)
	v_lshlrev_b32_e32 v6, 2, v0
	ds_bpermute_b32 v0, v6, v15
	ds_bpermute_b32 v1, v6, v16
	;; [unrolled: 1-line block ×8, first 2 shown]
	s_waitcnt lgkmcnt(0)
	v_add_f64 v[15:16], v[15:16], v[0:1]
	v_add_f64 v[6:7], v[17:18], v[4:5]
	;; [unrolled: 1-line block ×4, first 2 shown]
	v_xor_b32_e32 v11, 1, v23
	s_delay_alu instid0(VALU_DEP_1) | instskip(SKIP_2) | instid1(VALU_DEP_2)
	v_cmp_gt_i32_e32 vcc_lo, 32, v11
	v_cndmask_b32_e32 v11, v23, v11, vcc_lo
	v_cmp_eq_u32_e32 vcc_lo, 3, v31
	v_lshlrev_b32_e32 v12, 2, v11
	ds_bpermute_b32 v19, v12, v15
	ds_bpermute_b32 v20, v12, v16
	;; [unrolled: 1-line block ×8, first 2 shown]
	s_and_b32 exec_lo, exec_lo, vcc_lo
	s_cbranch_execz .LBB25_10
; %bb.38:
	s_waitcnt lgkmcnt(6)
	v_add_f64 v[15:16], v[15:16], v[19:20]
	s_waitcnt lgkmcnt(4)
	v_add_f64 v[6:7], v[6:7], v[17:18]
	;; [unrolled: 2-line block ×4, first 2 shown]
	s_load_b64 s[0:1], s[0:1], 0x50
	v_lshlrev_b32_e32 v10, 2, v10
	s_mov_b32 s2, exec_lo
	v_mul_f64 v[4:5], v[2:3], v[15:16]
	v_mul_f64 v[6:7], v[2:3], v[6:7]
	;; [unrolled: 1-line block ×4, first 2 shown]
	v_cmpx_eq_f64_e32 0, v[8:9]
	s_xor_b32 s2, exec_lo, s2
	s_cbranch_execz .LBB25_40
; %bb.39:
	v_ashrrev_i32_e32 v11, 31, v10
	s_delay_alu instid0(VALU_DEP_1) | instskip(SKIP_1) | instid1(VALU_DEP_1)
	v_lshlrev_b64 v[8:9], 3, v[10:11]
                                        ; implicit-def: $vgpr10
	s_waitcnt lgkmcnt(0)
	v_add_co_u32 v8, vcc_lo, s0, v8
	s_delay_alu instid0(VALU_DEP_2)
	v_add_co_ci_u32_e32 v9, vcc_lo, s1, v9, vcc_lo
	s_clause 0x1
	global_store_b128 v[8:9], v[4:7], off
	global_store_b128 v[8:9], v[0:3], off offset:16
                                        ; implicit-def: $vgpr8_vgpr9
                                        ; implicit-def: $vgpr4_vgpr5
                                        ; implicit-def: $vgpr0_vgpr1
.LBB25_40:
	s_and_not1_saveexec_b32 s2, s2
	s_cbranch_execz .LBB25_10
; %bb.41:
	v_ashrrev_i32_e32 v11, 31, v10
	s_delay_alu instid0(VALU_DEP_1) | instskip(SKIP_1) | instid1(VALU_DEP_1)
	v_lshlrev_b64 v[10:11], 3, v[10:11]
	s_waitcnt lgkmcnt(0)
	v_add_co_u32 v18, vcc_lo, s0, v10
	s_delay_alu instid0(VALU_DEP_2)
	v_add_co_ci_u32_e32 v19, vcc_lo, s1, v11, vcc_lo
	s_clause 0x1
	global_load_b128 v[10:13], v[18:19], off
	global_load_b128 v[14:17], v[18:19], off offset:16
	s_waitcnt vmcnt(1)
	v_fma_f64 v[4:5], v[8:9], v[10:11], v[4:5]
	v_fma_f64 v[6:7], v[8:9], v[12:13], v[6:7]
	s_waitcnt vmcnt(0)
	v_fma_f64 v[0:1], v[8:9], v[14:15], v[0:1]
	v_fma_f64 v[2:3], v[8:9], v[16:17], v[2:3]
	s_clause 0x1
	global_store_b128 v[18:19], v[4:7], off
	global_store_b128 v[18:19], v[0:3], off offset:16
	s_nop 0
	s_sendmsg sendmsg(MSG_DEALLOC_VGPRS)
	s_endpgm
	.section	.rodata,"a",@progbits
	.p2align	6, 0x0
	.amdhsa_kernel _ZN9rocsparseL18bsrxmvn_4x4_kernelILj128ELj4EdlidddEEvT3_20rocsparse_direction_NS_24const_host_device_scalarIT1_EES1_PKS1_PKT2_SA_S7_PKT4_PKT5_S5_PT6_21rocsparse_index_base_b
		.amdhsa_group_segment_fixed_size 0
		.amdhsa_private_segment_fixed_size 0
		.amdhsa_kernarg_size 96
		.amdhsa_user_sgpr_count 15
		.amdhsa_user_sgpr_dispatch_ptr 0
		.amdhsa_user_sgpr_queue_ptr 0
		.amdhsa_user_sgpr_kernarg_segment_ptr 1
		.amdhsa_user_sgpr_dispatch_id 0
		.amdhsa_user_sgpr_private_segment_size 0
		.amdhsa_wavefront_size32 1
		.amdhsa_uses_dynamic_stack 0
		.amdhsa_enable_private_segment 0
		.amdhsa_system_sgpr_workgroup_id_x 1
		.amdhsa_system_sgpr_workgroup_id_y 0
		.amdhsa_system_sgpr_workgroup_id_z 0
		.amdhsa_system_sgpr_workgroup_info 0
		.amdhsa_system_vgpr_workitem_id 0
		.amdhsa_next_free_vgpr 147
		.amdhsa_next_free_sgpr 16
		.amdhsa_reserve_vcc 1
		.amdhsa_float_round_mode_32 0
		.amdhsa_float_round_mode_16_64 0
		.amdhsa_float_denorm_mode_32 3
		.amdhsa_float_denorm_mode_16_64 3
		.amdhsa_dx10_clamp 1
		.amdhsa_ieee_mode 1
		.amdhsa_fp16_overflow 0
		.amdhsa_workgroup_processor_mode 1
		.amdhsa_memory_ordered 1
		.amdhsa_forward_progress 0
		.amdhsa_shared_vgpr_count 0
		.amdhsa_exception_fp_ieee_invalid_op 0
		.amdhsa_exception_fp_denorm_src 0
		.amdhsa_exception_fp_ieee_div_zero 0
		.amdhsa_exception_fp_ieee_overflow 0
		.amdhsa_exception_fp_ieee_underflow 0
		.amdhsa_exception_fp_ieee_inexact 0
		.amdhsa_exception_int_div_zero 0
	.end_amdhsa_kernel
	.section	.text._ZN9rocsparseL18bsrxmvn_4x4_kernelILj128ELj4EdlidddEEvT3_20rocsparse_direction_NS_24const_host_device_scalarIT1_EES1_PKS1_PKT2_SA_S7_PKT4_PKT5_S5_PT6_21rocsparse_index_base_b,"axG",@progbits,_ZN9rocsparseL18bsrxmvn_4x4_kernelILj128ELj4EdlidddEEvT3_20rocsparse_direction_NS_24const_host_device_scalarIT1_EES1_PKS1_PKT2_SA_S7_PKT4_PKT5_S5_PT6_21rocsparse_index_base_b,comdat
.Lfunc_end25:
	.size	_ZN9rocsparseL18bsrxmvn_4x4_kernelILj128ELj4EdlidddEEvT3_20rocsparse_direction_NS_24const_host_device_scalarIT1_EES1_PKS1_PKT2_SA_S7_PKT4_PKT5_S5_PT6_21rocsparse_index_base_b, .Lfunc_end25-_ZN9rocsparseL18bsrxmvn_4x4_kernelILj128ELj4EdlidddEEvT3_20rocsparse_direction_NS_24const_host_device_scalarIT1_EES1_PKS1_PKT2_SA_S7_PKT4_PKT5_S5_PT6_21rocsparse_index_base_b
                                        ; -- End function
	.section	.AMDGPU.csdata,"",@progbits
; Kernel info:
; codeLenInByte = 5248
; NumSgprs: 18
; NumVgprs: 147
; ScratchSize: 0
; MemoryBound: 1
; FloatMode: 240
; IeeeMode: 1
; LDSByteSize: 0 bytes/workgroup (compile time only)
; SGPRBlocks: 2
; VGPRBlocks: 18
; NumSGPRsForWavesPerEU: 18
; NumVGPRsForWavesPerEU: 147
; Occupancy: 9
; WaveLimiterHint : 1
; COMPUTE_PGM_RSRC2:SCRATCH_EN: 0
; COMPUTE_PGM_RSRC2:USER_SGPR: 15
; COMPUTE_PGM_RSRC2:TRAP_HANDLER: 0
; COMPUTE_PGM_RSRC2:TGID_X_EN: 1
; COMPUTE_PGM_RSRC2:TGID_Y_EN: 0
; COMPUTE_PGM_RSRC2:TGID_Z_EN: 0
; COMPUTE_PGM_RSRC2:TIDIG_COMP_CNT: 0
	.section	.text._ZN9rocsparseL18bsrxmvn_4x4_kernelILj128ELj8EdlidddEEvT3_20rocsparse_direction_NS_24const_host_device_scalarIT1_EES1_PKS1_PKT2_SA_S7_PKT4_PKT5_S5_PT6_21rocsparse_index_base_b,"axG",@progbits,_ZN9rocsparseL18bsrxmvn_4x4_kernelILj128ELj8EdlidddEEvT3_20rocsparse_direction_NS_24const_host_device_scalarIT1_EES1_PKS1_PKT2_SA_S7_PKT4_PKT5_S5_PT6_21rocsparse_index_base_b,comdat
	.globl	_ZN9rocsparseL18bsrxmvn_4x4_kernelILj128ELj8EdlidddEEvT3_20rocsparse_direction_NS_24const_host_device_scalarIT1_EES1_PKS1_PKT2_SA_S7_PKT4_PKT5_S5_PT6_21rocsparse_index_base_b ; -- Begin function _ZN9rocsparseL18bsrxmvn_4x4_kernelILj128ELj8EdlidddEEvT3_20rocsparse_direction_NS_24const_host_device_scalarIT1_EES1_PKS1_PKT2_SA_S7_PKT4_PKT5_S5_PT6_21rocsparse_index_base_b
	.p2align	8
	.type	_ZN9rocsparseL18bsrxmvn_4x4_kernelILj128ELj8EdlidddEEvT3_20rocsparse_direction_NS_24const_host_device_scalarIT1_EES1_PKS1_PKT2_SA_S7_PKT4_PKT5_S5_PT6_21rocsparse_index_base_b,@function
_ZN9rocsparseL18bsrxmvn_4x4_kernelILj128ELj8EdlidddEEvT3_20rocsparse_direction_NS_24const_host_device_scalarIT1_EES1_PKS1_PKT2_SA_S7_PKT4_PKT5_S5_PT6_21rocsparse_index_base_b: ; @_ZN9rocsparseL18bsrxmvn_4x4_kernelILj128ELj8EdlidddEEvT3_20rocsparse_direction_NS_24const_host_device_scalarIT1_EES1_PKS1_PKT2_SA_S7_PKT4_PKT5_S5_PT6_21rocsparse_index_base_b
; %bb.0:
	s_clause 0x2
	s_load_b64 s[12:13], s[0:1], 0x58
	s_load_b64 s[4:5], s[0:1], 0x8
	;; [unrolled: 1-line block ×3, first 2 shown]
	s_waitcnt lgkmcnt(0)
	s_bitcmp1_b32 s13, 0
	v_dual_mov_b32 v2, s4 :: v_dual_mov_b32 v3, s5
	s_cselect_b32 s6, -1, 0
	s_delay_alu instid0(SALU_CYCLE_1)
	s_and_b32 vcc_lo, exec_lo, s6
	s_xor_b32 s6, s6, -1
	s_cbranch_vccnz .LBB26_2
; %bb.1:
	v_dual_mov_b32 v1, s4 :: v_dual_mov_b32 v2, s5
	flat_load_b64 v[2:3], v[1:2]
.LBB26_2:
	v_dual_mov_b32 v9, s3 :: v_dual_mov_b32 v8, s2
	s_and_not1_b32 vcc_lo, exec_lo, s6
	s_cbranch_vccnz .LBB26_4
; %bb.3:
	v_dual_mov_b32 v5, s3 :: v_dual_mov_b32 v4, s2
	flat_load_b64 v[8:9], v[4:5]
.LBB26_4:
	s_waitcnt vmcnt(0) lgkmcnt(0)
	v_cmp_neq_f64_e32 vcc_lo, 0, v[2:3]
	v_cmp_neq_f64_e64 s2, 1.0, v[8:9]
	s_delay_alu instid0(VALU_DEP_1) | instskip(NEXT) | instid1(SALU_CYCLE_1)
	s_or_b32 s2, vcc_lo, s2
	s_and_saveexec_b32 s3, s2
	s_cbranch_execz .LBB26_10
; %bb.5:
	s_clause 0x1
	s_load_b64 s[4:5], s[0:1], 0x18
	s_load_b64 s[2:3], s[0:1], 0x0
	v_lshrrev_b32_e32 v1, 3, v0
	s_delay_alu instid0(VALU_DEP_1)
	v_lshl_or_b32 v10, s15, 4, v1
	s_waitcnt lgkmcnt(0)
	s_cmp_lg_u64 s[4:5], 0
	s_cbranch_scc0 .LBB26_11
; %bb.6:
	s_load_b32 s6, s[0:1], 0x10
	s_mov_b32 s7, 0
                                        ; implicit-def: $vgpr1
	s_waitcnt lgkmcnt(0)
	v_cmp_gt_i32_e32 vcc_lo, s6, v10
	s_mov_b32 s6, 0
	s_and_saveexec_b32 s8, vcc_lo
	s_delay_alu instid0(SALU_CYCLE_1)
	s_xor_b32 s8, exec_lo, s8
	s_cbranch_execz .LBB26_8
; %bb.7:
	v_ashrrev_i32_e32 v11, 31, v10
	s_mov_b32 s6, exec_lo
	s_delay_alu instid0(VALU_DEP_1) | instskip(NEXT) | instid1(VALU_DEP_1)
	v_lshlrev_b64 v[4:5], 2, v[10:11]
	v_add_co_u32 v4, vcc_lo, s4, v4
	s_delay_alu instid0(VALU_DEP_2)
	v_add_co_ci_u32_e32 v5, vcc_lo, s5, v5, vcc_lo
	global_load_b32 v1, v[4:5], off
	s_waitcnt vmcnt(0)
	v_subrev_nc_u32_e32 v1, s12, v1
.LBB26_8:
	s_or_b32 exec_lo, exec_lo, s8
	s_delay_alu instid0(SALU_CYCLE_1)
	s_and_b32 vcc_lo, exec_lo, s7
	s_cbranch_vccz .LBB26_12
.LBB26_9:
	v_cmp_gt_i32_e32 vcc_lo, s2, v10
	s_and_not1_b32 s2, s6, exec_lo
	s_and_b32 s4, vcc_lo, exec_lo
	s_delay_alu instid0(SALU_CYCLE_1) | instskip(NEXT) | instid1(SALU_CYCLE_1)
	s_or_b32 s6, s2, s4
	s_and_b32 exec_lo, exec_lo, s6
	s_cbranch_execnz .LBB26_13
.LBB26_10:
	s_nop 0
	s_sendmsg sendmsg(MSG_DEALLOC_VGPRS)
	s_endpgm
.LBB26_11:
	s_mov_b32 s6, 0
                                        ; implicit-def: $vgpr1
	s_cbranch_execnz .LBB26_9
.LBB26_12:
	s_delay_alu instid0(VALU_DEP_1)
	v_mov_b32_e32 v10, v1
	s_and_b32 exec_lo, exec_lo, s6
	s_cbranch_execz .LBB26_10
.LBB26_13:
	s_load_b256 s[4:11], s[0:1], 0x20
	s_delay_alu instid0(VALU_DEP_1) | instskip(SKIP_1) | instid1(VALU_DEP_2)
	v_ashrrev_i32_e32 v11, 31, v10
	v_and_b32_e32 v31, 7, v0
	v_lshlrev_b64 v[4:5], 3, v[10:11]
	s_waitcnt lgkmcnt(0)
	s_delay_alu instid0(VALU_DEP_1) | instskip(NEXT) | instid1(VALU_DEP_2)
	v_add_co_u32 v6, vcc_lo, s4, v4
	v_add_co_ci_u32_e32 v7, vcc_lo, s5, v5, vcc_lo
	v_add_co_u32 v1, vcc_lo, s6, v4
	v_add_co_ci_u32_e32 v4, vcc_lo, s7, v5, vcc_lo
	s_delay_alu instid0(VALU_DEP_4)
	v_add_co_u32 v11, vcc_lo, v6, 8
	global_load_b64 v[19:20], v[6:7], off
	v_add_co_ci_u32_e32 v5, vcc_lo, 0, v7, vcc_lo
	s_cmp_eq_u64 s[6:7], 0
	s_load_b64 s[4:5], s[0:1], 0x40
	s_cselect_b32 vcc_lo, -1, 0
	s_cmp_eq_u32 s3, 1
	v_dual_cndmask_b32 v5, v4, v5 :: v_dual_cndmask_b32 v4, v1, v11
	global_load_b64 v[4:5], v[4:5], off
	s_waitcnt vmcnt(1)
	v_sub_co_u32 v0, vcc_lo, v19, s12
	v_subrev_co_ci_u32_e32 v1, vcc_lo, 0, v20, vcc_lo
	s_delay_alu instid0(VALU_DEP_2) | instskip(NEXT) | instid1(VALU_DEP_2)
	v_add_co_u32 v0, vcc_lo, v0, v31
	v_add_co_ci_u32_e32 v1, vcc_lo, 0, v1, vcc_lo
	s_delay_alu instid0(VALU_DEP_1) | instskip(SKIP_3) | instid1(VALU_DEP_3)
	v_lshlrev_b64 v[6:7], 7, v[0:1]
	s_waitcnt vmcnt(0)
	v_sub_co_u32 v4, vcc_lo, v4, s12
	v_subrev_co_ci_u32_e32 v5, vcc_lo, 0, v5, vcc_lo
	v_add_co_u32 v6, vcc_lo, s10, v6
	s_delay_alu instid0(VALU_DEP_2)
	v_cmp_lt_i64_e64 s2, v[0:1], v[4:5]
	v_add_co_ci_u32_e32 v7, vcc_lo, s11, v7, vcc_lo
	s_cbranch_scc1 .LBB26_25
; %bb.14:
	v_mov_b32_e32 v11, 0
	v_mov_b32_e32 v12, 0
	s_delay_alu instid0(VALU_DEP_1)
	v_dual_mov_b32 v14, v12 :: v_dual_mov_b32 v13, v11
	v_dual_mov_b32 v18, v12 :: v_dual_mov_b32 v17, v11
	;; [unrolled: 1-line block ×3, first 2 shown]
	s_and_saveexec_b32 s6, s2
	s_cbranch_execz .LBB26_24
; %bb.15:
	v_or_b32_e32 v11, 8, v31
	v_not_b32_e32 v14, v19
	v_not_b32_e32 v13, v20
	s_mov_b32 s10, 0
	s_mov_b32 s7, exec_lo
	v_sub_co_u32 v11, s3, v11, s12
	s_delay_alu instid0(VALU_DEP_1) | instskip(SKIP_1) | instid1(VALU_DEP_3)
	v_sub_co_ci_u32_e64 v12, null, 0, 0, s3
	v_sub_co_u32 v15, s3, s12, v31
	v_add_co_u32 v11, vcc_lo, v11, v19
	s_delay_alu instid0(VALU_DEP_3) | instskip(SKIP_2) | instid1(VALU_DEP_3)
	v_add_co_ci_u32_e32 v12, vcc_lo, v12, v20, vcc_lo
	v_sub_co_ci_u32_e64 v16, null, 0, 0, s3
	v_mov_b32_e32 v22, v1
	v_cmp_gt_i64_e32 vcc_lo, v[11:12], v[4:5]
	v_dual_mov_b32 v21, v0 :: v_dual_mov_b32 v24, v7
	v_dual_mov_b32 v23, v6 :: v_dual_cndmask_b32 v12, v5, v12
	v_cndmask_b32_e32 v11, v4, v11, vcc_lo
	v_add_co_u32 v14, vcc_lo, v15, v14
	v_add_co_ci_u32_e32 v13, vcc_lo, v16, v13, vcc_lo
	v_mov_b32_e32 v15, 0
	s_delay_alu instid0(VALU_DEP_3) | instskip(NEXT) | instid1(VALU_DEP_3)
	v_add_co_u32 v25, vcc_lo, v14, v11
	v_add_co_ci_u32_e32 v26, vcc_lo, v13, v12, vcc_lo
	v_mov_b32_e32 v16, 0
	s_delay_alu instid0(VALU_DEP_3) | instskip(NEXT) | instid1(VALU_DEP_2)
	v_lshrrev_b32_e32 v11, 3, v25
	v_dual_mov_b32 v13, v15 :: v_dual_mov_b32 v18, v16
	s_delay_alu instid0(VALU_DEP_2) | instskip(SKIP_1) | instid1(VALU_DEP_2)
	v_add_nc_u32_e32 v11, 1, v11
	v_dual_mov_b32 v17, v15 :: v_dual_mov_b32 v14, v16
	v_and_b32_e32 v27, 3, v11
	v_dual_mov_b32 v11, v15 :: v_dual_mov_b32 v12, v16
	s_delay_alu instid0(VALU_DEP_2)
	v_cmpx_ne_u32_e32 0, v27
	s_cbranch_execz .LBB26_19
; %bb.16:
	v_lshlrev_b64 v[13:14], 2, v[0:1]
	v_dual_mov_b32 v28, 0 :: v_dual_mov_b32 v11, 0
	v_dual_mov_b32 v12, 0 :: v_dual_lshlrev_b32 v27, 5, v27
	v_dual_mov_b32 v24, v7 :: v_dual_mov_b32 v23, v6
	s_delay_alu instid0(VALU_DEP_4)
	v_add_co_u32 v29, vcc_lo, s8, v13
	v_add_co_ci_u32_e32 v30, vcc_lo, s9, v14, vcc_lo
	v_dual_mov_b32 v22, v1 :: v_dual_mov_b32 v21, v0
	v_dual_mov_b32 v14, v12 :: v_dual_mov_b32 v13, v11
	;; [unrolled: 1-line block ×4, first 2 shown]
.LBB26_17:                              ; =>This Inner Loop Header: Depth=1
	global_load_b32 v60, v[29:30], off
	s_clause 0x6
	global_load_b128 v[32:35], v[23:24], off offset:48
	global_load_b128 v[36:39], v[23:24], off offset:32
	;; [unrolled: 1-line block ×3, first 2 shown]
	global_load_b128 v[44:47], v[23:24], off
	global_load_b128 v[48:51], v[23:24], off offset:112
	global_load_b128 v[52:55], v[23:24], off offset:96
	global_load_b128 v[56:59], v[23:24], off offset:80
	v_add_co_u32 v29, s3, v29, 32
	s_delay_alu instid0(VALU_DEP_1) | instskip(SKIP_2) | instid1(VALU_DEP_1)
	v_add_co_ci_u32_e64 v30, s3, 0, v30, s3
	s_waitcnt vmcnt(7)
	v_subrev_nc_u32_e32 v60, s12, v60
	v_lshlrev_b32_e32 v60, 2, v60
	s_delay_alu instid0(VALU_DEP_1) | instskip(NEXT) | instid1(VALU_DEP_1)
	v_ashrrev_i32_e32 v61, 31, v60
	v_lshlrev_b64 v[60:61], 3, v[60:61]
	s_waitcnt lgkmcnt(0)
	s_delay_alu instid0(VALU_DEP_1) | instskip(NEXT) | instid1(VALU_DEP_2)
	v_add_co_u32 v68, vcc_lo, s4, v60
	v_add_co_ci_u32_e32 v69, vcc_lo, s5, v61, vcc_lo
	global_load_b128 v[60:63], v[23:24], off offset:64
	s_clause 0x1
	global_load_b128 v[64:67], v[68:69], off
	global_load_b128 v[68:71], v[68:69], off offset:16
	v_add_co_u32 v23, vcc_lo, 0x400, v23
	v_add_co_ci_u32_e32 v24, vcc_lo, 0, v24, vcc_lo
	v_add_co_u32 v27, vcc_lo, 0xffffffe0, v27
	v_add_co_ci_u32_e32 v28, vcc_lo, -1, v28, vcc_lo
	v_add_co_u32 v21, vcc_lo, v21, 8
	v_add_co_ci_u32_e32 v22, vcc_lo, 0, v22, vcc_lo
	s_delay_alu instid0(VALU_DEP_3)
	v_cmp_eq_u64_e32 vcc_lo, 0, v[27:28]
	s_or_b32 s10, vcc_lo, s10
	s_waitcnt vmcnt(1)
	v_fma_f64 v[15:16], v[44:45], v[64:65], v[15:16]
	v_fma_f64 v[17:18], v[36:37], v[64:65], v[17:18]
	;; [unrolled: 1-line block ×4, first 2 shown]
	s_delay_alu instid0(VALU_DEP_4) | instskip(NEXT) | instid1(VALU_DEP_4)
	v_fma_f64 v[15:16], v[46:47], v[66:67], v[15:16]
	v_fma_f64 v[17:18], v[38:39], v[66:67], v[17:18]
	s_delay_alu instid0(VALU_DEP_4) | instskip(NEXT) | instid1(VALU_DEP_4)
	v_fma_f64 v[13:14], v[62:63], v[66:67], v[13:14]
	v_fma_f64 v[11:12], v[54:55], v[66:67], v[11:12]
	s_waitcnt vmcnt(0)
	s_delay_alu instid0(VALU_DEP_4) | instskip(NEXT) | instid1(VALU_DEP_4)
	v_fma_f64 v[15:16], v[40:41], v[68:69], v[15:16]
	v_fma_f64 v[17:18], v[32:33], v[68:69], v[17:18]
	s_delay_alu instid0(VALU_DEP_4) | instskip(NEXT) | instid1(VALU_DEP_4)
	v_fma_f64 v[13:14], v[56:57], v[68:69], v[13:14]
	v_fma_f64 v[11:12], v[48:49], v[68:69], v[11:12]
	;; [unrolled: 3-line block ×4, first 2 shown]
	s_and_not1_b32 exec_lo, exec_lo, s10
	s_cbranch_execnz .LBB26_17
; %bb.18:
	s_or_b32 exec_lo, exec_lo, s10
.LBB26_19:
	s_delay_alu instid0(SALU_CYCLE_1) | instskip(NEXT) | instid1(SALU_CYCLE_1)
	s_or_b32 exec_lo, exec_lo, s7
	s_mov_b32 s7, exec_lo
	v_cmpx_lt_u64_e32 23, v[25:26]
	s_cbranch_execz .LBB26_23
; %bb.20:
	v_lshlrev_b64 v[25:26], 2, v[21:22]
	s_mov_b32 s10, 0
	s_delay_alu instid0(VALU_DEP_1) | instskip(NEXT) | instid1(VALU_DEP_2)
	v_add_co_u32 v25, vcc_lo, v25, s8
	v_add_co_ci_u32_e32 v26, vcc_lo, s9, v26, vcc_lo
	s_delay_alu instid0(VALU_DEP_2) | instskip(NEXT) | instid1(VALU_DEP_2)
	v_add_co_u32 v25, vcc_lo, v25, 64
	v_add_co_ci_u32_e32 v26, vcc_lo, 0, v26, vcc_lo
.LBB26_21:                              ; =>This Inner Loop Header: Depth=1
	s_clause 0x2
	global_load_b32 v56, v[25:26], off offset:-64
	global_load_b32 v96, v[25:26], off offset:-32
	global_load_b32 v136, v[25:26], off
	s_clause 0x6
	global_load_b128 v[27:30], v[23:24], off offset:48
	global_load_b128 v[32:35], v[23:24], off offset:32
	;; [unrolled: 1-line block ×3, first 2 shown]
	global_load_b128 v[40:43], v[23:24], off
	global_load_b128 v[44:47], v[23:24], off offset:112
	global_load_b128 v[48:51], v[23:24], off offset:96
	;; [unrolled: 1-line block ×3, first 2 shown]
	global_load_b32 v146, v[25:26], off offset:32
	v_add_co_u32 v25, s3, 0x80, v25
	s_delay_alu instid0(VALU_DEP_1)
	v_add_co_ci_u32_e64 v26, s3, 0, v26, s3
	s_waitcnt vmcnt(10)
	v_subrev_nc_u32_e32 v56, s12, v56
	s_waitcnt vmcnt(9)
	v_subrev_nc_u32_e32 v96, s12, v96
	;; [unrolled: 2-line block ×3, first 2 shown]
	v_lshlrev_b32_e32 v56, 2, v56
	s_delay_alu instid0(VALU_DEP_3) | instskip(NEXT) | instid1(VALU_DEP_3)
	v_lshlrev_b32_e32 v96, 2, v96
	v_lshlrev_b32_e32 v136, 2, v136
	s_delay_alu instid0(VALU_DEP_3) | instskip(NEXT) | instid1(VALU_DEP_3)
	v_ashrrev_i32_e32 v57, 31, v56
	v_ashrrev_i32_e32 v97, 31, v96
	s_delay_alu instid0(VALU_DEP_3) | instskip(NEXT) | instid1(VALU_DEP_3)
	v_ashrrev_i32_e32 v137, 31, v136
	v_lshlrev_b64 v[56:57], 3, v[56:57]
	s_delay_alu instid0(VALU_DEP_3) | instskip(NEXT) | instid1(VALU_DEP_3)
	v_lshlrev_b64 v[96:97], 3, v[96:97]
	v_lshlrev_b64 v[136:137], 3, v[136:137]
	s_waitcnt lgkmcnt(0)
	s_delay_alu instid0(VALU_DEP_3) | instskip(NEXT) | instid1(VALU_DEP_4)
	v_add_co_u32 v64, vcc_lo, s4, v56
	v_add_co_ci_u32_e32 v65, vcc_lo, s5, v57, vcc_lo
	s_delay_alu instid0(VALU_DEP_4)
	v_add_co_u32 v104, vcc_lo, s4, v96
	global_load_b128 v[56:59], v[23:24], off offset:64
	s_clause 0x1
	global_load_b128 v[60:63], v[64:65], off
	global_load_b128 v[64:67], v[64:65], off offset:16
	s_clause 0x6
	global_load_b128 v[68:71], v[23:24], off offset:1072
	global_load_b128 v[72:75], v[23:24], off offset:1056
	global_load_b128 v[76:79], v[23:24], off offset:1040
	global_load_b128 v[80:83], v[23:24], off offset:1024
	global_load_b128 v[84:87], v[23:24], off offset:1136
	global_load_b128 v[88:91], v[23:24], off offset:1120
	global_load_b128 v[92:95], v[23:24], off offset:1104
	v_add_co_ci_u32_e32 v105, vcc_lo, s5, v97, vcc_lo
	global_load_b128 v[96:99], v[23:24], off offset:1088
	s_clause 0x1
	global_load_b128 v[100:103], v[104:105], off
	global_load_b128 v[104:107], v[104:105], off offset:16
	s_clause 0x6
	global_load_b128 v[108:111], v[23:24], off offset:2096
	global_load_b128 v[112:115], v[23:24], off offset:2080
	;; [unrolled: 1-line block ×7, first 2 shown]
	v_add_co_u32 v144, vcc_lo, s4, v136
	v_add_co_ci_u32_e32 v145, vcc_lo, s5, v137, vcc_lo
	global_load_b128 v[136:139], v[23:24], off offset:2112
	global_load_b128 v[140:143], v[144:145], off
	s_waitcnt vmcnt(20)
	v_fma_f64 v[15:16], v[40:41], v[60:61], v[15:16]
	v_fma_f64 v[17:18], v[32:33], v[60:61], v[17:18]
	;; [unrolled: 1-line block ×4, first 2 shown]
	v_subrev_nc_u32_e32 v60, s12, v146
	s_delay_alu instid0(VALU_DEP_1) | instskip(NEXT) | instid1(VALU_DEP_1)
	v_lshlrev_b32_e32 v60, 2, v60
	v_ashrrev_i32_e32 v61, 31, v60
	v_fma_f64 v[15:16], v[42:43], v[62:63], v[15:16]
	v_fma_f64 v[17:18], v[34:35], v[62:63], v[17:18]
	;; [unrolled: 1-line block ×4, first 2 shown]
	global_load_b128 v[11:14], v[144:145], off offset:16
	s_waitcnt vmcnt(20)
	v_fma_f64 v[36:37], v[36:37], v[64:65], v[15:16]
	v_fma_f64 v[27:28], v[27:28], v[64:65], v[17:18]
	;; [unrolled: 1-line block ×4, first 2 shown]
	s_clause 0x4
	global_load_b128 v[15:18], v[23:24], off offset:3120
	global_load_b128 v[32:35], v[23:24], off offset:3104
	;; [unrolled: 1-line block ×5, first 2 shown]
	v_fma_f64 v[62:63], v[38:39], v[66:67], v[36:37]
	v_fma_f64 v[64:65], v[29:30], v[66:67], v[27:28]
	;; [unrolled: 1-line block ×4, first 2 shown]
	v_lshlrev_b64 v[27:28], 3, v[60:61]
	s_delay_alu instid0(VALU_DEP_1) | instskip(NEXT) | instid1(VALU_DEP_2)
	v_add_co_u32 v60, vcc_lo, s4, v27
	v_add_co_ci_u32_e32 v61, vcc_lo, s5, v28, vcc_lo
	global_load_b128 v[27:30], v[23:24], off offset:3168
	global_load_b128 v[36:39], v[60:61], off
	v_add_co_u32 v21, vcc_lo, v21, 32
	v_add_co_ci_u32_e32 v22, vcc_lo, 0, v22, vcc_lo
	s_waitcnt vmcnt(18)
	v_fma_f64 v[46:47], v[80:81], v[100:101], v[62:63]
	v_fma_f64 v[54:55], v[72:73], v[100:101], v[64:65]
	;; [unrolled: 1-line block ×4, first 2 shown]
	s_delay_alu instid0(VALU_DEP_4) | instskip(NEXT) | instid1(VALU_DEP_4)
	v_fma_f64 v[64:65], v[82:83], v[102:103], v[46:47]
	v_fma_f64 v[66:67], v[74:75], v[102:103], v[54:55]
	s_delay_alu instid0(VALU_DEP_4) | instskip(NEXT) | instid1(VALU_DEP_4)
	v_fma_f64 v[72:73], v[98:99], v[102:103], v[52:53]
	v_fma_f64 v[74:75], v[90:91], v[102:103], v[44:45]
	s_clause 0x1
	global_load_b128 v[44:47], v[23:24], off offset:3184
	global_load_b128 v[52:55], v[23:24], off offset:3152
	;; [unrolled: 1-line block ×3, first 2 shown]
	v_add_co_u32 v23, vcc_lo, 0x1000, v23
	v_add_co_ci_u32_e32 v24, vcc_lo, 0, v24, vcc_lo
	v_cmp_ge_i64_e32 vcc_lo, v[21:22], v[4:5]
	s_or_b32 s10, vcc_lo, s10
	s_waitcnt vmcnt(20)
	v_fma_f64 v[64:65], v[76:77], v[104:105], v[64:65]
	v_fma_f64 v[66:67], v[68:69], v[104:105], v[66:67]
	;; [unrolled: 1-line block ×4, first 2 shown]
	s_delay_alu instid0(VALU_DEP_4) | instskip(NEXT) | instid1(VALU_DEP_4)
	v_fma_f64 v[64:65], v[78:79], v[106:107], v[64:65]
	v_fma_f64 v[66:67], v[70:71], v[106:107], v[66:67]
	s_delay_alu instid0(VALU_DEP_4) | instskip(NEXT) | instid1(VALU_DEP_4)
	v_fma_f64 v[68:69], v[94:95], v[106:107], v[68:69]
	v_fma_f64 v[70:71], v[86:87], v[106:107], v[72:73]
	s_waitcnt vmcnt(11)
	s_delay_alu instid0(VALU_DEP_4) | instskip(NEXT) | instid1(VALU_DEP_4)
	v_fma_f64 v[64:65], v[120:121], v[140:141], v[64:65]
	v_fma_f64 v[66:67], v[112:113], v[140:141], v[66:67]
	s_delay_alu instid0(VALU_DEP_4) | instskip(NEXT) | instid1(VALU_DEP_4)
	v_fma_f64 v[68:69], v[136:137], v[140:141], v[68:69]
	v_fma_f64 v[70:71], v[128:129], v[140:141], v[70:71]
	s_delay_alu instid0(VALU_DEP_4) | instskip(NEXT) | instid1(VALU_DEP_4)
	v_fma_f64 v[64:65], v[122:123], v[142:143], v[64:65]
	v_fma_f64 v[66:67], v[114:115], v[142:143], v[66:67]
	s_delay_alu instid0(VALU_DEP_4) | instskip(NEXT) | instid1(VALU_DEP_4)
	v_fma_f64 v[68:69], v[138:139], v[142:143], v[68:69]
	v_fma_f64 v[70:71], v[130:131], v[142:143], v[70:71]
	s_waitcnt vmcnt(10)
	s_delay_alu instid0(VALU_DEP_4) | instskip(NEXT) | instid1(VALU_DEP_4)
	v_fma_f64 v[64:65], v[116:117], v[11:12], v[64:65]
	v_fma_f64 v[66:67], v[108:109], v[11:12], v[66:67]
	s_delay_alu instid0(VALU_DEP_4) | instskip(NEXT) | instid1(VALU_DEP_4)
	v_fma_f64 v[68:69], v[132:133], v[11:12], v[68:69]
	v_fma_f64 v[11:12], v[124:125], v[11:12], v[70:71]
	;; [unrolled: 13-line block ×4, first 2 shown]
	s_delay_alu instid0(VALU_DEP_4) | instskip(NEXT) | instid1(VALU_DEP_4)
	v_fma_f64 v[15:16], v[42:43], v[62:63], v[13:14]
	v_fma_f64 v[17:18], v[17:18], v[62:63], v[27:28]
	s_delay_alu instid0(VALU_DEP_4) | instskip(NEXT) | instid1(VALU_DEP_4)
	v_fma_f64 v[13:14], v[54:55], v[62:63], v[29:30]
	v_fma_f64 v[11:12], v[46:47], v[62:63], v[11:12]
	s_and_not1_b32 exec_lo, exec_lo, s10
	s_cbranch_execnz .LBB26_21
; %bb.22:
	s_or_b32 exec_lo, exec_lo, s10
.LBB26_23:
	s_delay_alu instid0(SALU_CYCLE_1)
	s_or_b32 exec_lo, exec_lo, s7
.LBB26_24:
	s_delay_alu instid0(SALU_CYCLE_1)
	s_or_b32 exec_lo, exec_lo, s6
	s_cbranch_execz .LBB26_26
	s_branch .LBB26_37
.LBB26_25:
                                        ; implicit-def: $vgpr11_vgpr12
                                        ; implicit-def: $vgpr13_vgpr14
                                        ; implicit-def: $vgpr17_vgpr18
                                        ; implicit-def: $vgpr15_vgpr16
.LBB26_26:
	v_mov_b32_e32 v11, 0
	v_mov_b32_e32 v12, 0
	s_delay_alu instid0(VALU_DEP_1)
	v_dual_mov_b32 v14, v12 :: v_dual_mov_b32 v13, v11
	v_dual_mov_b32 v18, v12 :: v_dual_mov_b32 v17, v11
	;; [unrolled: 1-line block ×3, first 2 shown]
	s_and_saveexec_b32 s3, s2
	s_cbranch_execz .LBB26_36
; %bb.27:
	v_or_b32_e32 v11, 8, v31
	v_not_b32_e32 v14, v19
	v_not_b32_e32 v13, v20
	s_mov_b32 s7, 0
	s_mov_b32 s6, exec_lo
	v_sub_co_u32 v11, s2, v11, s12
	s_delay_alu instid0(VALU_DEP_1) | instskip(SKIP_1) | instid1(VALU_DEP_3)
	v_sub_co_ci_u32_e64 v12, null, 0, 0, s2
	v_sub_co_u32 v15, s2, s12, v31
	v_add_co_u32 v11, vcc_lo, v11, v19
	s_delay_alu instid0(VALU_DEP_3) | instskip(SKIP_1) | instid1(VALU_DEP_2)
	v_add_co_ci_u32_e32 v12, vcc_lo, v12, v20, vcc_lo
	v_sub_co_ci_u32_e64 v16, null, 0, 0, s2
	v_cmp_gt_i64_e32 vcc_lo, v[11:12], v[4:5]
	v_dual_cndmask_b32 v12, v5, v12 :: v_dual_cndmask_b32 v11, v4, v11
	v_add_co_u32 v14, vcc_lo, v15, v14
	s_delay_alu instid0(VALU_DEP_4) | instskip(SKIP_1) | instid1(VALU_DEP_3)
	v_add_co_ci_u32_e32 v13, vcc_lo, v16, v13, vcc_lo
	v_mov_b32_e32 v15, 0
	v_add_co_u32 v19, vcc_lo, v14, v11
	s_delay_alu instid0(VALU_DEP_3) | instskip(SKIP_1) | instid1(VALU_DEP_3)
	v_add_co_ci_u32_e32 v20, vcc_lo, v13, v12, vcc_lo
	v_mov_b32_e32 v16, 0
	v_lshrrev_b32_e32 v11, 3, v19
	s_delay_alu instid0(VALU_DEP_2) | instskip(NEXT) | instid1(VALU_DEP_2)
	v_dual_mov_b32 v13, v15 :: v_dual_mov_b32 v18, v16
	v_add_nc_u32_e32 v11, 1, v11
	v_dual_mov_b32 v17, v15 :: v_dual_mov_b32 v14, v16
	s_delay_alu instid0(VALU_DEP_2) | instskip(SKIP_1) | instid1(VALU_DEP_2)
	v_and_b32_e32 v21, 3, v11
	v_dual_mov_b32 v11, v15 :: v_dual_mov_b32 v12, v16
	v_cmpx_ne_u32_e32 0, v21
	s_cbranch_execz .LBB26_31
; %bb.28:
	v_lshlrev_b64 v[13:14], 2, v[0:1]
	v_dual_mov_b32 v22, 0 :: v_dual_mov_b32 v11, 0
	v_dual_mov_b32 v12, 0 :: v_dual_lshlrev_b32 v21, 5, v21
	s_delay_alu instid0(VALU_DEP_3) | instskip(NEXT) | instid1(VALU_DEP_4)
	v_add_co_u32 v23, vcc_lo, s8, v13
	v_add_co_ci_u32_e32 v24, vcc_lo, s9, v14, vcc_lo
	s_delay_alu instid0(VALU_DEP_3)
	v_dual_mov_b32 v14, v12 :: v_dual_mov_b32 v13, v11
	v_dual_mov_b32 v18, v12 :: v_dual_mov_b32 v17, v11
	;; [unrolled: 1-line block ×3, first 2 shown]
.LBB26_29:                              ; =>This Inner Loop Header: Depth=1
	global_load_b32 v29, v[23:24], off
	global_load_b128 v[25:28], v[6:7], off offset:16
	v_add_co_u32 v23, s2, v23, 32
	s_delay_alu instid0(VALU_DEP_1) | instskip(SKIP_2) | instid1(VALU_DEP_1)
	v_add_co_ci_u32_e64 v24, s2, 0, v24, s2
	s_waitcnt vmcnt(1)
	v_subrev_nc_u32_e32 v29, s12, v29
	v_lshlrev_b32_e32 v29, 2, v29
	s_delay_alu instid0(VALU_DEP_1) | instskip(NEXT) | instid1(VALU_DEP_1)
	v_ashrrev_i32_e32 v30, 31, v29
	v_lshlrev_b64 v[29:30], 3, v[29:30]
	s_waitcnt lgkmcnt(0)
	s_delay_alu instid0(VALU_DEP_1) | instskip(NEXT) | instid1(VALU_DEP_2)
	v_add_co_u32 v29, vcc_lo, s4, v29
	v_add_co_ci_u32_e32 v30, vcc_lo, s5, v30, vcc_lo
	global_load_b128 v[32:35], v[6:7], off
	s_clause 0x1
	global_load_b128 v[36:39], v[29:30], off
	global_load_b128 v[40:43], v[29:30], off offset:16
	s_clause 0x5
	global_load_b128 v[44:47], v[6:7], off offset:32
	global_load_b128 v[48:51], v[6:7], off offset:48
	;; [unrolled: 1-line block ×6, first 2 shown]
	v_add_co_u32 v6, vcc_lo, 0x400, v6
	v_add_co_ci_u32_e32 v7, vcc_lo, 0, v7, vcc_lo
	v_add_co_u32 v21, vcc_lo, 0xffffffe0, v21
	v_add_co_ci_u32_e32 v22, vcc_lo, -1, v22, vcc_lo
	v_add_co_u32 v0, vcc_lo, v0, 8
	v_add_co_ci_u32_e32 v1, vcc_lo, 0, v1, vcc_lo
	s_delay_alu instid0(VALU_DEP_3)
	v_cmp_eq_u64_e32 vcc_lo, 0, v[21:22]
	s_or_b32 s7, vcc_lo, s7
	s_waitcnt vmcnt(7)
	v_fma_f64 v[15:16], v[32:33], v[36:37], v[15:16]
	v_fma_f64 v[17:18], v[34:35], v[36:37], v[17:18]
	;; [unrolled: 1-line block ×4, first 2 shown]
	s_waitcnt vmcnt(5)
	s_delay_alu instid0(VALU_DEP_4) | instskip(NEXT) | instid1(VALU_DEP_4)
	v_fma_f64 v[15:16], v[44:45], v[38:39], v[15:16]
	v_fma_f64 v[17:18], v[46:47], v[38:39], v[17:18]
	s_waitcnt vmcnt(4)
	s_delay_alu instid0(VALU_DEP_4) | instskip(NEXT) | instid1(VALU_DEP_4)
	v_fma_f64 v[13:14], v[48:49], v[38:39], v[13:14]
	v_fma_f64 v[11:12], v[50:51], v[38:39], v[11:12]
	;; [unrolled: 4-line block ×6, first 2 shown]
	s_and_not1_b32 exec_lo, exec_lo, s7
	s_cbranch_execnz .LBB26_29
; %bb.30:
	s_or_b32 exec_lo, exec_lo, s7
.LBB26_31:
	s_delay_alu instid0(SALU_CYCLE_1) | instskip(NEXT) | instid1(SALU_CYCLE_1)
	s_or_b32 exec_lo, exec_lo, s6
	s_mov_b32 s6, exec_lo
	v_cmpx_lt_u64_e32 23, v[19:20]
	s_cbranch_execz .LBB26_35
; %bb.32:
	v_lshlrev_b64 v[19:20], 2, v[0:1]
	s_mov_b32 s7, 0
	s_delay_alu instid0(VALU_DEP_1) | instskip(NEXT) | instid1(VALU_DEP_2)
	v_add_co_u32 v19, vcc_lo, v19, s8
	v_add_co_ci_u32_e32 v20, vcc_lo, s9, v20, vcc_lo
	s_delay_alu instid0(VALU_DEP_2) | instskip(NEXT) | instid1(VALU_DEP_2)
	v_add_co_u32 v19, vcc_lo, v19, 64
	v_add_co_ci_u32_e32 v20, vcc_lo, 0, v20, vcc_lo
.LBB26_33:                              ; =>This Inner Loop Header: Depth=1
	s_clause 0x2
	global_load_b32 v25, v[19:20], off offset:-64
	global_load_b32 v68, v[19:20], off offset:-32
	global_load_b32 v108, v[19:20], off
	global_load_b128 v[21:24], v[6:7], off offset:16
	global_load_b32 v118, v[19:20], off offset:32
	v_add_co_u32 v19, s2, 0x80, v19
	s_delay_alu instid0(VALU_DEP_1) | instskip(SKIP_2) | instid1(VALU_DEP_1)
	v_add_co_ci_u32_e64 v20, s2, 0, v20, s2
	s_waitcnt vmcnt(4)
	v_subrev_nc_u32_e32 v25, s12, v25
	v_lshlrev_b32_e32 v25, 2, v25
	s_delay_alu instid0(VALU_DEP_1) | instskip(NEXT) | instid1(VALU_DEP_1)
	v_ashrrev_i32_e32 v26, 31, v25
	v_lshlrev_b64 v[25:26], 3, v[25:26]
	s_waitcnt lgkmcnt(0)
	s_delay_alu instid0(VALU_DEP_1) | instskip(NEXT) | instid1(VALU_DEP_2)
	v_add_co_u32 v29, vcc_lo, s4, v25
	v_add_co_ci_u32_e32 v30, vcc_lo, s5, v26, vcc_lo
	global_load_b128 v[25:28], v[6:7], off
	global_load_b128 v[32:35], v[29:30], off
	s_clause 0x3
	global_load_b128 v[36:39], v[6:7], off offset:32
	global_load_b128 v[40:43], v[6:7], off offset:48
	;; [unrolled: 1-line block ×5, first 2 shown]
	s_clause 0x2
	global_load_b128 v[56:59], v[6:7], off offset:96
	global_load_b128 v[60:63], v[6:7], off offset:112
	;; [unrolled: 1-line block ×3, first 2 shown]
	s_waitcnt vmcnt(13)
	v_subrev_nc_u32_e32 v29, s12, v68
	s_delay_alu instid0(VALU_DEP_1) | instskip(NEXT) | instid1(VALU_DEP_1)
	v_lshlrev_b32_e32 v29, 2, v29
	v_ashrrev_i32_e32 v30, 31, v29
	s_delay_alu instid0(VALU_DEP_1) | instskip(NEXT) | instid1(VALU_DEP_1)
	v_lshlrev_b64 v[29:30], 3, v[29:30]
	v_add_co_u32 v29, vcc_lo, s4, v29
	s_delay_alu instid0(VALU_DEP_2)
	v_add_co_ci_u32_e32 v30, vcc_lo, s5, v30, vcc_lo
	global_load_b128 v[68:71], v[6:7], off offset:1024
	global_load_b128 v[72:75], v[29:30], off
	s_clause 0x3
	global_load_b128 v[76:79], v[6:7], off offset:1056
	global_load_b128 v[80:83], v[6:7], off offset:1072
	;; [unrolled: 1-line block ×5, first 2 shown]
	s_clause 0x2
	global_load_b128 v[96:99], v[6:7], off offset:1120
	global_load_b128 v[100:103], v[6:7], off offset:1136
	;; [unrolled: 1-line block ×3, first 2 shown]
	s_waitcnt vmcnt(22)
	v_subrev_nc_u32_e32 v29, s12, v108
	s_delay_alu instid0(VALU_DEP_1) | instskip(NEXT) | instid1(VALU_DEP_1)
	v_lshlrev_b32_e32 v29, 2, v29
	v_ashrrev_i32_e32 v30, 31, v29
	s_delay_alu instid0(VALU_DEP_1) | instskip(NEXT) | instid1(VALU_DEP_1)
	v_lshlrev_b64 v[29:30], 3, v[29:30]
	v_add_co_u32 v29, vcc_lo, s4, v29
	s_delay_alu instid0(VALU_DEP_2)
	v_add_co_ci_u32_e32 v30, vcc_lo, s5, v30, vcc_lo
	global_load_b128 v[108:111], v[6:7], off offset:2048
	global_load_b128 v[112:115], v[29:30], off
	s_waitcnt vmcnt(20)
	v_fma_f64 v[25:26], v[25:26], v[32:33], v[15:16]
	v_fma_f64 v[27:28], v[27:28], v[32:33], v[17:18]
	;; [unrolled: 1-line block ×4, first 2 shown]
	s_clause 0x1
	global_load_b128 v[11:14], v[6:7], off offset:2080
	global_load_b128 v[15:18], v[6:7], off offset:2096
	s_waitcnt vmcnt(21)
	v_fma_f64 v[36:37], v[36:37], v[34:35], v[25:26]
	v_fma_f64 v[38:39], v[38:39], v[34:35], v[27:28]
	s_waitcnt vmcnt(20)
	v_fma_f64 v[40:41], v[40:41], v[34:35], v[21:22]
	v_fma_f64 v[42:43], v[42:43], v[34:35], v[23:24]
	s_clause 0x1
	global_load_b128 v[21:24], v[6:7], off offset:2112
	global_load_b128 v[25:28], v[6:7], off offset:2128
	;; [unrolled: 1-line block ×3, first 2 shown]
	s_waitcnt vmcnt(20)
	v_fma_f64 v[29:30], v[44:45], v[52:53], v[36:37]
	v_fma_f64 v[116:117], v[46:47], v[52:53], v[38:39]
	;; [unrolled: 1-line block ×4, first 2 shown]
	s_clause 0x2
	global_load_b128 v[36:39], v[6:7], off offset:2144
	global_load_b128 v[40:43], v[6:7], off offset:2160
	;; [unrolled: 1-line block ×3, first 2 shown]
	v_subrev_nc_u32_e32 v52, s12, v118
	s_delay_alu instid0(VALU_DEP_1) | instskip(NEXT) | instid1(VALU_DEP_1)
	v_lshlrev_b32_e32 v52, 2, v52
	v_ashrrev_i32_e32 v53, 31, v52
	s_waitcnt vmcnt(22)
	v_fma_f64 v[29:30], v[56:57], v[54:55], v[29:30]
	v_fma_f64 v[56:57], v[58:59], v[54:55], v[116:117]
	s_waitcnt vmcnt(21)
	v_fma_f64 v[58:59], v[60:61], v[54:55], v[48:49]
	v_fma_f64 v[60:61], v[62:63], v[54:55], v[50:51]
	v_lshlrev_b64 v[48:49], 3, v[52:53]
	s_delay_alu instid0(VALU_DEP_1) | instskip(NEXT) | instid1(VALU_DEP_2)
	v_add_co_u32 v116, vcc_lo, s4, v48
	v_add_co_ci_u32_e32 v117, vcc_lo, s5, v49, vcc_lo
	global_load_b128 v[48:51], v[6:7], off offset:3072
	global_load_b128 v[52:55], v[116:117], off
	v_add_co_u32 v0, vcc_lo, v0, 32
	v_add_co_ci_u32_e32 v1, vcc_lo, 0, v1, vcc_lo
	s_waitcnt vmcnt(20)
	v_fma_f64 v[29:30], v[68:69], v[72:73], v[29:30]
	v_fma_f64 v[68:69], v[70:71], v[72:73], v[56:57]
	;; [unrolled: 1-line block ×4, first 2 shown]
	s_clause 0x1
	global_load_b128 v[56:59], v[6:7], off offset:3104
	global_load_b128 v[60:63], v[6:7], off offset:3120
	s_waitcnt vmcnt(21)
	v_fma_f64 v[29:30], v[76:77], v[74:75], v[29:30]
	v_fma_f64 v[76:77], v[78:79], v[74:75], v[68:69]
	s_waitcnt vmcnt(20)
	v_fma_f64 v[78:79], v[80:81], v[74:75], v[64:65]
	v_fma_f64 v[80:81], v[82:83], v[74:75], v[66:67]
	s_clause 0x1
	global_load_b128 v[64:67], v[6:7], off offset:3136
	global_load_b128 v[68:71], v[6:7], off offset:3152
	;; [unrolled: 1-line block ×3, first 2 shown]
	s_waitcnt vmcnt(20)
	v_fma_f64 v[29:30], v[84:85], v[92:93], v[29:30]
	v_fma_f64 v[84:85], v[86:87], v[92:93], v[76:77]
	;; [unrolled: 1-line block ×4, first 2 shown]
	s_clause 0x1
	global_load_b128 v[76:79], v[6:7], off offset:3168
	global_load_b128 v[80:83], v[6:7], off offset:3184
	v_add_co_u32 v6, vcc_lo, 0x1000, v6
	v_add_co_ci_u32_e32 v7, vcc_lo, 0, v7, vcc_lo
	v_cmp_ge_i64_e32 vcc_lo, v[0:1], v[4:5]
	s_or_b32 s7, vcc_lo, s7
	s_waitcnt vmcnt(21)
	v_fma_f64 v[29:30], v[96:97], v[94:95], v[29:30]
	v_fma_f64 v[84:85], v[98:99], v[94:95], v[84:85]
	s_waitcnt vmcnt(20)
	v_fma_f64 v[86:87], v[100:101], v[94:95], v[86:87]
	v_fma_f64 v[88:89], v[102:103], v[94:95], v[88:89]
	s_waitcnt vmcnt(17)
	s_delay_alu instid0(VALU_DEP_4) | instskip(NEXT) | instid1(VALU_DEP_4)
	v_fma_f64 v[29:30], v[108:109], v[112:113], v[29:30]
	v_fma_f64 v[84:85], v[110:111], v[112:113], v[84:85]
	s_delay_alu instid0(VALU_DEP_4) | instskip(NEXT) | instid1(VALU_DEP_4)
	v_fma_f64 v[86:87], v[104:105], v[112:113], v[86:87]
	v_fma_f64 v[88:89], v[106:107], v[112:113], v[88:89]
	s_waitcnt vmcnt(16)
	s_delay_alu instid0(VALU_DEP_4) | instskip(NEXT) | instid1(VALU_DEP_4)
	v_fma_f64 v[11:12], v[11:12], v[114:115], v[29:30]
	v_fma_f64 v[13:14], v[13:14], v[114:115], v[84:85]
	s_waitcnt vmcnt(15)
	s_delay_alu instid0(VALU_DEP_4) | instskip(NEXT) | instid1(VALU_DEP_4)
	v_fma_f64 v[15:16], v[15:16], v[114:115], v[86:87]
	v_fma_f64 v[17:18], v[17:18], v[114:115], v[88:89]
	s_waitcnt vmcnt(12)
	s_delay_alu instid0(VALU_DEP_4) | instskip(NEXT) | instid1(VALU_DEP_4)
	v_fma_f64 v[11:12], v[21:22], v[32:33], v[11:12]
	v_fma_f64 v[13:14], v[23:24], v[32:33], v[13:14]
	s_delay_alu instid0(VALU_DEP_4) | instskip(NEXT) | instid1(VALU_DEP_4)
	v_fma_f64 v[15:16], v[25:26], v[32:33], v[15:16]
	v_fma_f64 v[17:18], v[27:28], v[32:33], v[17:18]
	s_waitcnt vmcnt(11)
	s_delay_alu instid0(VALU_DEP_4) | instskip(NEXT) | instid1(VALU_DEP_4)
	v_fma_f64 v[11:12], v[36:37], v[34:35], v[11:12]
	v_fma_f64 v[13:14], v[38:39], v[34:35], v[13:14]
	s_waitcnt vmcnt(10)
	s_delay_alu instid0(VALU_DEP_4) | instskip(NEXT) | instid1(VALU_DEP_4)
	;; [unrolled: 15-line block ×4, first 2 shown]
	v_fma_f64 v[13:14], v[80:81], v[74:75], v[21:22]
	v_fma_f64 v[11:12], v[82:83], v[74:75], v[23:24]
	s_and_not1_b32 exec_lo, exec_lo, s7
	s_cbranch_execnz .LBB26_33
; %bb.34:
	s_or_b32 exec_lo, exec_lo, s7
.LBB26_35:
	s_delay_alu instid0(SALU_CYCLE_1)
	s_or_b32 exec_lo, exec_lo, s6
.LBB26_36:
	s_delay_alu instid0(SALU_CYCLE_1)
	s_or_b32 exec_lo, exec_lo, s3
.LBB26_37:
	v_mbcnt_lo_u32_b32 v23, -1, 0
	s_delay_alu instid0(VALU_DEP_1) | instskip(NEXT) | instid1(VALU_DEP_1)
	v_xor_b32_e32 v0, 4, v23
	v_cmp_gt_i32_e32 vcc_lo, 32, v0
	v_cndmask_b32_e32 v0, v23, v0, vcc_lo
	s_delay_alu instid0(VALU_DEP_1)
	v_lshlrev_b32_e32 v20, 2, v0
	ds_bpermute_b32 v0, v20, v15
	ds_bpermute_b32 v1, v20, v16
	;; [unrolled: 1-line block ×8, first 2 shown]
	s_waitcnt lgkmcnt(0)
	v_add_f64 v[0:1], v[15:16], v[0:1]
	v_add_f64 v[4:5], v[17:18], v[4:5]
	;; [unrolled: 1-line block ×3, first 2 shown]
	v_xor_b32_e32 v6, 2, v23
	v_add_f64 v[15:16], v[11:12], v[19:20]
	s_delay_alu instid0(VALU_DEP_2) | instskip(SKIP_1) | instid1(VALU_DEP_1)
	v_cmp_gt_i32_e32 vcc_lo, 32, v6
	v_cndmask_b32_e32 v6, v23, v6, vcc_lo
	v_lshlrev_b32_e32 v11, 2, v6
	ds_bpermute_b32 v6, v11, v0
	ds_bpermute_b32 v7, v11, v1
	;; [unrolled: 1-line block ×8, first 2 shown]
	s_waitcnt lgkmcnt(6)
	v_add_f64 v[11:12], v[0:1], v[6:7]
	s_waitcnt lgkmcnt(4)
	v_add_f64 v[6:7], v[4:5], v[17:18]
	;; [unrolled: 2-line block ×3, first 2 shown]
	v_xor_b32_e32 v13, 1, v23
	s_waitcnt lgkmcnt(0)
	v_add_f64 v[4:5], v[15:16], v[21:22]
	s_delay_alu instid0(VALU_DEP_2) | instskip(SKIP_2) | instid1(VALU_DEP_2)
	v_cmp_gt_i32_e32 vcc_lo, 32, v13
	v_cndmask_b32_e32 v13, v23, v13, vcc_lo
	v_cmp_eq_u32_e32 vcc_lo, 7, v31
	v_lshlrev_b32_e32 v14, 2, v13
	ds_bpermute_b32 v19, v14, v11
	ds_bpermute_b32 v20, v14, v12
	;; [unrolled: 1-line block ×8, first 2 shown]
	s_and_b32 exec_lo, exec_lo, vcc_lo
	s_cbranch_execz .LBB26_10
; %bb.38:
	s_waitcnt lgkmcnt(6)
	v_add_f64 v[11:12], v[11:12], v[19:20]
	s_waitcnt lgkmcnt(4)
	v_add_f64 v[6:7], v[6:7], v[17:18]
	;; [unrolled: 2-line block ×4, first 2 shown]
	s_load_b64 s[0:1], s[0:1], 0x50
	v_lshlrev_b32_e32 v10, 2, v10
	s_mov_b32 s2, exec_lo
	v_mul_f64 v[4:5], v[2:3], v[11:12]
	v_mul_f64 v[6:7], v[2:3], v[6:7]
	;; [unrolled: 1-line block ×4, first 2 shown]
	v_cmpx_eq_f64_e32 0, v[8:9]
	s_xor_b32 s2, exec_lo, s2
	s_cbranch_execz .LBB26_40
; %bb.39:
	v_ashrrev_i32_e32 v11, 31, v10
	s_delay_alu instid0(VALU_DEP_1) | instskip(SKIP_1) | instid1(VALU_DEP_1)
	v_lshlrev_b64 v[8:9], 3, v[10:11]
                                        ; implicit-def: $vgpr10
	s_waitcnt lgkmcnt(0)
	v_add_co_u32 v8, vcc_lo, s0, v8
	s_delay_alu instid0(VALU_DEP_2)
	v_add_co_ci_u32_e32 v9, vcc_lo, s1, v9, vcc_lo
	s_clause 0x1
	global_store_b128 v[8:9], v[4:7], off
	global_store_b128 v[8:9], v[0:3], off offset:16
                                        ; implicit-def: $vgpr8_vgpr9
                                        ; implicit-def: $vgpr4_vgpr5
                                        ; implicit-def: $vgpr0_vgpr1
.LBB26_40:
	s_and_not1_saveexec_b32 s2, s2
	s_cbranch_execz .LBB26_10
; %bb.41:
	v_ashrrev_i32_e32 v11, 31, v10
	s_delay_alu instid0(VALU_DEP_1) | instskip(SKIP_1) | instid1(VALU_DEP_1)
	v_lshlrev_b64 v[10:11], 3, v[10:11]
	s_waitcnt lgkmcnt(0)
	v_add_co_u32 v18, vcc_lo, s0, v10
	s_delay_alu instid0(VALU_DEP_2)
	v_add_co_ci_u32_e32 v19, vcc_lo, s1, v11, vcc_lo
	s_clause 0x1
	global_load_b128 v[10:13], v[18:19], off
	global_load_b128 v[14:17], v[18:19], off offset:16
	s_waitcnt vmcnt(1)
	v_fma_f64 v[4:5], v[8:9], v[10:11], v[4:5]
	v_fma_f64 v[6:7], v[8:9], v[12:13], v[6:7]
	s_waitcnt vmcnt(0)
	v_fma_f64 v[0:1], v[8:9], v[14:15], v[0:1]
	v_fma_f64 v[2:3], v[8:9], v[16:17], v[2:3]
	s_clause 0x1
	global_store_b128 v[18:19], v[4:7], off
	global_store_b128 v[18:19], v[0:3], off offset:16
	s_nop 0
	s_sendmsg sendmsg(MSG_DEALLOC_VGPRS)
	s_endpgm
	.section	.rodata,"a",@progbits
	.p2align	6, 0x0
	.amdhsa_kernel _ZN9rocsparseL18bsrxmvn_4x4_kernelILj128ELj8EdlidddEEvT3_20rocsparse_direction_NS_24const_host_device_scalarIT1_EES1_PKS1_PKT2_SA_S7_PKT4_PKT5_S5_PT6_21rocsparse_index_base_b
		.amdhsa_group_segment_fixed_size 0
		.amdhsa_private_segment_fixed_size 0
		.amdhsa_kernarg_size 96
		.amdhsa_user_sgpr_count 15
		.amdhsa_user_sgpr_dispatch_ptr 0
		.amdhsa_user_sgpr_queue_ptr 0
		.amdhsa_user_sgpr_kernarg_segment_ptr 1
		.amdhsa_user_sgpr_dispatch_id 0
		.amdhsa_user_sgpr_private_segment_size 0
		.amdhsa_wavefront_size32 1
		.amdhsa_uses_dynamic_stack 0
		.amdhsa_enable_private_segment 0
		.amdhsa_system_sgpr_workgroup_id_x 1
		.amdhsa_system_sgpr_workgroup_id_y 0
		.amdhsa_system_sgpr_workgroup_id_z 0
		.amdhsa_system_sgpr_workgroup_info 0
		.amdhsa_system_vgpr_workitem_id 0
		.amdhsa_next_free_vgpr 147
		.amdhsa_next_free_sgpr 16
		.amdhsa_reserve_vcc 1
		.amdhsa_float_round_mode_32 0
		.amdhsa_float_round_mode_16_64 0
		.amdhsa_float_denorm_mode_32 3
		.amdhsa_float_denorm_mode_16_64 3
		.amdhsa_dx10_clamp 1
		.amdhsa_ieee_mode 1
		.amdhsa_fp16_overflow 0
		.amdhsa_workgroup_processor_mode 1
		.amdhsa_memory_ordered 1
		.amdhsa_forward_progress 0
		.amdhsa_shared_vgpr_count 0
		.amdhsa_exception_fp_ieee_invalid_op 0
		.amdhsa_exception_fp_denorm_src 0
		.amdhsa_exception_fp_ieee_div_zero 0
		.amdhsa_exception_fp_ieee_overflow 0
		.amdhsa_exception_fp_ieee_underflow 0
		.amdhsa_exception_fp_ieee_inexact 0
		.amdhsa_exception_int_div_zero 0
	.end_amdhsa_kernel
	.section	.text._ZN9rocsparseL18bsrxmvn_4x4_kernelILj128ELj8EdlidddEEvT3_20rocsparse_direction_NS_24const_host_device_scalarIT1_EES1_PKS1_PKT2_SA_S7_PKT4_PKT5_S5_PT6_21rocsparse_index_base_b,"axG",@progbits,_ZN9rocsparseL18bsrxmvn_4x4_kernelILj128ELj8EdlidddEEvT3_20rocsparse_direction_NS_24const_host_device_scalarIT1_EES1_PKS1_PKT2_SA_S7_PKT4_PKT5_S5_PT6_21rocsparse_index_base_b,comdat
.Lfunc_end26:
	.size	_ZN9rocsparseL18bsrxmvn_4x4_kernelILj128ELj8EdlidddEEvT3_20rocsparse_direction_NS_24const_host_device_scalarIT1_EES1_PKS1_PKT2_SA_S7_PKT4_PKT5_S5_PT6_21rocsparse_index_base_b, .Lfunc_end26-_ZN9rocsparseL18bsrxmvn_4x4_kernelILj128ELj8EdlidddEEvT3_20rocsparse_direction_NS_24const_host_device_scalarIT1_EES1_PKS1_PKT2_SA_S7_PKT4_PKT5_S5_PT6_21rocsparse_index_base_b
                                        ; -- End function
	.section	.AMDGPU.csdata,"",@progbits
; Kernel info:
; codeLenInByte = 5388
; NumSgprs: 18
; NumVgprs: 147
; ScratchSize: 0
; MemoryBound: 1
; FloatMode: 240
; IeeeMode: 1
; LDSByteSize: 0 bytes/workgroup (compile time only)
; SGPRBlocks: 2
; VGPRBlocks: 18
; NumSGPRsForWavesPerEU: 18
; NumVGPRsForWavesPerEU: 147
; Occupancy: 9
; WaveLimiterHint : 1
; COMPUTE_PGM_RSRC2:SCRATCH_EN: 0
; COMPUTE_PGM_RSRC2:USER_SGPR: 15
; COMPUTE_PGM_RSRC2:TRAP_HANDLER: 0
; COMPUTE_PGM_RSRC2:TGID_X_EN: 1
; COMPUTE_PGM_RSRC2:TGID_Y_EN: 0
; COMPUTE_PGM_RSRC2:TGID_Z_EN: 0
; COMPUTE_PGM_RSRC2:TIDIG_COMP_CNT: 0
	.section	.text._ZN9rocsparseL18bsrxmvn_4x4_kernelILj128ELj16EdlidddEEvT3_20rocsparse_direction_NS_24const_host_device_scalarIT1_EES1_PKS1_PKT2_SA_S7_PKT4_PKT5_S5_PT6_21rocsparse_index_base_b,"axG",@progbits,_ZN9rocsparseL18bsrxmvn_4x4_kernelILj128ELj16EdlidddEEvT3_20rocsparse_direction_NS_24const_host_device_scalarIT1_EES1_PKS1_PKT2_SA_S7_PKT4_PKT5_S5_PT6_21rocsparse_index_base_b,comdat
	.globl	_ZN9rocsparseL18bsrxmvn_4x4_kernelILj128ELj16EdlidddEEvT3_20rocsparse_direction_NS_24const_host_device_scalarIT1_EES1_PKS1_PKT2_SA_S7_PKT4_PKT5_S5_PT6_21rocsparse_index_base_b ; -- Begin function _ZN9rocsparseL18bsrxmvn_4x4_kernelILj128ELj16EdlidddEEvT3_20rocsparse_direction_NS_24const_host_device_scalarIT1_EES1_PKS1_PKT2_SA_S7_PKT4_PKT5_S5_PT6_21rocsparse_index_base_b
	.p2align	8
	.type	_ZN9rocsparseL18bsrxmvn_4x4_kernelILj128ELj16EdlidddEEvT3_20rocsparse_direction_NS_24const_host_device_scalarIT1_EES1_PKS1_PKT2_SA_S7_PKT4_PKT5_S5_PT6_21rocsparse_index_base_b,@function
_ZN9rocsparseL18bsrxmvn_4x4_kernelILj128ELj16EdlidddEEvT3_20rocsparse_direction_NS_24const_host_device_scalarIT1_EES1_PKS1_PKT2_SA_S7_PKT4_PKT5_S5_PT6_21rocsparse_index_base_b: ; @_ZN9rocsparseL18bsrxmvn_4x4_kernelILj128ELj16EdlidddEEvT3_20rocsparse_direction_NS_24const_host_device_scalarIT1_EES1_PKS1_PKT2_SA_S7_PKT4_PKT5_S5_PT6_21rocsparse_index_base_b
; %bb.0:
	s_clause 0x2
	s_load_b64 s[12:13], s[0:1], 0x58
	s_load_b64 s[4:5], s[0:1], 0x8
	;; [unrolled: 1-line block ×3, first 2 shown]
	s_waitcnt lgkmcnt(0)
	s_bitcmp1_b32 s13, 0
	v_dual_mov_b32 v2, s4 :: v_dual_mov_b32 v3, s5
	s_cselect_b32 s6, -1, 0
	s_delay_alu instid0(SALU_CYCLE_1)
	s_and_b32 vcc_lo, exec_lo, s6
	s_xor_b32 s6, s6, -1
	s_cbranch_vccnz .LBB27_2
; %bb.1:
	v_dual_mov_b32 v1, s4 :: v_dual_mov_b32 v2, s5
	flat_load_b64 v[2:3], v[1:2]
.LBB27_2:
	v_dual_mov_b32 v9, s3 :: v_dual_mov_b32 v8, s2
	s_and_not1_b32 vcc_lo, exec_lo, s6
	s_cbranch_vccnz .LBB27_4
; %bb.3:
	v_dual_mov_b32 v5, s3 :: v_dual_mov_b32 v4, s2
	flat_load_b64 v[8:9], v[4:5]
.LBB27_4:
	s_waitcnt vmcnt(0) lgkmcnt(0)
	v_cmp_neq_f64_e32 vcc_lo, 0, v[2:3]
	v_cmp_neq_f64_e64 s2, 1.0, v[8:9]
	s_delay_alu instid0(VALU_DEP_1) | instskip(NEXT) | instid1(SALU_CYCLE_1)
	s_or_b32 s2, vcc_lo, s2
	s_and_saveexec_b32 s3, s2
	s_cbranch_execz .LBB27_10
; %bb.5:
	s_clause 0x1
	s_load_b64 s[4:5], s[0:1], 0x18
	s_load_b64 s[2:3], s[0:1], 0x0
	v_lshrrev_b32_e32 v1, 4, v0
	s_delay_alu instid0(VALU_DEP_1)
	v_lshl_or_b32 v10, s15, 3, v1
	s_waitcnt lgkmcnt(0)
	s_cmp_lg_u64 s[4:5], 0
	s_cbranch_scc0 .LBB27_11
; %bb.6:
	s_load_b32 s6, s[0:1], 0x10
	s_mov_b32 s7, 0
                                        ; implicit-def: $vgpr1
	s_waitcnt lgkmcnt(0)
	v_cmp_gt_i32_e32 vcc_lo, s6, v10
	s_mov_b32 s6, 0
	s_and_saveexec_b32 s8, vcc_lo
	s_delay_alu instid0(SALU_CYCLE_1)
	s_xor_b32 s8, exec_lo, s8
	s_cbranch_execz .LBB27_8
; %bb.7:
	v_ashrrev_i32_e32 v11, 31, v10
	s_mov_b32 s6, exec_lo
	s_delay_alu instid0(VALU_DEP_1) | instskip(NEXT) | instid1(VALU_DEP_1)
	v_lshlrev_b64 v[4:5], 2, v[10:11]
	v_add_co_u32 v4, vcc_lo, s4, v4
	s_delay_alu instid0(VALU_DEP_2)
	v_add_co_ci_u32_e32 v5, vcc_lo, s5, v5, vcc_lo
	global_load_b32 v1, v[4:5], off
	s_waitcnt vmcnt(0)
	v_subrev_nc_u32_e32 v1, s12, v1
.LBB27_8:
	s_or_b32 exec_lo, exec_lo, s8
	s_delay_alu instid0(SALU_CYCLE_1)
	s_and_b32 vcc_lo, exec_lo, s7
	s_cbranch_vccz .LBB27_12
.LBB27_9:
	v_cmp_gt_i32_e32 vcc_lo, s2, v10
	s_and_not1_b32 s2, s6, exec_lo
	s_and_b32 s4, vcc_lo, exec_lo
	s_delay_alu instid0(SALU_CYCLE_1) | instskip(NEXT) | instid1(SALU_CYCLE_1)
	s_or_b32 s6, s2, s4
	s_and_b32 exec_lo, exec_lo, s6
	s_cbranch_execnz .LBB27_13
.LBB27_10:
	s_nop 0
	s_sendmsg sendmsg(MSG_DEALLOC_VGPRS)
	s_endpgm
.LBB27_11:
	s_mov_b32 s6, 0
                                        ; implicit-def: $vgpr1
	s_cbranch_execnz .LBB27_9
.LBB27_12:
	s_delay_alu instid0(VALU_DEP_1)
	v_mov_b32_e32 v10, v1
	s_and_b32 exec_lo, exec_lo, s6
	s_cbranch_execz .LBB27_10
.LBB27_13:
	s_load_b256 s[4:11], s[0:1], 0x20
	s_delay_alu instid0(VALU_DEP_1) | instskip(SKIP_1) | instid1(VALU_DEP_2)
	v_ashrrev_i32_e32 v11, 31, v10
	v_and_b32_e32 v31, 15, v0
	v_lshlrev_b64 v[4:5], 3, v[10:11]
	s_waitcnt lgkmcnt(0)
	s_delay_alu instid0(VALU_DEP_1) | instskip(NEXT) | instid1(VALU_DEP_2)
	v_add_co_u32 v6, vcc_lo, s4, v4
	v_add_co_ci_u32_e32 v7, vcc_lo, s5, v5, vcc_lo
	v_add_co_u32 v1, vcc_lo, s6, v4
	v_add_co_ci_u32_e32 v4, vcc_lo, s7, v5, vcc_lo
	s_delay_alu instid0(VALU_DEP_4)
	v_add_co_u32 v11, vcc_lo, v6, 8
	global_load_b64 v[19:20], v[6:7], off
	v_add_co_ci_u32_e32 v5, vcc_lo, 0, v7, vcc_lo
	s_cmp_eq_u64 s[6:7], 0
	s_load_b64 s[4:5], s[0:1], 0x40
	s_cselect_b32 vcc_lo, -1, 0
	s_cmp_eq_u32 s3, 1
	v_dual_cndmask_b32 v5, v4, v5 :: v_dual_cndmask_b32 v4, v1, v11
	global_load_b64 v[4:5], v[4:5], off
	s_waitcnt vmcnt(1)
	v_sub_co_u32 v0, vcc_lo, v19, s12
	v_subrev_co_ci_u32_e32 v1, vcc_lo, 0, v20, vcc_lo
	s_delay_alu instid0(VALU_DEP_2) | instskip(NEXT) | instid1(VALU_DEP_2)
	v_add_co_u32 v0, vcc_lo, v0, v31
	v_add_co_ci_u32_e32 v1, vcc_lo, 0, v1, vcc_lo
	s_delay_alu instid0(VALU_DEP_1) | instskip(SKIP_3) | instid1(VALU_DEP_3)
	v_lshlrev_b64 v[6:7], 7, v[0:1]
	s_waitcnt vmcnt(0)
	v_sub_co_u32 v4, vcc_lo, v4, s12
	v_subrev_co_ci_u32_e32 v5, vcc_lo, 0, v5, vcc_lo
	v_add_co_u32 v6, vcc_lo, s10, v6
	s_delay_alu instid0(VALU_DEP_2)
	v_cmp_lt_i64_e64 s2, v[0:1], v[4:5]
	v_add_co_ci_u32_e32 v7, vcc_lo, s11, v7, vcc_lo
	s_cbranch_scc1 .LBB27_25
; %bb.14:
	v_mov_b32_e32 v11, 0
	v_mov_b32_e32 v12, 0
	s_delay_alu instid0(VALU_DEP_1)
	v_dual_mov_b32 v14, v12 :: v_dual_mov_b32 v13, v11
	v_dual_mov_b32 v18, v12 :: v_dual_mov_b32 v17, v11
	v_dual_mov_b32 v16, v12 :: v_dual_mov_b32 v15, v11
	s_and_saveexec_b32 s6, s2
	s_cbranch_execz .LBB27_24
; %bb.15:
	v_or_b32_e32 v11, 16, v31
	v_not_b32_e32 v14, v19
	v_not_b32_e32 v13, v20
	s_mov_b32 s10, 0
	s_mov_b32 s7, exec_lo
	v_sub_co_u32 v11, s3, v11, s12
	s_delay_alu instid0(VALU_DEP_1) | instskip(SKIP_1) | instid1(VALU_DEP_3)
	v_sub_co_ci_u32_e64 v12, null, 0, 0, s3
	v_sub_co_u32 v15, s3, s12, v31
	v_add_co_u32 v11, vcc_lo, v11, v19
	s_delay_alu instid0(VALU_DEP_3) | instskip(SKIP_2) | instid1(VALU_DEP_3)
	v_add_co_ci_u32_e32 v12, vcc_lo, v12, v20, vcc_lo
	v_sub_co_ci_u32_e64 v16, null, 0, 0, s3
	v_mov_b32_e32 v22, v1
	v_cmp_gt_i64_e32 vcc_lo, v[11:12], v[4:5]
	v_dual_mov_b32 v21, v0 :: v_dual_mov_b32 v24, v7
	v_dual_mov_b32 v23, v6 :: v_dual_cndmask_b32 v12, v5, v12
	v_cndmask_b32_e32 v11, v4, v11, vcc_lo
	v_add_co_u32 v14, vcc_lo, v15, v14
	v_add_co_ci_u32_e32 v13, vcc_lo, v16, v13, vcc_lo
	v_mov_b32_e32 v15, 0
	s_delay_alu instid0(VALU_DEP_3) | instskip(NEXT) | instid1(VALU_DEP_3)
	v_add_co_u32 v25, vcc_lo, v14, v11
	v_add_co_ci_u32_e32 v26, vcc_lo, v13, v12, vcc_lo
	v_mov_b32_e32 v16, 0
	s_delay_alu instid0(VALU_DEP_3) | instskip(NEXT) | instid1(VALU_DEP_2)
	v_lshrrev_b32_e32 v11, 4, v25
	v_dual_mov_b32 v13, v15 :: v_dual_mov_b32 v18, v16
	s_delay_alu instid0(VALU_DEP_2) | instskip(SKIP_1) | instid1(VALU_DEP_2)
	v_add_nc_u32_e32 v11, 1, v11
	v_dual_mov_b32 v17, v15 :: v_dual_mov_b32 v14, v16
	v_and_b32_e32 v27, 3, v11
	v_dual_mov_b32 v11, v15 :: v_dual_mov_b32 v12, v16
	s_delay_alu instid0(VALU_DEP_2)
	v_cmpx_ne_u32_e32 0, v27
	s_cbranch_execz .LBB27_19
; %bb.16:
	v_lshlrev_b64 v[13:14], 2, v[0:1]
	v_dual_mov_b32 v28, 0 :: v_dual_mov_b32 v11, 0
	v_dual_mov_b32 v12, 0 :: v_dual_lshlrev_b32 v27, 5, v27
	v_dual_mov_b32 v24, v7 :: v_dual_mov_b32 v23, v6
	s_delay_alu instid0(VALU_DEP_4)
	v_add_co_u32 v29, vcc_lo, s8, v13
	v_add_co_ci_u32_e32 v30, vcc_lo, s9, v14, vcc_lo
	v_dual_mov_b32 v22, v1 :: v_dual_mov_b32 v21, v0
	v_dual_mov_b32 v14, v12 :: v_dual_mov_b32 v13, v11
	;; [unrolled: 1-line block ×4, first 2 shown]
.LBB27_17:                              ; =>This Inner Loop Header: Depth=1
	global_load_b32 v60, v[29:30], off
	s_clause 0x6
	global_load_b128 v[32:35], v[23:24], off offset:48
	global_load_b128 v[36:39], v[23:24], off offset:32
	;; [unrolled: 1-line block ×3, first 2 shown]
	global_load_b128 v[44:47], v[23:24], off
	global_load_b128 v[48:51], v[23:24], off offset:112
	global_load_b128 v[52:55], v[23:24], off offset:96
	;; [unrolled: 1-line block ×3, first 2 shown]
	v_add_co_u32 v29, s3, v29, 64
	s_delay_alu instid0(VALU_DEP_1) | instskip(SKIP_2) | instid1(VALU_DEP_1)
	v_add_co_ci_u32_e64 v30, s3, 0, v30, s3
	s_waitcnt vmcnt(7)
	v_subrev_nc_u32_e32 v60, s12, v60
	v_lshlrev_b32_e32 v60, 2, v60
	s_delay_alu instid0(VALU_DEP_1) | instskip(NEXT) | instid1(VALU_DEP_1)
	v_ashrrev_i32_e32 v61, 31, v60
	v_lshlrev_b64 v[60:61], 3, v[60:61]
	s_waitcnt lgkmcnt(0)
	s_delay_alu instid0(VALU_DEP_1) | instskip(NEXT) | instid1(VALU_DEP_2)
	v_add_co_u32 v68, vcc_lo, s4, v60
	v_add_co_ci_u32_e32 v69, vcc_lo, s5, v61, vcc_lo
	global_load_b128 v[60:63], v[23:24], off offset:64
	s_clause 0x1
	global_load_b128 v[64:67], v[68:69], off
	global_load_b128 v[68:71], v[68:69], off offset:16
	v_add_co_u32 v23, vcc_lo, 0x800, v23
	v_add_co_ci_u32_e32 v24, vcc_lo, 0, v24, vcc_lo
	v_add_co_u32 v27, vcc_lo, 0xffffffe0, v27
	v_add_co_ci_u32_e32 v28, vcc_lo, -1, v28, vcc_lo
	v_add_co_u32 v21, vcc_lo, v21, 16
	v_add_co_ci_u32_e32 v22, vcc_lo, 0, v22, vcc_lo
	s_delay_alu instid0(VALU_DEP_3)
	v_cmp_eq_u64_e32 vcc_lo, 0, v[27:28]
	s_or_b32 s10, vcc_lo, s10
	s_waitcnt vmcnt(1)
	v_fma_f64 v[15:16], v[44:45], v[64:65], v[15:16]
	v_fma_f64 v[17:18], v[36:37], v[64:65], v[17:18]
	;; [unrolled: 1-line block ×4, first 2 shown]
	s_delay_alu instid0(VALU_DEP_4) | instskip(NEXT) | instid1(VALU_DEP_4)
	v_fma_f64 v[15:16], v[46:47], v[66:67], v[15:16]
	v_fma_f64 v[17:18], v[38:39], v[66:67], v[17:18]
	s_delay_alu instid0(VALU_DEP_4) | instskip(NEXT) | instid1(VALU_DEP_4)
	v_fma_f64 v[13:14], v[62:63], v[66:67], v[13:14]
	v_fma_f64 v[11:12], v[54:55], v[66:67], v[11:12]
	s_waitcnt vmcnt(0)
	s_delay_alu instid0(VALU_DEP_4) | instskip(NEXT) | instid1(VALU_DEP_4)
	v_fma_f64 v[15:16], v[40:41], v[68:69], v[15:16]
	v_fma_f64 v[17:18], v[32:33], v[68:69], v[17:18]
	s_delay_alu instid0(VALU_DEP_4) | instskip(NEXT) | instid1(VALU_DEP_4)
	v_fma_f64 v[13:14], v[56:57], v[68:69], v[13:14]
	v_fma_f64 v[11:12], v[48:49], v[68:69], v[11:12]
	;; [unrolled: 3-line block ×4, first 2 shown]
	s_and_not1_b32 exec_lo, exec_lo, s10
	s_cbranch_execnz .LBB27_17
; %bb.18:
	s_or_b32 exec_lo, exec_lo, s10
.LBB27_19:
	s_delay_alu instid0(SALU_CYCLE_1) | instskip(NEXT) | instid1(SALU_CYCLE_1)
	s_or_b32 exec_lo, exec_lo, s7
	s_mov_b32 s7, exec_lo
	v_cmpx_lt_u64_e32 47, v[25:26]
	s_cbranch_execz .LBB27_23
; %bb.20:
	v_lshlrev_b64 v[25:26], 2, v[21:22]
	s_mov_b32 s10, 0
	s_delay_alu instid0(VALU_DEP_1) | instskip(NEXT) | instid1(VALU_DEP_2)
	v_add_co_u32 v25, vcc_lo, v25, s8
	v_add_co_ci_u32_e32 v26, vcc_lo, s9, v26, vcc_lo
	s_delay_alu instid0(VALU_DEP_2) | instskip(NEXT) | instid1(VALU_DEP_2)
	v_add_co_u32 v25, vcc_lo, 0x80, v25
	v_add_co_ci_u32_e32 v26, vcc_lo, 0, v26, vcc_lo
.LBB27_21:                              ; =>This Inner Loop Header: Depth=1
	s_clause 0x2
	global_load_b32 v56, v[25:26], off offset:-128
	global_load_b32 v96, v[25:26], off offset:-64
	global_load_b32 v132, v[25:26], off
	s_clause 0x6
	global_load_b128 v[27:30], v[23:24], off offset:48
	global_load_b128 v[32:35], v[23:24], off offset:32
	;; [unrolled: 1-line block ×3, first 2 shown]
	global_load_b128 v[40:43], v[23:24], off
	global_load_b128 v[44:47], v[23:24], off offset:112
	global_load_b128 v[48:51], v[23:24], off offset:96
	;; [unrolled: 1-line block ×3, first 2 shown]
	global_load_b32 v144, v[25:26], off offset:64
	s_waitcnt vmcnt(10)
	v_subrev_nc_u32_e32 v56, s12, v56
	s_waitcnt vmcnt(9)
	v_subrev_nc_u32_e32 v96, s12, v96
	;; [unrolled: 2-line block ×3, first 2 shown]
	v_lshlrev_b32_e32 v56, 2, v56
	s_delay_alu instid0(VALU_DEP_3) | instskip(NEXT) | instid1(VALU_DEP_3)
	v_lshlrev_b32_e32 v96, 2, v96
	v_lshlrev_b32_e32 v132, 2, v132
	s_delay_alu instid0(VALU_DEP_3) | instskip(NEXT) | instid1(VALU_DEP_3)
	v_ashrrev_i32_e32 v57, 31, v56
	v_ashrrev_i32_e32 v97, 31, v96
	s_delay_alu instid0(VALU_DEP_3) | instskip(NEXT) | instid1(VALU_DEP_3)
	v_ashrrev_i32_e32 v133, 31, v132
	v_lshlrev_b64 v[56:57], 3, v[56:57]
	s_delay_alu instid0(VALU_DEP_3) | instskip(NEXT) | instid1(VALU_DEP_3)
	v_lshlrev_b64 v[96:97], 3, v[96:97]
	v_lshlrev_b64 v[132:133], 3, v[132:133]
	s_waitcnt lgkmcnt(0)
	s_delay_alu instid0(VALU_DEP_3) | instskip(NEXT) | instid1(VALU_DEP_4)
	v_add_co_u32 v64, vcc_lo, s4, v56
	v_add_co_ci_u32_e32 v65, vcc_lo, s5, v57, vcc_lo
	s_delay_alu instid0(VALU_DEP_4)
	v_add_co_u32 v104, vcc_lo, s4, v96
	global_load_b128 v[56:59], v[23:24], off offset:64
	s_clause 0x1
	global_load_b128 v[60:63], v[64:65], off
	global_load_b128 v[64:67], v[64:65], off offset:16
	s_clause 0x6
	global_load_b128 v[68:71], v[23:24], off offset:2096
	global_load_b128 v[72:75], v[23:24], off offset:2080
	;; [unrolled: 1-line block ×7, first 2 shown]
	v_add_co_ci_u32_e32 v105, vcc_lo, s5, v97, vcc_lo
	global_load_b128 v[96:99], v[23:24], off offset:2112
	s_clause 0x1
	global_load_b128 v[100:103], v[104:105], off
	global_load_b128 v[104:107], v[104:105], off offset:16
	v_add_co_u32 v140, vcc_lo, 0x1000, v23
	v_add_co_ci_u32_e32 v141, vcc_lo, 0, v24, vcc_lo
	v_add_co_u32 v142, vcc_lo, s4, v132
	v_add_co_ci_u32_e32 v143, vcc_lo, s5, v133, vcc_lo
	s_clause 0x6
	global_load_b128 v[108:111], v[140:141], off offset:48
	global_load_b128 v[112:115], v[140:141], off offset:32
	;; [unrolled: 1-line block ×6, first 2 shown]
	global_load_b128 v[132:135], v[140:141], off
	global_load_b128 v[136:139], v[142:143], off
	v_add_co_u32 v23, s3, 0x2000, v23
	s_delay_alu instid0(VALU_DEP_1)
	v_add_co_ci_u32_e64 v24, s3, 0, v24, s3
	s_waitcnt vmcnt(19)
	v_fma_f64 v[15:16], v[40:41], v[60:61], v[15:16]
	v_fma_f64 v[17:18], v[32:33], v[60:61], v[17:18]
	;; [unrolled: 1-line block ×4, first 2 shown]
	s_delay_alu instid0(VALU_DEP_4) | instskip(NEXT) | instid1(VALU_DEP_4)
	v_fma_f64 v[32:33], v[42:43], v[62:63], v[15:16]
	v_fma_f64 v[34:35], v[34:35], v[62:63], v[17:18]
	s_delay_alu instid0(VALU_DEP_4) | instskip(NEXT) | instid1(VALU_DEP_4)
	v_fma_f64 v[40:41], v[58:59], v[62:63], v[13:14]
	v_fma_f64 v[42:43], v[50:51], v[62:63], v[11:12]
	global_load_b128 v[11:14], v[140:141], off offset:16
	global_load_b128 v[15:18], v[142:143], off offset:16
	s_waitcnt vmcnt(20)
	v_fma_f64 v[36:37], v[36:37], v[64:65], v[32:33]
	v_fma_f64 v[27:28], v[27:28], v[64:65], v[34:35]
	v_fma_f64 v[52:53], v[52:53], v[64:65], v[40:41]
	v_fma_f64 v[44:45], v[44:45], v[64:65], v[42:43]
	v_subrev_nc_u32_e32 v64, s12, v144
	s_clause 0x4
	global_load_b128 v[32:35], v[140:141], off offset:2096
	global_load_b128 v[40:43], v[140:141], off offset:2080
	;; [unrolled: 1-line block ×5, first 2 shown]
	v_lshlrev_b32_e32 v64, 2, v64
	s_delay_alu instid0(VALU_DEP_1)
	v_ashrrev_i32_e32 v65, 31, v64
	v_fma_f64 v[142:143], v[38:39], v[66:67], v[36:37]
	v_fma_f64 v[144:145], v[29:30], v[66:67], v[27:28]
	;; [unrolled: 1-line block ×4, first 2 shown]
	v_lshlrev_b64 v[27:28], 3, v[64:65]
	s_delay_alu instid0(VALU_DEP_1) | instskip(NEXT) | instid1(VALU_DEP_2)
	v_add_co_u32 v64, vcc_lo, s4, v27
	v_add_co_ci_u32_e32 v65, vcc_lo, s5, v28, vcc_lo
	global_load_b128 v[27:30], v[140:141], off offset:2144
	global_load_b128 v[36:39], v[64:65], off
	v_add_co_u32 v21, vcc_lo, v21, 64
	v_add_co_ci_u32_e32 v22, vcc_lo, 0, v22, vcc_lo
	v_add_co_u32 v25, vcc_lo, 0x100, v25
	v_add_co_ci_u32_e32 v26, vcc_lo, 0, v26, vcc_lo
	s_delay_alu instid0(VALU_DEP_3)
	v_cmp_ge_i64_e32 vcc_lo, v[21:22], v[4:5]
	s_or_b32 s10, vcc_lo, s10
	s_waitcnt vmcnt(18)
	v_fma_f64 v[46:47], v[80:81], v[100:101], v[142:143]
	v_fma_f64 v[54:55], v[72:73], v[100:101], v[144:145]
	;; [unrolled: 1-line block ×4, first 2 shown]
	s_delay_alu instid0(VALU_DEP_4) | instskip(NEXT) | instid1(VALU_DEP_4)
	v_fma_f64 v[72:73], v[82:83], v[102:103], v[46:47]
	v_fma_f64 v[74:75], v[74:75], v[102:103], v[54:55]
	s_delay_alu instid0(VALU_DEP_4) | instskip(NEXT) | instid1(VALU_DEP_4)
	v_fma_f64 v[80:81], v[98:99], v[102:103], v[52:53]
	v_fma_f64 v[82:83], v[90:91], v[102:103], v[44:45]
	s_clause 0x1
	global_load_b128 v[44:47], v[140:141], off offset:2160
	global_load_b128 v[52:55], v[140:141], off offset:2128
	;; [unrolled: 1-line block ×3, first 2 shown]
	s_waitcnt vmcnt(20)
	v_fma_f64 v[72:73], v[76:77], v[104:105], v[72:73]
	v_fma_f64 v[68:69], v[68:69], v[104:105], v[74:75]
	;; [unrolled: 1-line block ×4, first 2 shown]
	s_delay_alu instid0(VALU_DEP_4) | instskip(NEXT) | instid1(VALU_DEP_4)
	v_fma_f64 v[72:73], v[78:79], v[106:107], v[72:73]
	v_fma_f64 v[68:69], v[70:71], v[106:107], v[68:69]
	s_delay_alu instid0(VALU_DEP_4) | instskip(NEXT) | instid1(VALU_DEP_4)
	v_fma_f64 v[70:71], v[94:95], v[106:107], v[74:75]
	v_fma_f64 v[74:75], v[86:87], v[106:107], v[76:77]
	s_waitcnt vmcnt(12)
	s_delay_alu instid0(VALU_DEP_4) | instskip(NEXT) | instid1(VALU_DEP_4)
	v_fma_f64 v[72:73], v[132:133], v[136:137], v[72:73]
	v_fma_f64 v[68:69], v[112:113], v[136:137], v[68:69]
	s_delay_alu instid0(VALU_DEP_4) | instskip(NEXT) | instid1(VALU_DEP_4)
	v_fma_f64 v[70:71], v[128:129], v[136:137], v[70:71]
	v_fma_f64 v[74:75], v[120:121], v[136:137], v[74:75]
	s_delay_alu instid0(VALU_DEP_4) | instskip(NEXT) | instid1(VALU_DEP_4)
	v_fma_f64 v[72:73], v[134:135], v[138:139], v[72:73]
	v_fma_f64 v[68:69], v[114:115], v[138:139], v[68:69]
	s_delay_alu instid0(VALU_DEP_4) | instskip(NEXT) | instid1(VALU_DEP_4)
	v_fma_f64 v[70:71], v[130:131], v[138:139], v[70:71]
	v_fma_f64 v[74:75], v[122:123], v[138:139], v[74:75]
	s_waitcnt vmcnt(10)
	s_delay_alu instid0(VALU_DEP_4) | instskip(NEXT) | instid1(VALU_DEP_4)
	v_fma_f64 v[11:12], v[11:12], v[15:16], v[72:73]
	v_fma_f64 v[68:69], v[108:109], v[15:16], v[68:69]
	s_delay_alu instid0(VALU_DEP_4) | instskip(NEXT) | instid1(VALU_DEP_4)
	v_fma_f64 v[70:71], v[124:125], v[15:16], v[70:71]
	v_fma_f64 v[15:16], v[116:117], v[15:16], v[74:75]
	;; [unrolled: 13-line block ×4, first 2 shown]
	s_delay_alu instid0(VALU_DEP_4) | instskip(NEXT) | instid1(VALU_DEP_4)
	v_fma_f64 v[15:16], v[50:51], v[66:67], v[11:12]
	v_fma_f64 v[17:18], v[34:35], v[66:67], v[13:14]
	s_delay_alu instid0(VALU_DEP_4) | instskip(NEXT) | instid1(VALU_DEP_4)
	v_fma_f64 v[13:14], v[54:55], v[66:67], v[27:28]
	v_fma_f64 v[11:12], v[46:47], v[66:67], v[29:30]
	s_and_not1_b32 exec_lo, exec_lo, s10
	s_cbranch_execnz .LBB27_21
; %bb.22:
	s_or_b32 exec_lo, exec_lo, s10
.LBB27_23:
	s_delay_alu instid0(SALU_CYCLE_1)
	s_or_b32 exec_lo, exec_lo, s7
.LBB27_24:
	s_delay_alu instid0(SALU_CYCLE_1)
	s_or_b32 exec_lo, exec_lo, s6
	s_cbranch_execz .LBB27_26
	s_branch .LBB27_37
.LBB27_25:
                                        ; implicit-def: $vgpr11_vgpr12
                                        ; implicit-def: $vgpr13_vgpr14
                                        ; implicit-def: $vgpr17_vgpr18
                                        ; implicit-def: $vgpr15_vgpr16
.LBB27_26:
	v_mov_b32_e32 v11, 0
	v_mov_b32_e32 v12, 0
	s_delay_alu instid0(VALU_DEP_1)
	v_dual_mov_b32 v14, v12 :: v_dual_mov_b32 v13, v11
	v_dual_mov_b32 v18, v12 :: v_dual_mov_b32 v17, v11
	;; [unrolled: 1-line block ×3, first 2 shown]
	s_and_saveexec_b32 s3, s2
	s_cbranch_execz .LBB27_36
; %bb.27:
	v_or_b32_e32 v11, 16, v31
	v_not_b32_e32 v14, v19
	v_not_b32_e32 v13, v20
	s_mov_b32 s7, 0
	s_mov_b32 s6, exec_lo
	v_sub_co_u32 v11, s2, v11, s12
	s_delay_alu instid0(VALU_DEP_1) | instskip(SKIP_1) | instid1(VALU_DEP_3)
	v_sub_co_ci_u32_e64 v12, null, 0, 0, s2
	v_sub_co_u32 v15, s2, s12, v31
	v_add_co_u32 v11, vcc_lo, v11, v19
	s_delay_alu instid0(VALU_DEP_3) | instskip(SKIP_1) | instid1(VALU_DEP_2)
	v_add_co_ci_u32_e32 v12, vcc_lo, v12, v20, vcc_lo
	v_sub_co_ci_u32_e64 v16, null, 0, 0, s2
	v_cmp_gt_i64_e32 vcc_lo, v[11:12], v[4:5]
	v_dual_cndmask_b32 v12, v5, v12 :: v_dual_cndmask_b32 v11, v4, v11
	v_add_co_u32 v14, vcc_lo, v15, v14
	s_delay_alu instid0(VALU_DEP_4) | instskip(SKIP_1) | instid1(VALU_DEP_3)
	v_add_co_ci_u32_e32 v13, vcc_lo, v16, v13, vcc_lo
	v_mov_b32_e32 v15, 0
	v_add_co_u32 v19, vcc_lo, v14, v11
	s_delay_alu instid0(VALU_DEP_3) | instskip(SKIP_1) | instid1(VALU_DEP_3)
	v_add_co_ci_u32_e32 v20, vcc_lo, v13, v12, vcc_lo
	v_mov_b32_e32 v16, 0
	v_lshrrev_b32_e32 v11, 4, v19
	s_delay_alu instid0(VALU_DEP_2) | instskip(NEXT) | instid1(VALU_DEP_2)
	v_dual_mov_b32 v13, v15 :: v_dual_mov_b32 v18, v16
	v_add_nc_u32_e32 v11, 1, v11
	v_dual_mov_b32 v17, v15 :: v_dual_mov_b32 v14, v16
	s_delay_alu instid0(VALU_DEP_2) | instskip(SKIP_1) | instid1(VALU_DEP_2)
	v_and_b32_e32 v21, 3, v11
	v_dual_mov_b32 v11, v15 :: v_dual_mov_b32 v12, v16
	v_cmpx_ne_u32_e32 0, v21
	s_cbranch_execz .LBB27_31
; %bb.28:
	v_lshlrev_b64 v[13:14], 2, v[0:1]
	v_dual_mov_b32 v22, 0 :: v_dual_mov_b32 v11, 0
	v_dual_mov_b32 v12, 0 :: v_dual_lshlrev_b32 v21, 5, v21
	s_delay_alu instid0(VALU_DEP_3) | instskip(NEXT) | instid1(VALU_DEP_4)
	v_add_co_u32 v23, vcc_lo, s8, v13
	v_add_co_ci_u32_e32 v24, vcc_lo, s9, v14, vcc_lo
	s_delay_alu instid0(VALU_DEP_3)
	v_dual_mov_b32 v14, v12 :: v_dual_mov_b32 v13, v11
	v_dual_mov_b32 v18, v12 :: v_dual_mov_b32 v17, v11
	;; [unrolled: 1-line block ×3, first 2 shown]
.LBB27_29:                              ; =>This Inner Loop Header: Depth=1
	global_load_b32 v29, v[23:24], off
	global_load_b128 v[25:28], v[6:7], off offset:16
	v_add_co_u32 v23, s2, v23, 64
	s_delay_alu instid0(VALU_DEP_1) | instskip(SKIP_2) | instid1(VALU_DEP_1)
	v_add_co_ci_u32_e64 v24, s2, 0, v24, s2
	s_waitcnt vmcnt(1)
	v_subrev_nc_u32_e32 v29, s12, v29
	v_lshlrev_b32_e32 v29, 2, v29
	s_delay_alu instid0(VALU_DEP_1) | instskip(NEXT) | instid1(VALU_DEP_1)
	v_ashrrev_i32_e32 v30, 31, v29
	v_lshlrev_b64 v[29:30], 3, v[29:30]
	s_waitcnt lgkmcnt(0)
	s_delay_alu instid0(VALU_DEP_1) | instskip(NEXT) | instid1(VALU_DEP_2)
	v_add_co_u32 v29, vcc_lo, s4, v29
	v_add_co_ci_u32_e32 v30, vcc_lo, s5, v30, vcc_lo
	global_load_b128 v[32:35], v[6:7], off
	s_clause 0x1
	global_load_b128 v[36:39], v[29:30], off
	global_load_b128 v[40:43], v[29:30], off offset:16
	s_clause 0x5
	global_load_b128 v[44:47], v[6:7], off offset:32
	global_load_b128 v[48:51], v[6:7], off offset:48
	;; [unrolled: 1-line block ×6, first 2 shown]
	v_add_co_u32 v6, vcc_lo, 0x800, v6
	v_add_co_ci_u32_e32 v7, vcc_lo, 0, v7, vcc_lo
	v_add_co_u32 v21, vcc_lo, 0xffffffe0, v21
	v_add_co_ci_u32_e32 v22, vcc_lo, -1, v22, vcc_lo
	v_add_co_u32 v0, vcc_lo, v0, 16
	v_add_co_ci_u32_e32 v1, vcc_lo, 0, v1, vcc_lo
	s_delay_alu instid0(VALU_DEP_3)
	v_cmp_eq_u64_e32 vcc_lo, 0, v[21:22]
	s_or_b32 s7, vcc_lo, s7
	s_waitcnt vmcnt(7)
	v_fma_f64 v[15:16], v[32:33], v[36:37], v[15:16]
	v_fma_f64 v[17:18], v[34:35], v[36:37], v[17:18]
	;; [unrolled: 1-line block ×4, first 2 shown]
	s_waitcnt vmcnt(5)
	s_delay_alu instid0(VALU_DEP_4) | instskip(NEXT) | instid1(VALU_DEP_4)
	v_fma_f64 v[15:16], v[44:45], v[38:39], v[15:16]
	v_fma_f64 v[17:18], v[46:47], v[38:39], v[17:18]
	s_waitcnt vmcnt(4)
	s_delay_alu instid0(VALU_DEP_4) | instskip(NEXT) | instid1(VALU_DEP_4)
	v_fma_f64 v[13:14], v[48:49], v[38:39], v[13:14]
	v_fma_f64 v[11:12], v[50:51], v[38:39], v[11:12]
	;; [unrolled: 4-line block ×6, first 2 shown]
	s_and_not1_b32 exec_lo, exec_lo, s7
	s_cbranch_execnz .LBB27_29
; %bb.30:
	s_or_b32 exec_lo, exec_lo, s7
.LBB27_31:
	s_delay_alu instid0(SALU_CYCLE_1) | instskip(NEXT) | instid1(SALU_CYCLE_1)
	s_or_b32 exec_lo, exec_lo, s6
	s_mov_b32 s6, exec_lo
	v_cmpx_lt_u64_e32 47, v[19:20]
	s_cbranch_execz .LBB27_35
; %bb.32:
	v_lshlrev_b64 v[19:20], 2, v[0:1]
	s_mov_b32 s7, 0
	s_delay_alu instid0(VALU_DEP_1) | instskip(NEXT) | instid1(VALU_DEP_2)
	v_add_co_u32 v19, vcc_lo, v19, s8
	v_add_co_ci_u32_e32 v20, vcc_lo, s9, v20, vcc_lo
	s_delay_alu instid0(VALU_DEP_2) | instskip(NEXT) | instid1(VALU_DEP_2)
	v_add_co_u32 v19, vcc_lo, 0x80, v19
	v_add_co_ci_u32_e32 v20, vcc_lo, 0, v20, vcc_lo
.LBB27_33:                              ; =>This Inner Loop Header: Depth=1
	s_clause 0x2
	global_load_b32 v25, v[19:20], off offset:-128
	global_load_b32 v68, v[19:20], off offset:-64
	global_load_b32 v108, v[19:20], off
	global_load_b128 v[21:24], v[6:7], off offset:16
	global_load_b32 v120, v[19:20], off offset:64
	s_waitcnt vmcnt(4)
	v_subrev_nc_u32_e32 v25, s12, v25
	s_waitcnt vmcnt(2)
	v_subrev_nc_u32_e32 v108, s12, v108
	s_delay_alu instid0(VALU_DEP_2) | instskip(NEXT) | instid1(VALU_DEP_2)
	v_lshlrev_b32_e32 v25, 2, v25
	v_lshlrev_b32_e32 v108, 2, v108
	s_delay_alu instid0(VALU_DEP_2) | instskip(NEXT) | instid1(VALU_DEP_2)
	v_ashrrev_i32_e32 v26, 31, v25
	v_ashrrev_i32_e32 v109, 31, v108
	s_delay_alu instid0(VALU_DEP_2) | instskip(NEXT) | instid1(VALU_DEP_2)
	v_lshlrev_b64 v[25:26], 3, v[25:26]
	v_lshlrev_b64 v[108:109], 3, v[108:109]
	s_waitcnt lgkmcnt(0)
	s_delay_alu instid0(VALU_DEP_2) | instskip(NEXT) | instid1(VALU_DEP_3)
	v_add_co_u32 v29, vcc_lo, s4, v25
	v_add_co_ci_u32_e32 v30, vcc_lo, s5, v26, vcc_lo
	global_load_b128 v[25:28], v[6:7], off
	global_load_b128 v[32:35], v[29:30], off
	s_clause 0x3
	global_load_b128 v[36:39], v[6:7], off offset:32
	global_load_b128 v[40:43], v[6:7], off offset:48
	;; [unrolled: 1-line block ×5, first 2 shown]
	s_clause 0x2
	global_load_b128 v[56:59], v[6:7], off offset:96
	global_load_b128 v[60:63], v[6:7], off offset:112
	;; [unrolled: 1-line block ×3, first 2 shown]
	v_subrev_nc_u32_e32 v29, s12, v68
	s_delay_alu instid0(VALU_DEP_1) | instskip(NEXT) | instid1(VALU_DEP_1)
	v_lshlrev_b32_e32 v29, 2, v29
	v_ashrrev_i32_e32 v30, 31, v29
	s_delay_alu instid0(VALU_DEP_1) | instskip(NEXT) | instid1(VALU_DEP_1)
	v_lshlrev_b64 v[29:30], 3, v[29:30]
	v_add_co_u32 v29, vcc_lo, s4, v29
	s_delay_alu instid0(VALU_DEP_2)
	v_add_co_ci_u32_e32 v30, vcc_lo, s5, v30, vcc_lo
	global_load_b128 v[68:71], v[6:7], off offset:2048
	global_load_b128 v[72:75], v[29:30], off
	s_clause 0x3
	global_load_b128 v[76:79], v[6:7], off offset:2080
	global_load_b128 v[80:83], v[6:7], off offset:2096
	;; [unrolled: 1-line block ×5, first 2 shown]
	s_clause 0x1
	global_load_b128 v[96:99], v[6:7], off offset:2144
	global_load_b128 v[100:103], v[6:7], off offset:2160
	v_add_co_u32 v29, vcc_lo, 0x1000, v6
	v_add_co_ci_u32_e32 v30, vcc_lo, 0, v7, vcc_lo
	v_add_co_u32 v116, vcc_lo, s4, v108
	v_add_co_ci_u32_e32 v117, vcc_lo, s5, v109, vcc_lo
	s_clause 0x1
	global_load_b128 v[104:107], v[29:30], off
	global_load_b128 v[108:111], v[29:30], off offset:16
	global_load_b128 v[112:115], v[116:117], off
	v_add_co_u32 v6, s2, 0x2000, v6
	s_delay_alu instid0(VALU_DEP_1)
	v_add_co_ci_u32_e64 v7, s2, 0, v7, s2
	s_waitcnt vmcnt(20)
	v_fma_f64 v[25:26], v[25:26], v[32:33], v[15:16]
	v_fma_f64 v[27:28], v[27:28], v[32:33], v[17:18]
	;; [unrolled: 1-line block ×4, first 2 shown]
	s_clause 0x1
	global_load_b128 v[11:14], v[29:30], off offset:32
	global_load_b128 v[15:18], v[29:30], off offset:48
	s_waitcnt vmcnt(21)
	v_fma_f64 v[36:37], v[36:37], v[34:35], v[25:26]
	v_fma_f64 v[38:39], v[38:39], v[34:35], v[27:28]
	s_waitcnt vmcnt(20)
	v_fma_f64 v[40:41], v[40:41], v[34:35], v[21:22]
	v_fma_f64 v[42:43], v[42:43], v[34:35], v[23:24]
	s_clause 0x1
	global_load_b128 v[21:24], v[29:30], off offset:80
	global_load_b128 v[25:28], v[29:30], off offset:64
	;; [unrolled: 1-line block ×3, first 2 shown]
	s_waitcnt vmcnt(20)
	v_fma_f64 v[116:117], v[44:45], v[52:53], v[36:37]
	v_fma_f64 v[118:119], v[46:47], v[52:53], v[38:39]
	;; [unrolled: 1-line block ×4, first 2 shown]
	s_clause 0x2
	global_load_b128 v[36:39], v[29:30], off offset:96
	global_load_b128 v[40:43], v[29:30], off offset:112
	;; [unrolled: 1-line block ×3, first 2 shown]
	v_subrev_nc_u32_e32 v52, s12, v120
	s_delay_alu instid0(VALU_DEP_1) | instskip(NEXT) | instid1(VALU_DEP_1)
	v_lshlrev_b32_e32 v52, 2, v52
	v_ashrrev_i32_e32 v53, 31, v52
	s_waitcnt vmcnt(22)
	v_fma_f64 v[56:57], v[56:57], v[54:55], v[116:117]
	v_fma_f64 v[58:59], v[58:59], v[54:55], v[118:119]
	s_waitcnt vmcnt(21)
	v_fma_f64 v[60:61], v[60:61], v[54:55], v[48:49]
	v_fma_f64 v[62:63], v[62:63], v[54:55], v[50:51]
	v_lshlrev_b64 v[48:49], 3, v[52:53]
	s_delay_alu instid0(VALU_DEP_1) | instskip(NEXT) | instid1(VALU_DEP_2)
	v_add_co_u32 v116, vcc_lo, s4, v48
	v_add_co_ci_u32_e32 v117, vcc_lo, s5, v49, vcc_lo
	global_load_b128 v[48:51], v[29:30], off offset:2048
	global_load_b128 v[52:55], v[116:117], off
	v_add_co_u32 v0, vcc_lo, v0, 64
	v_add_co_ci_u32_e32 v1, vcc_lo, 0, v1, vcc_lo
	v_add_co_u32 v19, vcc_lo, 0x100, v19
	v_add_co_ci_u32_e32 v20, vcc_lo, 0, v20, vcc_lo
	s_delay_alu instid0(VALU_DEP_3)
	v_cmp_ge_i64_e32 vcc_lo, v[0:1], v[4:5]
	s_or_b32 s7, vcc_lo, s7
	s_waitcnt vmcnt(20)
	v_fma_f64 v[68:69], v[68:69], v[72:73], v[56:57]
	v_fma_f64 v[70:71], v[70:71], v[72:73], v[58:59]
	;; [unrolled: 1-line block ×4, first 2 shown]
	s_clause 0x1
	global_load_b128 v[56:59], v[29:30], off offset:2080
	global_load_b128 v[60:63], v[29:30], off offset:2096
	s_waitcnt vmcnt(21)
	v_fma_f64 v[76:77], v[76:77], v[74:75], v[68:69]
	v_fma_f64 v[78:79], v[78:79], v[74:75], v[70:71]
	s_waitcnt vmcnt(20)
	v_fma_f64 v[80:81], v[80:81], v[74:75], v[64:65]
	v_fma_f64 v[82:83], v[82:83], v[74:75], v[66:67]
	s_clause 0x1
	global_load_b128 v[64:67], v[29:30], off offset:2112
	global_load_b128 v[68:71], v[29:30], off offset:2128
	;; [unrolled: 1-line block ×3, first 2 shown]
	s_waitcnt vmcnt(20)
	v_fma_f64 v[84:85], v[84:85], v[92:93], v[76:77]
	v_fma_f64 v[86:87], v[86:87], v[92:93], v[78:79]
	;; [unrolled: 1-line block ×4, first 2 shown]
	s_clause 0x1
	global_load_b128 v[76:79], v[29:30], off offset:2144
	global_load_b128 v[80:83], v[29:30], off offset:2160
	s_waitcnt vmcnt(21)
	v_fma_f64 v[29:30], v[96:97], v[94:95], v[84:85]
	v_fma_f64 v[84:85], v[98:99], v[94:95], v[86:87]
	s_waitcnt vmcnt(20)
	v_fma_f64 v[86:87], v[100:101], v[94:95], v[88:89]
	v_fma_f64 v[88:89], v[102:103], v[94:95], v[90:91]
	s_waitcnt vmcnt(17)
	s_delay_alu instid0(VALU_DEP_4) | instskip(NEXT) | instid1(VALU_DEP_4)
	v_fma_f64 v[29:30], v[104:105], v[112:113], v[29:30]
	v_fma_f64 v[84:85], v[106:107], v[112:113], v[84:85]
	s_delay_alu instid0(VALU_DEP_4) | instskip(NEXT) | instid1(VALU_DEP_4)
	v_fma_f64 v[86:87], v[108:109], v[112:113], v[86:87]
	v_fma_f64 v[88:89], v[110:111], v[112:113], v[88:89]
	s_waitcnt vmcnt(16)
	s_delay_alu instid0(VALU_DEP_4) | instskip(NEXT) | instid1(VALU_DEP_4)
	v_fma_f64 v[11:12], v[11:12], v[114:115], v[29:30]
	v_fma_f64 v[13:14], v[13:14], v[114:115], v[84:85]
	s_waitcnt vmcnt(15)
	s_delay_alu instid0(VALU_DEP_4) | instskip(NEXT) | instid1(VALU_DEP_4)
	v_fma_f64 v[15:16], v[15:16], v[114:115], v[86:87]
	v_fma_f64 v[17:18], v[17:18], v[114:115], v[88:89]
	s_waitcnt vmcnt(12)
	s_delay_alu instid0(VALU_DEP_4) | instskip(NEXT) | instid1(VALU_DEP_4)
	v_fma_f64 v[11:12], v[25:26], v[32:33], v[11:12]
	v_fma_f64 v[13:14], v[27:28], v[32:33], v[13:14]
	s_delay_alu instid0(VALU_DEP_4) | instskip(NEXT) | instid1(VALU_DEP_4)
	v_fma_f64 v[15:16], v[21:22], v[32:33], v[15:16]
	v_fma_f64 v[17:18], v[23:24], v[32:33], v[17:18]
	s_waitcnt vmcnt(11)
	s_delay_alu instid0(VALU_DEP_4) | instskip(NEXT) | instid1(VALU_DEP_4)
	v_fma_f64 v[11:12], v[36:37], v[34:35], v[11:12]
	v_fma_f64 v[13:14], v[38:39], v[34:35], v[13:14]
	s_waitcnt vmcnt(10)
	s_delay_alu instid0(VALU_DEP_4) | instskip(NEXT) | instid1(VALU_DEP_4)
	;; [unrolled: 15-line block ×4, first 2 shown]
	v_fma_f64 v[13:14], v[80:81], v[74:75], v[21:22]
	v_fma_f64 v[11:12], v[82:83], v[74:75], v[23:24]
	s_and_not1_b32 exec_lo, exec_lo, s7
	s_cbranch_execnz .LBB27_33
; %bb.34:
	s_or_b32 exec_lo, exec_lo, s7
.LBB27_35:
	s_delay_alu instid0(SALU_CYCLE_1)
	s_or_b32 exec_lo, exec_lo, s6
.LBB27_36:
	s_delay_alu instid0(SALU_CYCLE_1)
	s_or_b32 exec_lo, exec_lo, s3
.LBB27_37:
	v_mbcnt_lo_u32_b32 v23, -1, 0
	s_delay_alu instid0(VALU_DEP_1) | instskip(NEXT) | instid1(VALU_DEP_1)
	v_xor_b32_e32 v0, 8, v23
	v_cmp_gt_i32_e32 vcc_lo, 32, v0
	v_cndmask_b32_e32 v0, v23, v0, vcc_lo
	s_delay_alu instid0(VALU_DEP_1)
	v_lshlrev_b32_e32 v20, 2, v0
	ds_bpermute_b32 v6, v20, v13
	ds_bpermute_b32 v7, v20, v14
	s_waitcnt lgkmcnt(0)
	v_add_f64 v[6:7], v[13:14], v[6:7]
	v_xor_b32_e32 v13, 4, v23
	s_delay_alu instid0(VALU_DEP_1)
	v_cmp_gt_i32_e32 vcc_lo, 32, v13
	v_cndmask_b32_e32 v13, v23, v13, vcc_lo
	ds_bpermute_b32 v0, v20, v15
	ds_bpermute_b32 v1, v20, v16
	;; [unrolled: 1-line block ×6, first 2 shown]
	s_waitcnt lgkmcnt(4)
	v_add_f64 v[0:1], v[15:16], v[0:1]
	s_waitcnt lgkmcnt(2)
	v_add_f64 v[4:5], v[17:18], v[4:5]
	;; [unrolled: 2-line block ×3, first 2 shown]
	v_lshlrev_b32_e32 v20, 2, v13
	ds_bpermute_b32 v17, v20, v6
	ds_bpermute_b32 v18, v20, v7
	;; [unrolled: 1-line block ×8, first 2 shown]
	s_waitcnt lgkmcnt(4)
	v_add_f64 v[0:1], v[0:1], v[13:14]
	v_add_f64 v[13:14], v[6:7], v[17:18]
	s_waitcnt lgkmcnt(2)
	v_add_f64 v[4:5], v[4:5], v[15:16]
	v_xor_b32_e32 v6, 2, v23
	s_waitcnt lgkmcnt(0)
	v_add_f64 v[15:16], v[11:12], v[19:20]
	s_delay_alu instid0(VALU_DEP_2) | instskip(SKIP_1) | instid1(VALU_DEP_1)
	v_cmp_gt_i32_e32 vcc_lo, 32, v6
	v_cndmask_b32_e32 v6, v23, v6, vcc_lo
	v_lshlrev_b32_e32 v11, 2, v6
	ds_bpermute_b32 v6, v11, v0
	ds_bpermute_b32 v7, v11, v1
	ds_bpermute_b32 v17, v11, v4
	ds_bpermute_b32 v18, v11, v5
	ds_bpermute_b32 v19, v11, v13
	ds_bpermute_b32 v20, v11, v14
	ds_bpermute_b32 v21, v11, v15
	ds_bpermute_b32 v22, v11, v16
	s_waitcnt lgkmcnt(6)
	v_add_f64 v[11:12], v[0:1], v[6:7]
	s_waitcnt lgkmcnt(4)
	v_add_f64 v[6:7], v[4:5], v[17:18]
	s_waitcnt lgkmcnt(2)
	v_add_f64 v[0:1], v[13:14], v[19:20]
	v_xor_b32_e32 v13, 1, v23
	s_waitcnt lgkmcnt(0)
	v_add_f64 v[4:5], v[15:16], v[21:22]
	s_delay_alu instid0(VALU_DEP_2) | instskip(SKIP_2) | instid1(VALU_DEP_2)
	v_cmp_gt_i32_e32 vcc_lo, 32, v13
	v_cndmask_b32_e32 v13, v23, v13, vcc_lo
	v_cmp_eq_u32_e32 vcc_lo, 15, v31
	v_lshlrev_b32_e32 v14, 2, v13
	ds_bpermute_b32 v19, v14, v11
	ds_bpermute_b32 v20, v14, v12
	;; [unrolled: 1-line block ×8, first 2 shown]
	s_and_b32 exec_lo, exec_lo, vcc_lo
	s_cbranch_execz .LBB27_10
; %bb.38:
	s_waitcnt lgkmcnt(6)
	v_add_f64 v[11:12], v[11:12], v[19:20]
	s_waitcnt lgkmcnt(4)
	v_add_f64 v[6:7], v[6:7], v[17:18]
	;; [unrolled: 2-line block ×4, first 2 shown]
	s_load_b64 s[0:1], s[0:1], 0x50
	v_lshlrev_b32_e32 v10, 2, v10
	s_mov_b32 s2, exec_lo
	v_mul_f64 v[4:5], v[2:3], v[11:12]
	v_mul_f64 v[6:7], v[2:3], v[6:7]
	;; [unrolled: 1-line block ×4, first 2 shown]
	v_cmpx_eq_f64_e32 0, v[8:9]
	s_xor_b32 s2, exec_lo, s2
	s_cbranch_execz .LBB27_40
; %bb.39:
	v_ashrrev_i32_e32 v11, 31, v10
	s_delay_alu instid0(VALU_DEP_1) | instskip(SKIP_1) | instid1(VALU_DEP_1)
	v_lshlrev_b64 v[8:9], 3, v[10:11]
                                        ; implicit-def: $vgpr10
	s_waitcnt lgkmcnt(0)
	v_add_co_u32 v8, vcc_lo, s0, v8
	s_delay_alu instid0(VALU_DEP_2)
	v_add_co_ci_u32_e32 v9, vcc_lo, s1, v9, vcc_lo
	s_clause 0x1
	global_store_b128 v[8:9], v[4:7], off
	global_store_b128 v[8:9], v[0:3], off offset:16
                                        ; implicit-def: $vgpr8_vgpr9
                                        ; implicit-def: $vgpr4_vgpr5
                                        ; implicit-def: $vgpr0_vgpr1
.LBB27_40:
	s_and_not1_saveexec_b32 s2, s2
	s_cbranch_execz .LBB27_10
; %bb.41:
	v_ashrrev_i32_e32 v11, 31, v10
	s_delay_alu instid0(VALU_DEP_1) | instskip(SKIP_1) | instid1(VALU_DEP_1)
	v_lshlrev_b64 v[10:11], 3, v[10:11]
	s_waitcnt lgkmcnt(0)
	v_add_co_u32 v18, vcc_lo, s0, v10
	s_delay_alu instid0(VALU_DEP_2)
	v_add_co_ci_u32_e32 v19, vcc_lo, s1, v11, vcc_lo
	s_clause 0x1
	global_load_b128 v[10:13], v[18:19], off
	global_load_b128 v[14:17], v[18:19], off offset:16
	s_waitcnt vmcnt(1)
	v_fma_f64 v[4:5], v[8:9], v[10:11], v[4:5]
	v_fma_f64 v[6:7], v[8:9], v[12:13], v[6:7]
	s_waitcnt vmcnt(0)
	v_fma_f64 v[0:1], v[8:9], v[14:15], v[0:1]
	v_fma_f64 v[2:3], v[8:9], v[16:17], v[2:3]
	s_clause 0x1
	global_store_b128 v[18:19], v[4:7], off
	global_store_b128 v[18:19], v[0:3], off offset:16
	s_nop 0
	s_sendmsg sendmsg(MSG_DEALLOC_VGPRS)
	s_endpgm
	.section	.rodata,"a",@progbits
	.p2align	6, 0x0
	.amdhsa_kernel _ZN9rocsparseL18bsrxmvn_4x4_kernelILj128ELj16EdlidddEEvT3_20rocsparse_direction_NS_24const_host_device_scalarIT1_EES1_PKS1_PKT2_SA_S7_PKT4_PKT5_S5_PT6_21rocsparse_index_base_b
		.amdhsa_group_segment_fixed_size 0
		.amdhsa_private_segment_fixed_size 0
		.amdhsa_kernarg_size 96
		.amdhsa_user_sgpr_count 15
		.amdhsa_user_sgpr_dispatch_ptr 0
		.amdhsa_user_sgpr_queue_ptr 0
		.amdhsa_user_sgpr_kernarg_segment_ptr 1
		.amdhsa_user_sgpr_dispatch_id 0
		.amdhsa_user_sgpr_private_segment_size 0
		.amdhsa_wavefront_size32 1
		.amdhsa_uses_dynamic_stack 0
		.amdhsa_enable_private_segment 0
		.amdhsa_system_sgpr_workgroup_id_x 1
		.amdhsa_system_sgpr_workgroup_id_y 0
		.amdhsa_system_sgpr_workgroup_id_z 0
		.amdhsa_system_sgpr_workgroup_info 0
		.amdhsa_system_vgpr_workitem_id 0
		.amdhsa_next_free_vgpr 146
		.amdhsa_next_free_sgpr 16
		.amdhsa_reserve_vcc 1
		.amdhsa_float_round_mode_32 0
		.amdhsa_float_round_mode_16_64 0
		.amdhsa_float_denorm_mode_32 3
		.amdhsa_float_denorm_mode_16_64 3
		.amdhsa_dx10_clamp 1
		.amdhsa_ieee_mode 1
		.amdhsa_fp16_overflow 0
		.amdhsa_workgroup_processor_mode 1
		.amdhsa_memory_ordered 1
		.amdhsa_forward_progress 0
		.amdhsa_shared_vgpr_count 0
		.amdhsa_exception_fp_ieee_invalid_op 0
		.amdhsa_exception_fp_denorm_src 0
		.amdhsa_exception_fp_ieee_div_zero 0
		.amdhsa_exception_fp_ieee_overflow 0
		.amdhsa_exception_fp_ieee_underflow 0
		.amdhsa_exception_fp_ieee_inexact 0
		.amdhsa_exception_int_div_zero 0
	.end_amdhsa_kernel
	.section	.text._ZN9rocsparseL18bsrxmvn_4x4_kernelILj128ELj16EdlidddEEvT3_20rocsparse_direction_NS_24const_host_device_scalarIT1_EES1_PKS1_PKT2_SA_S7_PKT4_PKT5_S5_PT6_21rocsparse_index_base_b,"axG",@progbits,_ZN9rocsparseL18bsrxmvn_4x4_kernelILj128ELj16EdlidddEEvT3_20rocsparse_direction_NS_24const_host_device_scalarIT1_EES1_PKS1_PKT2_SA_S7_PKT4_PKT5_S5_PT6_21rocsparse_index_base_b,comdat
.Lfunc_end27:
	.size	_ZN9rocsparseL18bsrxmvn_4x4_kernelILj128ELj16EdlidddEEvT3_20rocsparse_direction_NS_24const_host_device_scalarIT1_EES1_PKS1_PKT2_SA_S7_PKT4_PKT5_S5_PT6_21rocsparse_index_base_b, .Lfunc_end27-_ZN9rocsparseL18bsrxmvn_4x4_kernelILj128ELj16EdlidddEEvT3_20rocsparse_direction_NS_24const_host_device_scalarIT1_EES1_PKS1_PKT2_SA_S7_PKT4_PKT5_S5_PT6_21rocsparse_index_base_b
                                        ; -- End function
	.section	.AMDGPU.csdata,"",@progbits
; Kernel info:
; codeLenInByte = 5580
; NumSgprs: 18
; NumVgprs: 146
; ScratchSize: 0
; MemoryBound: 1
; FloatMode: 240
; IeeeMode: 1
; LDSByteSize: 0 bytes/workgroup (compile time only)
; SGPRBlocks: 2
; VGPRBlocks: 18
; NumSGPRsForWavesPerEU: 18
; NumVGPRsForWavesPerEU: 146
; Occupancy: 9
; WaveLimiterHint : 1
; COMPUTE_PGM_RSRC2:SCRATCH_EN: 0
; COMPUTE_PGM_RSRC2:USER_SGPR: 15
; COMPUTE_PGM_RSRC2:TRAP_HANDLER: 0
; COMPUTE_PGM_RSRC2:TGID_X_EN: 1
; COMPUTE_PGM_RSRC2:TGID_Y_EN: 0
; COMPUTE_PGM_RSRC2:TGID_Z_EN: 0
; COMPUTE_PGM_RSRC2:TIDIG_COMP_CNT: 0
	.section	.text._ZN9rocsparseL18bsrxmvn_4x4_kernelILj128ELj32EdlidddEEvT3_20rocsparse_direction_NS_24const_host_device_scalarIT1_EES1_PKS1_PKT2_SA_S7_PKT4_PKT5_S5_PT6_21rocsparse_index_base_b,"axG",@progbits,_ZN9rocsparseL18bsrxmvn_4x4_kernelILj128ELj32EdlidddEEvT3_20rocsparse_direction_NS_24const_host_device_scalarIT1_EES1_PKS1_PKT2_SA_S7_PKT4_PKT5_S5_PT6_21rocsparse_index_base_b,comdat
	.globl	_ZN9rocsparseL18bsrxmvn_4x4_kernelILj128ELj32EdlidddEEvT3_20rocsparse_direction_NS_24const_host_device_scalarIT1_EES1_PKS1_PKT2_SA_S7_PKT4_PKT5_S5_PT6_21rocsparse_index_base_b ; -- Begin function _ZN9rocsparseL18bsrxmvn_4x4_kernelILj128ELj32EdlidddEEvT3_20rocsparse_direction_NS_24const_host_device_scalarIT1_EES1_PKS1_PKT2_SA_S7_PKT4_PKT5_S5_PT6_21rocsparse_index_base_b
	.p2align	8
	.type	_ZN9rocsparseL18bsrxmvn_4x4_kernelILj128ELj32EdlidddEEvT3_20rocsparse_direction_NS_24const_host_device_scalarIT1_EES1_PKS1_PKT2_SA_S7_PKT4_PKT5_S5_PT6_21rocsparse_index_base_b,@function
_ZN9rocsparseL18bsrxmvn_4x4_kernelILj128ELj32EdlidddEEvT3_20rocsparse_direction_NS_24const_host_device_scalarIT1_EES1_PKS1_PKT2_SA_S7_PKT4_PKT5_S5_PT6_21rocsparse_index_base_b: ; @_ZN9rocsparseL18bsrxmvn_4x4_kernelILj128ELj32EdlidddEEvT3_20rocsparse_direction_NS_24const_host_device_scalarIT1_EES1_PKS1_PKT2_SA_S7_PKT4_PKT5_S5_PT6_21rocsparse_index_base_b
; %bb.0:
	s_clause 0x2
	s_load_b64 s[12:13], s[0:1], 0x58
	s_load_b64 s[4:5], s[0:1], 0x8
	;; [unrolled: 1-line block ×3, first 2 shown]
	s_waitcnt lgkmcnt(0)
	s_bitcmp1_b32 s13, 0
	v_dual_mov_b32 v2, s4 :: v_dual_mov_b32 v3, s5
	s_cselect_b32 s6, -1, 0
	s_delay_alu instid0(SALU_CYCLE_1)
	s_and_b32 vcc_lo, exec_lo, s6
	s_xor_b32 s6, s6, -1
	s_cbranch_vccnz .LBB28_2
; %bb.1:
	v_dual_mov_b32 v1, s4 :: v_dual_mov_b32 v2, s5
	flat_load_b64 v[2:3], v[1:2]
.LBB28_2:
	v_dual_mov_b32 v9, s3 :: v_dual_mov_b32 v8, s2
	s_and_not1_b32 vcc_lo, exec_lo, s6
	s_cbranch_vccnz .LBB28_4
; %bb.3:
	v_dual_mov_b32 v5, s3 :: v_dual_mov_b32 v4, s2
	flat_load_b64 v[8:9], v[4:5]
.LBB28_4:
	s_waitcnt vmcnt(0) lgkmcnt(0)
	v_cmp_neq_f64_e32 vcc_lo, 0, v[2:3]
	v_cmp_neq_f64_e64 s2, 1.0, v[8:9]
	s_delay_alu instid0(VALU_DEP_1) | instskip(NEXT) | instid1(SALU_CYCLE_1)
	s_or_b32 s2, vcc_lo, s2
	s_and_saveexec_b32 s3, s2
	s_cbranch_execz .LBB28_10
; %bb.5:
	s_clause 0x1
	s_load_b64 s[4:5], s[0:1], 0x18
	s_load_b64 s[2:3], s[0:1], 0x0
	v_lshrrev_b32_e32 v1, 5, v0
	s_delay_alu instid0(VALU_DEP_1)
	v_lshl_or_b32 v10, s15, 2, v1
	s_waitcnt lgkmcnt(0)
	s_cmp_lg_u64 s[4:5], 0
	s_cbranch_scc0 .LBB28_11
; %bb.6:
	s_load_b32 s6, s[0:1], 0x10
	s_mov_b32 s7, 0
                                        ; implicit-def: $vgpr1
	s_waitcnt lgkmcnt(0)
	v_cmp_gt_i32_e32 vcc_lo, s6, v10
	s_mov_b32 s6, 0
	s_and_saveexec_b32 s8, vcc_lo
	s_delay_alu instid0(SALU_CYCLE_1)
	s_xor_b32 s8, exec_lo, s8
	s_cbranch_execz .LBB28_8
; %bb.7:
	v_ashrrev_i32_e32 v11, 31, v10
	s_mov_b32 s6, exec_lo
	s_delay_alu instid0(VALU_DEP_1) | instskip(NEXT) | instid1(VALU_DEP_1)
	v_lshlrev_b64 v[4:5], 2, v[10:11]
	v_add_co_u32 v4, vcc_lo, s4, v4
	s_delay_alu instid0(VALU_DEP_2)
	v_add_co_ci_u32_e32 v5, vcc_lo, s5, v5, vcc_lo
	global_load_b32 v1, v[4:5], off
	s_waitcnt vmcnt(0)
	v_subrev_nc_u32_e32 v1, s12, v1
.LBB28_8:
	s_or_b32 exec_lo, exec_lo, s8
	s_delay_alu instid0(SALU_CYCLE_1)
	s_and_b32 vcc_lo, exec_lo, s7
	s_cbranch_vccz .LBB28_12
.LBB28_9:
	v_cmp_gt_i32_e32 vcc_lo, s2, v10
	s_and_not1_b32 s2, s6, exec_lo
	s_and_b32 s4, vcc_lo, exec_lo
	s_delay_alu instid0(SALU_CYCLE_1) | instskip(NEXT) | instid1(SALU_CYCLE_1)
	s_or_b32 s6, s2, s4
	s_and_b32 exec_lo, exec_lo, s6
	s_cbranch_execnz .LBB28_13
.LBB28_10:
	s_nop 0
	s_sendmsg sendmsg(MSG_DEALLOC_VGPRS)
	s_endpgm
.LBB28_11:
	s_mov_b32 s6, 0
                                        ; implicit-def: $vgpr1
	s_cbranch_execnz .LBB28_9
.LBB28_12:
	s_delay_alu instid0(VALU_DEP_1)
	v_mov_b32_e32 v10, v1
	s_and_b32 exec_lo, exec_lo, s6
	s_cbranch_execz .LBB28_10
.LBB28_13:
	s_load_b256 s[4:11], s[0:1], 0x20
	s_delay_alu instid0(VALU_DEP_1) | instskip(SKIP_1) | instid1(VALU_DEP_2)
	v_ashrrev_i32_e32 v11, 31, v10
	v_and_b32_e32 v31, 31, v0
	v_lshlrev_b64 v[4:5], 3, v[10:11]
	s_waitcnt lgkmcnt(0)
	s_delay_alu instid0(VALU_DEP_1) | instskip(NEXT) | instid1(VALU_DEP_2)
	v_add_co_u32 v6, vcc_lo, s4, v4
	v_add_co_ci_u32_e32 v7, vcc_lo, s5, v5, vcc_lo
	v_add_co_u32 v1, vcc_lo, s6, v4
	v_add_co_ci_u32_e32 v4, vcc_lo, s7, v5, vcc_lo
	s_delay_alu instid0(VALU_DEP_4)
	v_add_co_u32 v11, vcc_lo, v6, 8
	global_load_b64 v[19:20], v[6:7], off
	v_add_co_ci_u32_e32 v5, vcc_lo, 0, v7, vcc_lo
	s_cmp_eq_u64 s[6:7], 0
	s_load_b64 s[4:5], s[0:1], 0x40
	s_cselect_b32 vcc_lo, -1, 0
	s_cmp_eq_u32 s3, 1
	v_dual_cndmask_b32 v5, v4, v5 :: v_dual_cndmask_b32 v4, v1, v11
	global_load_b64 v[4:5], v[4:5], off
	s_waitcnt vmcnt(1)
	v_sub_co_u32 v0, vcc_lo, v19, s12
	v_subrev_co_ci_u32_e32 v1, vcc_lo, 0, v20, vcc_lo
	s_delay_alu instid0(VALU_DEP_2) | instskip(NEXT) | instid1(VALU_DEP_2)
	v_add_co_u32 v0, vcc_lo, v0, v31
	v_add_co_ci_u32_e32 v1, vcc_lo, 0, v1, vcc_lo
	s_delay_alu instid0(VALU_DEP_1) | instskip(SKIP_3) | instid1(VALU_DEP_3)
	v_lshlrev_b64 v[6:7], 7, v[0:1]
	s_waitcnt vmcnt(0)
	v_sub_co_u32 v4, vcc_lo, v4, s12
	v_subrev_co_ci_u32_e32 v5, vcc_lo, 0, v5, vcc_lo
	v_add_co_u32 v6, vcc_lo, s10, v6
	s_delay_alu instid0(VALU_DEP_2)
	v_cmp_lt_i64_e64 s2, v[0:1], v[4:5]
	v_add_co_ci_u32_e32 v7, vcc_lo, s11, v7, vcc_lo
	s_cbranch_scc1 .LBB28_25
; %bb.14:
	v_mov_b32_e32 v11, 0
	v_mov_b32_e32 v12, 0
	s_delay_alu instid0(VALU_DEP_1)
	v_dual_mov_b32 v14, v12 :: v_dual_mov_b32 v13, v11
	v_dual_mov_b32 v18, v12 :: v_dual_mov_b32 v17, v11
	;; [unrolled: 1-line block ×3, first 2 shown]
	s_and_saveexec_b32 s6, s2
	s_cbranch_execz .LBB28_24
; %bb.15:
	v_or_b32_e32 v11, 32, v31
	v_not_b32_e32 v14, v19
	v_not_b32_e32 v13, v20
	s_mov_b32 s10, 0
	s_mov_b32 s7, exec_lo
	v_sub_co_u32 v11, s3, v11, s12
	s_delay_alu instid0(VALU_DEP_1) | instskip(SKIP_1) | instid1(VALU_DEP_3)
	v_sub_co_ci_u32_e64 v12, null, 0, 0, s3
	v_sub_co_u32 v15, s3, s12, v31
	v_add_co_u32 v11, vcc_lo, v11, v19
	s_delay_alu instid0(VALU_DEP_3) | instskip(SKIP_2) | instid1(VALU_DEP_3)
	v_add_co_ci_u32_e32 v12, vcc_lo, v12, v20, vcc_lo
	v_sub_co_ci_u32_e64 v16, null, 0, 0, s3
	v_mov_b32_e32 v22, v1
	v_cmp_gt_i64_e32 vcc_lo, v[11:12], v[4:5]
	v_dual_mov_b32 v21, v0 :: v_dual_mov_b32 v24, v7
	v_dual_mov_b32 v23, v6 :: v_dual_cndmask_b32 v12, v5, v12
	v_cndmask_b32_e32 v11, v4, v11, vcc_lo
	v_add_co_u32 v14, vcc_lo, v15, v14
	v_add_co_ci_u32_e32 v13, vcc_lo, v16, v13, vcc_lo
	v_mov_b32_e32 v15, 0
	s_delay_alu instid0(VALU_DEP_3) | instskip(NEXT) | instid1(VALU_DEP_3)
	v_add_co_u32 v25, vcc_lo, v14, v11
	v_add_co_ci_u32_e32 v26, vcc_lo, v13, v12, vcc_lo
	v_mov_b32_e32 v16, 0
	s_delay_alu instid0(VALU_DEP_3) | instskip(NEXT) | instid1(VALU_DEP_2)
	v_lshrrev_b32_e32 v11, 5, v25
	v_dual_mov_b32 v13, v15 :: v_dual_mov_b32 v18, v16
	s_delay_alu instid0(VALU_DEP_2) | instskip(SKIP_1) | instid1(VALU_DEP_2)
	v_add_nc_u32_e32 v11, 1, v11
	v_dual_mov_b32 v17, v15 :: v_dual_mov_b32 v14, v16
	v_and_b32_e32 v27, 3, v11
	v_dual_mov_b32 v11, v15 :: v_dual_mov_b32 v12, v16
	s_delay_alu instid0(VALU_DEP_2)
	v_cmpx_ne_u32_e32 0, v27
	s_cbranch_execz .LBB28_19
; %bb.16:
	v_lshlrev_b64 v[13:14], 2, v[0:1]
	v_dual_mov_b32 v28, 0 :: v_dual_mov_b32 v11, 0
	v_dual_mov_b32 v12, 0 :: v_dual_lshlrev_b32 v27, 5, v27
	v_dual_mov_b32 v24, v7 :: v_dual_mov_b32 v23, v6
	s_delay_alu instid0(VALU_DEP_4)
	v_add_co_u32 v29, vcc_lo, s8, v13
	v_add_co_ci_u32_e32 v30, vcc_lo, s9, v14, vcc_lo
	v_dual_mov_b32 v22, v1 :: v_dual_mov_b32 v21, v0
	v_dual_mov_b32 v14, v12 :: v_dual_mov_b32 v13, v11
	;; [unrolled: 1-line block ×4, first 2 shown]
.LBB28_17:                              ; =>This Inner Loop Header: Depth=1
	global_load_b32 v60, v[29:30], off
	s_clause 0x6
	global_load_b128 v[32:35], v[23:24], off offset:48
	global_load_b128 v[36:39], v[23:24], off offset:32
	;; [unrolled: 1-line block ×3, first 2 shown]
	global_load_b128 v[44:47], v[23:24], off
	global_load_b128 v[48:51], v[23:24], off offset:112
	global_load_b128 v[52:55], v[23:24], off offset:96
	;; [unrolled: 1-line block ×3, first 2 shown]
	v_add_co_u32 v29, s3, 0x80, v29
	s_delay_alu instid0(VALU_DEP_1) | instskip(SKIP_2) | instid1(VALU_DEP_1)
	v_add_co_ci_u32_e64 v30, s3, 0, v30, s3
	s_waitcnt vmcnt(7)
	v_subrev_nc_u32_e32 v60, s12, v60
	v_lshlrev_b32_e32 v60, 2, v60
	s_delay_alu instid0(VALU_DEP_1) | instskip(NEXT) | instid1(VALU_DEP_1)
	v_ashrrev_i32_e32 v61, 31, v60
	v_lshlrev_b64 v[60:61], 3, v[60:61]
	s_waitcnt lgkmcnt(0)
	s_delay_alu instid0(VALU_DEP_1) | instskip(NEXT) | instid1(VALU_DEP_2)
	v_add_co_u32 v68, vcc_lo, s4, v60
	v_add_co_ci_u32_e32 v69, vcc_lo, s5, v61, vcc_lo
	global_load_b128 v[60:63], v[23:24], off offset:64
	s_clause 0x1
	global_load_b128 v[64:67], v[68:69], off
	global_load_b128 v[68:71], v[68:69], off offset:16
	v_add_co_u32 v23, vcc_lo, 0x1000, v23
	v_add_co_ci_u32_e32 v24, vcc_lo, 0, v24, vcc_lo
	v_add_co_u32 v27, vcc_lo, 0xffffffe0, v27
	v_add_co_ci_u32_e32 v28, vcc_lo, -1, v28, vcc_lo
	v_add_co_u32 v21, vcc_lo, v21, 32
	v_add_co_ci_u32_e32 v22, vcc_lo, 0, v22, vcc_lo
	s_delay_alu instid0(VALU_DEP_3)
	v_cmp_eq_u64_e32 vcc_lo, 0, v[27:28]
	s_or_b32 s10, vcc_lo, s10
	s_waitcnt vmcnt(1)
	v_fma_f64 v[15:16], v[44:45], v[64:65], v[15:16]
	v_fma_f64 v[17:18], v[36:37], v[64:65], v[17:18]
	;; [unrolled: 1-line block ×4, first 2 shown]
	s_delay_alu instid0(VALU_DEP_4) | instskip(NEXT) | instid1(VALU_DEP_4)
	v_fma_f64 v[15:16], v[46:47], v[66:67], v[15:16]
	v_fma_f64 v[17:18], v[38:39], v[66:67], v[17:18]
	s_delay_alu instid0(VALU_DEP_4) | instskip(NEXT) | instid1(VALU_DEP_4)
	v_fma_f64 v[13:14], v[62:63], v[66:67], v[13:14]
	v_fma_f64 v[11:12], v[54:55], v[66:67], v[11:12]
	s_waitcnt vmcnt(0)
	s_delay_alu instid0(VALU_DEP_4) | instskip(NEXT) | instid1(VALU_DEP_4)
	v_fma_f64 v[15:16], v[40:41], v[68:69], v[15:16]
	v_fma_f64 v[17:18], v[32:33], v[68:69], v[17:18]
	s_delay_alu instid0(VALU_DEP_4) | instskip(NEXT) | instid1(VALU_DEP_4)
	v_fma_f64 v[13:14], v[56:57], v[68:69], v[13:14]
	v_fma_f64 v[11:12], v[48:49], v[68:69], v[11:12]
	;; [unrolled: 3-line block ×4, first 2 shown]
	s_and_not1_b32 exec_lo, exec_lo, s10
	s_cbranch_execnz .LBB28_17
; %bb.18:
	s_or_b32 exec_lo, exec_lo, s10
.LBB28_19:
	s_delay_alu instid0(SALU_CYCLE_1) | instskip(NEXT) | instid1(SALU_CYCLE_1)
	s_or_b32 exec_lo, exec_lo, s7
	s_mov_b32 s7, exec_lo
	v_cmpx_lt_u64_e32 0x5f, v[25:26]
	s_cbranch_execz .LBB28_23
; %bb.20:
	v_lshlrev_b64 v[25:26], 2, v[21:22]
	s_mov_b32 s10, 0
	s_delay_alu instid0(VALU_DEP_1) | instskip(NEXT) | instid1(VALU_DEP_2)
	v_add_co_u32 v25, vcc_lo, v25, s8
	v_add_co_ci_u32_e32 v26, vcc_lo, s9, v26, vcc_lo
	s_delay_alu instid0(VALU_DEP_2) | instskip(NEXT) | instid1(VALU_DEP_2)
	v_add_co_u32 v25, vcc_lo, 0x100, v25
	v_add_co_ci_u32_e32 v26, vcc_lo, 0, v26, vcc_lo
.LBB28_21:                              ; =>This Inner Loop Header: Depth=1
	s_clause 0x2
	global_load_b32 v56, v[25:26], off offset:-256
	global_load_b32 v84, v[25:26], off offset:-128
	global_load_b32 v124, v[25:26], off
	s_clause 0x6
	global_load_b128 v[27:30], v[23:24], off offset:48
	global_load_b128 v[32:35], v[23:24], off offset:32
	;; [unrolled: 1-line block ×3, first 2 shown]
	global_load_b128 v[40:43], v[23:24], off
	global_load_b128 v[44:47], v[23:24], off offset:112
	global_load_b128 v[48:51], v[23:24], off offset:96
	;; [unrolled: 1-line block ×3, first 2 shown]
	global_load_b32 v140, v[25:26], off offset:128
	s_waitcnt vmcnt(10)
	v_subrev_nc_u32_e32 v56, s12, v56
	s_waitcnt vmcnt(9)
	v_subrev_nc_u32_e32 v84, s12, v84
	;; [unrolled: 2-line block ×3, first 2 shown]
	v_lshlrev_b32_e32 v56, 2, v56
	s_delay_alu instid0(VALU_DEP_3) | instskip(NEXT) | instid1(VALU_DEP_3)
	v_lshlrev_b32_e32 v84, 2, v84
	v_lshlrev_b32_e32 v124, 2, v124
	s_delay_alu instid0(VALU_DEP_3) | instskip(NEXT) | instid1(VALU_DEP_3)
	v_ashrrev_i32_e32 v57, 31, v56
	v_ashrrev_i32_e32 v85, 31, v84
	s_delay_alu instid0(VALU_DEP_3)
	v_ashrrev_i32_e32 v125, 31, v124
	s_waitcnt vmcnt(0)
	v_subrev_nc_u32_e32 v140, s12, v140
	v_lshlrev_b64 v[56:57], 3, v[56:57]
	v_lshlrev_b64 v[84:85], 3, v[84:85]
	;; [unrolled: 1-line block ×3, first 2 shown]
	s_delay_alu instid0(VALU_DEP_4) | instskip(SKIP_1) | instid1(VALU_DEP_4)
	v_lshlrev_b32_e32 v140, 2, v140
	s_waitcnt lgkmcnt(0)
	v_add_co_u32 v64, vcc_lo, s4, v56
	v_add_co_ci_u32_e32 v65, vcc_lo, s5, v57, vcc_lo
	v_add_co_u32 v100, vcc_lo, 0x1000, v23
	global_load_b128 v[56:59], v[23:24], off offset:64
	s_clause 0x1
	global_load_b128 v[60:63], v[64:65], off
	global_load_b128 v[64:67], v[64:65], off offset:16
	v_add_co_ci_u32_e32 v101, vcc_lo, 0, v24, vcc_lo
	v_add_co_u32 v108, vcc_lo, v23, 0x2000
	v_add_co_ci_u32_e32 v109, vcc_lo, 0, v24, vcc_lo
	v_add_co_u32 v104, vcc_lo, s4, v84
	s_clause 0x3
	global_load_b128 v[68:71], v[100:101], off offset:96
	global_load_b128 v[72:75], v[100:101], off offset:48
	;; [unrolled: 1-line block ×3, first 2 shown]
	global_load_b128 v[80:83], v[108:109], off offset:-4096
	v_add_co_ci_u32_e32 v105, vcc_lo, s5, v85, vcc_lo
	global_load_b128 v[84:87], v[100:101], off offset:32
	global_load_b128 v[88:91], v[104:105], off
	s_clause 0x2
	global_load_b128 v[92:95], v[100:101], off offset:16
	global_load_b128 v[96:99], v[100:101], off offset:112
	;; [unrolled: 1-line block ×4, first 2 shown]
	v_add_co_u32 v132, vcc_lo, 0x2000, v23
	v_add_co_ci_u32_e32 v133, vcc_lo, 0, v24, vcc_lo
	v_add_co_u32 v134, vcc_lo, s4, v124
	v_add_co_ci_u32_e32 v135, vcc_lo, s5, v125, vcc_lo
	s_clause 0x4
	global_load_b128 v[108:111], v[108:109], off
	global_load_b128 v[112:115], v[132:133], off offset:96
	global_load_b128 v[116:119], v[132:133], off offset:48
	global_load_b128 v[120:123], v[132:133], off offset:64
	global_load_b128 v[124:127], v[132:133], off offset:32
	global_load_b128 v[128:131], v[134:135], off
	v_ashrrev_i32_e32 v141, 31, v140
	s_waitcnt vmcnt(17)
	v_fma_f64 v[15:16], v[40:41], v[60:61], v[15:16]
	v_fma_f64 v[17:18], v[32:33], v[60:61], v[17:18]
	;; [unrolled: 1-line block ×4, first 2 shown]
	s_delay_alu instid0(VALU_DEP_4) | instskip(NEXT) | instid1(VALU_DEP_4)
	v_fma_f64 v[48:49], v[42:43], v[62:63], v[15:16]
	v_fma_f64 v[56:57], v[34:35], v[62:63], v[17:18]
	s_delay_alu instid0(VALU_DEP_4) | instskip(NEXT) | instid1(VALU_DEP_4)
	v_fma_f64 v[58:59], v[58:59], v[62:63], v[13:14]
	v_fma_f64 v[50:51], v[50:51], v[62:63], v[11:12]
	s_clause 0x2
	global_load_b128 v[11:14], v[132:133], off offset:16
	global_load_b128 v[15:18], v[132:133], off offset:112
	;; [unrolled: 1-line block ×4, first 2 shown]
	s_waitcnt vmcnt(20)
	v_fma_f64 v[36:37], v[36:37], v[64:65], v[48:49]
	v_fma_f64 v[27:28], v[27:28], v[64:65], v[56:57]
	;; [unrolled: 1-line block ×4, first 2 shown]
	v_add_co_u32 v64, vcc_lo, 0x3000, v23
	v_add_co_ci_u32_e32 v65, vcc_lo, 0, v24, vcc_lo
	s_clause 0x4
	global_load_b128 v[48:51], v[64:65], off
	global_load_b128 v[56:59], v[64:65], off offset:48
	global_load_b128 v[60:63], v[64:65], off offset:32
	;; [unrolled: 1-line block ×4, first 2 shown]
	v_add_co_u32 v23, s3, 0x4000, v23
	s_delay_alu instid0(VALU_DEP_1)
	v_add_co_ci_u32_e64 v24, s3, 0, v24, s3
	v_fma_f64 v[142:143], v[38:39], v[66:67], v[36:37]
	v_fma_f64 v[144:145], v[29:30], v[66:67], v[27:28]
	;; [unrolled: 1-line block ×4, first 2 shown]
	v_lshlrev_b64 v[27:28], 3, v[140:141]
	s_delay_alu instid0(VALU_DEP_1) | instskip(NEXT) | instid1(VALU_DEP_2)
	v_add_co_u32 v66, vcc_lo, s4, v27
	v_add_co_ci_u32_e32 v67, vcc_lo, s5, v28, vcc_lo
	global_load_b128 v[27:30], v[64:65], off offset:64
	global_load_b128 v[36:39], v[66:67], off
	v_add_co_u32 v21, vcc_lo, 0x80, v21
	v_add_co_ci_u32_e32 v22, vcc_lo, 0, v22, vcc_lo
	v_add_co_u32 v25, vcc_lo, 0x200, v25
	v_add_co_ci_u32_e32 v26, vcc_lo, 0, v26, vcc_lo
	s_delay_alu instid0(VALU_DEP_3)
	v_cmp_ge_i64_e32 vcc_lo, v[21:22], v[4:5]
	s_or_b32 s10, vcc_lo, s10
	s_waitcnt vmcnt(21)
	v_fma_f64 v[46:47], v[80:81], v[88:89], v[142:143]
	v_fma_f64 v[54:55], v[84:85], v[88:89], v[144:145]
	;; [unrolled: 1-line block ×4, first 2 shown]
	s_delay_alu instid0(VALU_DEP_4) | instskip(NEXT) | instid1(VALU_DEP_4)
	v_fma_f64 v[68:69], v[82:83], v[90:91], v[46:47]
	v_fma_f64 v[76:77], v[86:87], v[90:91], v[54:55]
	s_delay_alu instid0(VALU_DEP_4) | instskip(NEXT) | instid1(VALU_DEP_4)
	v_fma_f64 v[78:79], v[78:79], v[90:91], v[52:53]
	v_fma_f64 v[70:71], v[70:71], v[90:91], v[44:45]
	s_clause 0x1
	global_load_b128 v[44:47], v[64:65], off offset:80
	global_load_b128 v[52:55], v[64:65], off offset:16
	;; [unrolled: 1-line block ×3, first 2 shown]
	s_waitcnt vmcnt(20)
	v_fma_f64 v[68:69], v[92:93], v[104:105], v[68:69]
	v_fma_f64 v[72:73], v[72:73], v[104:105], v[76:77]
	;; [unrolled: 1-line block ×4, first 2 shown]
	s_delay_alu instid0(VALU_DEP_4) | instskip(NEXT) | instid1(VALU_DEP_4)
	v_fma_f64 v[68:69], v[94:95], v[106:107], v[68:69]
	v_fma_f64 v[72:73], v[74:75], v[106:107], v[72:73]
	s_delay_alu instid0(VALU_DEP_4) | instskip(NEXT) | instid1(VALU_DEP_4)
	v_fma_f64 v[74:75], v[102:103], v[106:107], v[76:77]
	v_fma_f64 v[70:71], v[98:99], v[106:107], v[70:71]
	s_waitcnt vmcnt(14)
	s_delay_alu instid0(VALU_DEP_4) | instskip(NEXT) | instid1(VALU_DEP_4)
	v_fma_f64 v[68:69], v[108:109], v[128:129], v[68:69]
	v_fma_f64 v[72:73], v[124:125], v[128:129], v[72:73]
	s_delay_alu instid0(VALU_DEP_4) | instskip(NEXT) | instid1(VALU_DEP_4)
	v_fma_f64 v[74:75], v[120:121], v[128:129], v[74:75]
	v_fma_f64 v[70:71], v[112:113], v[128:129], v[70:71]
	s_delay_alu instid0(VALU_DEP_4) | instskip(NEXT) | instid1(VALU_DEP_4)
	v_fma_f64 v[68:69], v[110:111], v[130:131], v[68:69]
	v_fma_f64 v[72:73], v[126:127], v[130:131], v[72:73]
	s_delay_alu instid0(VALU_DEP_4) | instskip(NEXT) | instid1(VALU_DEP_4)
	v_fma_f64 v[74:75], v[122:123], v[130:131], v[74:75]
	v_fma_f64 v[70:71], v[114:115], v[130:131], v[70:71]
	s_waitcnt vmcnt(10)
	s_delay_alu instid0(VALU_DEP_4) | instskip(NEXT) | instid1(VALU_DEP_4)
	v_fma_f64 v[11:12], v[11:12], v[40:41], v[68:69]
	v_fma_f64 v[68:69], v[116:117], v[40:41], v[72:73]
	s_delay_alu instid0(VALU_DEP_4) | instskip(NEXT) | instid1(VALU_DEP_4)
	v_fma_f64 v[32:33], v[32:33], v[40:41], v[74:75]
	v_fma_f64 v[15:16], v[15:16], v[40:41], v[70:71]
	;; [unrolled: 13-line block ×4, first 2 shown]
	s_delay_alu instid0(VALU_DEP_4) | instskip(NEXT) | instid1(VALU_DEP_4)
	v_fma_f64 v[15:16], v[54:55], v[66:67], v[11:12]
	v_fma_f64 v[17:18], v[58:59], v[66:67], v[13:14]
	s_delay_alu instid0(VALU_DEP_4) | instskip(NEXT) | instid1(VALU_DEP_4)
	v_fma_f64 v[13:14], v[46:47], v[66:67], v[27:28]
	v_fma_f64 v[11:12], v[134:135], v[66:67], v[29:30]
	s_and_not1_b32 exec_lo, exec_lo, s10
	s_cbranch_execnz .LBB28_21
; %bb.22:
	s_or_b32 exec_lo, exec_lo, s10
.LBB28_23:
	s_delay_alu instid0(SALU_CYCLE_1)
	s_or_b32 exec_lo, exec_lo, s7
.LBB28_24:
	s_delay_alu instid0(SALU_CYCLE_1)
	s_or_b32 exec_lo, exec_lo, s6
	s_cbranch_execz .LBB28_26
	s_branch .LBB28_37
.LBB28_25:
                                        ; implicit-def: $vgpr11_vgpr12
                                        ; implicit-def: $vgpr13_vgpr14
                                        ; implicit-def: $vgpr17_vgpr18
                                        ; implicit-def: $vgpr15_vgpr16
.LBB28_26:
	v_mov_b32_e32 v11, 0
	v_mov_b32_e32 v12, 0
	s_delay_alu instid0(VALU_DEP_1)
	v_dual_mov_b32 v14, v12 :: v_dual_mov_b32 v13, v11
	v_dual_mov_b32 v18, v12 :: v_dual_mov_b32 v17, v11
	;; [unrolled: 1-line block ×3, first 2 shown]
	s_and_saveexec_b32 s3, s2
	s_cbranch_execz .LBB28_36
; %bb.27:
	v_or_b32_e32 v11, 32, v31
	v_not_b32_e32 v14, v19
	v_not_b32_e32 v13, v20
	s_mov_b32 s7, 0
	s_mov_b32 s6, exec_lo
	v_sub_co_u32 v11, s2, v11, s12
	s_delay_alu instid0(VALU_DEP_1) | instskip(SKIP_1) | instid1(VALU_DEP_3)
	v_sub_co_ci_u32_e64 v12, null, 0, 0, s2
	v_sub_co_u32 v15, s2, s12, v31
	v_add_co_u32 v11, vcc_lo, v11, v19
	s_delay_alu instid0(VALU_DEP_3) | instskip(SKIP_1) | instid1(VALU_DEP_2)
	v_add_co_ci_u32_e32 v12, vcc_lo, v12, v20, vcc_lo
	v_sub_co_ci_u32_e64 v16, null, 0, 0, s2
	v_cmp_gt_i64_e32 vcc_lo, v[11:12], v[4:5]
	v_dual_cndmask_b32 v12, v5, v12 :: v_dual_cndmask_b32 v11, v4, v11
	v_add_co_u32 v14, vcc_lo, v15, v14
	s_delay_alu instid0(VALU_DEP_4) | instskip(SKIP_1) | instid1(VALU_DEP_3)
	v_add_co_ci_u32_e32 v13, vcc_lo, v16, v13, vcc_lo
	v_mov_b32_e32 v15, 0
	v_add_co_u32 v19, vcc_lo, v14, v11
	s_delay_alu instid0(VALU_DEP_3) | instskip(SKIP_1) | instid1(VALU_DEP_3)
	v_add_co_ci_u32_e32 v20, vcc_lo, v13, v12, vcc_lo
	v_mov_b32_e32 v16, 0
	v_lshrrev_b32_e32 v11, 5, v19
	s_delay_alu instid0(VALU_DEP_2) | instskip(NEXT) | instid1(VALU_DEP_2)
	v_dual_mov_b32 v13, v15 :: v_dual_mov_b32 v18, v16
	v_add_nc_u32_e32 v11, 1, v11
	v_dual_mov_b32 v17, v15 :: v_dual_mov_b32 v14, v16
	s_delay_alu instid0(VALU_DEP_2) | instskip(SKIP_1) | instid1(VALU_DEP_2)
	v_and_b32_e32 v21, 3, v11
	v_dual_mov_b32 v11, v15 :: v_dual_mov_b32 v12, v16
	v_cmpx_ne_u32_e32 0, v21
	s_cbranch_execz .LBB28_31
; %bb.28:
	v_lshlrev_b64 v[13:14], 2, v[0:1]
	v_dual_mov_b32 v22, 0 :: v_dual_mov_b32 v11, 0
	v_dual_mov_b32 v12, 0 :: v_dual_lshlrev_b32 v21, 5, v21
	s_delay_alu instid0(VALU_DEP_3) | instskip(NEXT) | instid1(VALU_DEP_4)
	v_add_co_u32 v23, vcc_lo, s8, v13
	v_add_co_ci_u32_e32 v24, vcc_lo, s9, v14, vcc_lo
	s_delay_alu instid0(VALU_DEP_3)
	v_dual_mov_b32 v14, v12 :: v_dual_mov_b32 v13, v11
	v_dual_mov_b32 v18, v12 :: v_dual_mov_b32 v17, v11
	;; [unrolled: 1-line block ×3, first 2 shown]
.LBB28_29:                              ; =>This Inner Loop Header: Depth=1
	global_load_b32 v29, v[23:24], off
	global_load_b128 v[25:28], v[6:7], off offset:16
	v_add_co_u32 v23, s2, 0x80, v23
	s_delay_alu instid0(VALU_DEP_1) | instskip(SKIP_2) | instid1(VALU_DEP_1)
	v_add_co_ci_u32_e64 v24, s2, 0, v24, s2
	s_waitcnt vmcnt(1)
	v_subrev_nc_u32_e32 v29, s12, v29
	v_lshlrev_b32_e32 v29, 2, v29
	s_delay_alu instid0(VALU_DEP_1) | instskip(NEXT) | instid1(VALU_DEP_1)
	v_ashrrev_i32_e32 v30, 31, v29
	v_lshlrev_b64 v[29:30], 3, v[29:30]
	s_waitcnt lgkmcnt(0)
	s_delay_alu instid0(VALU_DEP_1) | instskip(NEXT) | instid1(VALU_DEP_2)
	v_add_co_u32 v29, vcc_lo, s4, v29
	v_add_co_ci_u32_e32 v30, vcc_lo, s5, v30, vcc_lo
	global_load_b128 v[32:35], v[6:7], off
	s_clause 0x1
	global_load_b128 v[36:39], v[29:30], off
	global_load_b128 v[40:43], v[29:30], off offset:16
	s_clause 0x5
	global_load_b128 v[44:47], v[6:7], off offset:32
	global_load_b128 v[48:51], v[6:7], off offset:48
	;; [unrolled: 1-line block ×6, first 2 shown]
	v_add_co_u32 v6, vcc_lo, 0x1000, v6
	v_add_co_ci_u32_e32 v7, vcc_lo, 0, v7, vcc_lo
	v_add_co_u32 v21, vcc_lo, 0xffffffe0, v21
	v_add_co_ci_u32_e32 v22, vcc_lo, -1, v22, vcc_lo
	v_add_co_u32 v0, vcc_lo, v0, 32
	v_add_co_ci_u32_e32 v1, vcc_lo, 0, v1, vcc_lo
	s_delay_alu instid0(VALU_DEP_3)
	v_cmp_eq_u64_e32 vcc_lo, 0, v[21:22]
	s_or_b32 s7, vcc_lo, s7
	s_waitcnt vmcnt(7)
	v_fma_f64 v[15:16], v[32:33], v[36:37], v[15:16]
	v_fma_f64 v[17:18], v[34:35], v[36:37], v[17:18]
	;; [unrolled: 1-line block ×4, first 2 shown]
	s_waitcnt vmcnt(5)
	s_delay_alu instid0(VALU_DEP_4) | instskip(NEXT) | instid1(VALU_DEP_4)
	v_fma_f64 v[15:16], v[44:45], v[38:39], v[15:16]
	v_fma_f64 v[17:18], v[46:47], v[38:39], v[17:18]
	s_waitcnt vmcnt(4)
	s_delay_alu instid0(VALU_DEP_4) | instskip(NEXT) | instid1(VALU_DEP_4)
	v_fma_f64 v[13:14], v[48:49], v[38:39], v[13:14]
	v_fma_f64 v[11:12], v[50:51], v[38:39], v[11:12]
	s_waitcnt vmcnt(3)
	s_delay_alu instid0(VALU_DEP_4) | instskip(NEXT) | instid1(VALU_DEP_4)
	v_fma_f64 v[15:16], v[52:53], v[40:41], v[15:16]
	v_fma_f64 v[17:18], v[54:55], v[40:41], v[17:18]
	s_waitcnt vmcnt(2)
	s_delay_alu instid0(VALU_DEP_4) | instskip(NEXT) | instid1(VALU_DEP_4)
	v_fma_f64 v[13:14], v[56:57], v[40:41], v[13:14]
	v_fma_f64 v[11:12], v[58:59], v[40:41], v[11:12]
	s_waitcnt vmcnt(1)
	s_delay_alu instid0(VALU_DEP_4) | instskip(NEXT) | instid1(VALU_DEP_4)
	v_fma_f64 v[15:16], v[60:61], v[42:43], v[15:16]
	v_fma_f64 v[17:18], v[62:63], v[42:43], v[17:18]
	s_waitcnt vmcnt(0)
	s_delay_alu instid0(VALU_DEP_4) | instskip(NEXT) | instid1(VALU_DEP_4)
	v_fma_f64 v[13:14], v[64:65], v[42:43], v[13:14]
	v_fma_f64 v[11:12], v[66:67], v[42:43], v[11:12]
	s_and_not1_b32 exec_lo, exec_lo, s7
	s_cbranch_execnz .LBB28_29
; %bb.30:
	s_or_b32 exec_lo, exec_lo, s7
.LBB28_31:
	s_delay_alu instid0(SALU_CYCLE_1) | instskip(NEXT) | instid1(SALU_CYCLE_1)
	s_or_b32 exec_lo, exec_lo, s6
	s_mov_b32 s6, exec_lo
	v_cmpx_lt_u64_e32 0x5f, v[19:20]
	s_cbranch_execz .LBB28_35
; %bb.32:
	v_lshlrev_b64 v[19:20], 2, v[0:1]
	s_mov_b32 s7, 0
	s_delay_alu instid0(VALU_DEP_1) | instskip(NEXT) | instid1(VALU_DEP_2)
	v_add_co_u32 v19, vcc_lo, v19, s8
	v_add_co_ci_u32_e32 v20, vcc_lo, s9, v20, vcc_lo
	s_delay_alu instid0(VALU_DEP_2) | instskip(NEXT) | instid1(VALU_DEP_2)
	v_add_co_u32 v19, vcc_lo, 0x100, v19
	v_add_co_ci_u32_e32 v20, vcc_lo, 0, v20, vcc_lo
.LBB28_33:                              ; =>This Inner Loop Header: Depth=1
	s_clause 0x2
	global_load_b32 v25, v[19:20], off offset:-256
	global_load_b32 v72, v[19:20], off offset:-128
	global_load_b32 v112, v[19:20], off
	global_load_b128 v[21:24], v[6:7], off offset:16
	global_load_b32 v124, v[19:20], off offset:128
	s_waitcnt vmcnt(4)
	v_subrev_nc_u32_e32 v25, s12, v25
	s_waitcnt vmcnt(3)
	v_subrev_nc_u32_e32 v72, s12, v72
	s_delay_alu instid0(VALU_DEP_2) | instskip(NEXT) | instid1(VALU_DEP_2)
	v_lshlrev_b32_e32 v25, 2, v25
	v_lshlrev_b32_e32 v72, 2, v72
	s_delay_alu instid0(VALU_DEP_2) | instskip(NEXT) | instid1(VALU_DEP_2)
	v_ashrrev_i32_e32 v26, 31, v25
	v_ashrrev_i32_e32 v73, 31, v72
	s_delay_alu instid0(VALU_DEP_2) | instskip(NEXT) | instid1(VALU_DEP_2)
	v_lshlrev_b64 v[25:26], 3, v[25:26]
	v_lshlrev_b64 v[72:73], 3, v[72:73]
	s_waitcnt lgkmcnt(0)
	s_delay_alu instid0(VALU_DEP_2) | instskip(NEXT) | instid1(VALU_DEP_3)
	v_add_co_u32 v29, vcc_lo, s4, v25
	v_add_co_ci_u32_e32 v30, vcc_lo, s5, v26, vcc_lo
	global_load_b128 v[25:28], v[6:7], off
	global_load_b128 v[32:35], v[29:30], off
	s_clause 0x3
	global_load_b128 v[36:39], v[6:7], off offset:32
	global_load_b128 v[40:43], v[6:7], off offset:48
	;; [unrolled: 1-line block ×5, first 2 shown]
	s_clause 0x1
	global_load_b128 v[56:59], v[6:7], off offset:112
	global_load_b128 v[60:63], v[6:7], off offset:96
	v_add_co_u32 v29, vcc_lo, v6, 0x2000
	v_add_co_ci_u32_e32 v30, vcc_lo, 0, v7, vcc_lo
	v_add_co_u32 v100, vcc_lo, 0x1000, v6
	v_add_co_ci_u32_e32 v101, vcc_lo, 0, v7, vcc_lo
	v_add_co_u32 v92, vcc_lo, s4, v72
	v_add_co_ci_u32_e32 v93, vcc_lo, s5, v73, vcc_lo
	s_clause 0x2
	global_load_b128 v[64:67], v[29:30], off offset:-4096
	global_load_b128 v[68:71], v[100:101], off offset:32
	global_load_b128 v[72:75], v[100:101], off offset:16
	global_load_b128 v[76:79], v[92:93], off
	s_clause 0x2
	global_load_b128 v[80:83], v[100:101], off offset:48
	global_load_b128 v[84:87], v[100:101], off offset:64
	;; [unrolled: 1-line block ×4, first 2 shown]
	s_clause 0x1
	global_load_b128 v[96:99], v[100:101], off offset:96
	global_load_b128 v[100:103], v[100:101], off offset:112
	v_add_co_u32 v120, vcc_lo, 0x2000, v6
	v_add_co_ci_u32_e32 v121, vcc_lo, 0, v7, vcc_lo
	s_clause 0x1
	global_load_b128 v[104:107], v[29:30], off
	global_load_b128 v[108:111], v[120:121], off offset:32
	s_waitcnt vmcnt(23)
	v_subrev_nc_u32_e32 v29, s12, v112
	s_delay_alu instid0(VALU_DEP_1) | instskip(NEXT) | instid1(VALU_DEP_1)
	v_lshlrev_b32_e32 v29, 2, v29
	v_ashrrev_i32_e32 v30, 31, v29
	s_delay_alu instid0(VALU_DEP_1) | instskip(NEXT) | instid1(VALU_DEP_1)
	v_lshlrev_b64 v[29:30], 3, v[29:30]
	v_add_co_u32 v29, vcc_lo, s4, v29
	s_delay_alu instid0(VALU_DEP_2)
	v_add_co_ci_u32_e32 v30, vcc_lo, s5, v30, vcc_lo
	global_load_b128 v[112:115], v[120:121], off offset:16
	global_load_b128 v[116:119], v[29:30], off
	v_add_co_u32 v122, vcc_lo, 0x3000, v6
	v_add_co_ci_u32_e32 v123, vcc_lo, 0, v7, vcc_lo
	v_add_co_u32 v6, s2, 0x4000, v6
	s_delay_alu instid0(VALU_DEP_1)
	v_add_co_ci_u32_e64 v7, s2, 0, v7, s2
	s_waitcnt vmcnt(21)
	v_fma_f64 v[15:16], v[25:26], v[32:33], v[15:16]
	v_fma_f64 v[17:18], v[27:28], v[32:33], v[17:18]
	;; [unrolled: 1-line block ×4, first 2 shown]
	global_load_b128 v[11:14], v[120:121], off offset:48
	s_waitcnt vmcnt(21)
	v_fma_f64 v[32:33], v[36:37], v[34:35], v[15:16]
	v_fma_f64 v[36:37], v[38:39], v[34:35], v[17:18]
	s_waitcnt vmcnt(20)
	v_fma_f64 v[38:39], v[40:41], v[34:35], v[21:22]
	v_fma_f64 v[34:35], v[42:43], v[34:35], v[23:24]
	s_clause 0x1
	global_load_b128 v[15:18], v[120:121], off offset:80
	global_load_b128 v[21:24], v[120:121], off offset:64
	global_load_b128 v[25:28], v[29:30], off offset:16
	s_waitcnt vmcnt(20)
	v_fma_f64 v[29:30], v[44:45], v[52:53], v[32:33]
	v_fma_f64 v[44:45], v[46:47], v[52:53], v[36:37]
	v_fma_f64 v[46:47], v[48:49], v[52:53], v[38:39]
	v_fma_f64 v[48:49], v[50:51], v[52:53], v[34:35]
	s_clause 0x1
	global_load_b128 v[32:35], v[120:121], off offset:96
	global_load_b128 v[36:39], v[120:121], off offset:112
	v_subrev_nc_u32_e32 v50, s12, v124
	global_load_b128 v[40:43], v[122:123], off
	v_lshlrev_b32_e32 v50, 2, v50
	s_delay_alu instid0(VALU_DEP_1)
	v_ashrrev_i32_e32 v51, 31, v50
	s_waitcnt vmcnt(21)
	v_fma_f64 v[29:30], v[60:61], v[54:55], v[29:30]
	v_fma_f64 v[52:53], v[62:63], v[54:55], v[44:45]
	;; [unrolled: 1-line block ×4, first 2 shown]
	v_lshlrev_b64 v[44:45], 3, v[50:51]
	s_delay_alu instid0(VALU_DEP_1) | instskip(NEXT) | instid1(VALU_DEP_2)
	v_add_co_u32 v120, vcc_lo, s4, v44
	v_add_co_ci_u32_e32 v121, vcc_lo, s5, v45, vcc_lo
	global_load_b128 v[44:47], v[122:123], off offset:16
	global_load_b128 v[48:51], v[120:121], off
	v_add_co_u32 v0, vcc_lo, 0x80, v0
	v_add_co_ci_u32_e32 v1, vcc_lo, 0, v1, vcc_lo
	v_add_co_u32 v19, vcc_lo, 0x200, v19
	v_add_co_ci_u32_e32 v20, vcc_lo, 0, v20, vcc_lo
	s_delay_alu instid0(VALU_DEP_3)
	v_cmp_ge_i64_e32 vcc_lo, v[0:1], v[4:5]
	s_or_b32 s7, vcc_lo, s7
	s_waitcnt vmcnt(19)
	v_fma_f64 v[29:30], v[64:65], v[76:77], v[29:30]
	v_fma_f64 v[60:61], v[66:67], v[76:77], v[52:53]
	;; [unrolled: 1-line block ×4, first 2 shown]
	s_clause 0x1
	global_load_b128 v[52:55], v[122:123], off offset:32
	global_load_b128 v[56:59], v[122:123], off offset:48
	v_fma_f64 v[29:30], v[68:69], v[78:79], v[29:30]
	v_fma_f64 v[72:73], v[70:71], v[78:79], v[60:61]
	s_waitcnt vmcnt(20)
	v_fma_f64 v[74:75], v[80:81], v[78:79], v[62:63]
	v_fma_f64 v[76:77], v[82:83], v[78:79], v[64:65]
	s_clause 0x1
	global_load_b128 v[60:63], v[122:123], off offset:64
	global_load_b128 v[64:67], v[122:123], off offset:80
	;; [unrolled: 1-line block ×3, first 2 shown]
	s_waitcnt vmcnt(20)
	v_fma_f64 v[29:30], v[84:85], v[92:93], v[29:30]
	v_fma_f64 v[80:81], v[86:87], v[92:93], v[72:73]
	;; [unrolled: 1-line block ×4, first 2 shown]
	s_clause 0x1
	global_load_b128 v[72:75], v[122:123], off offset:96
	global_load_b128 v[76:79], v[122:123], off offset:112
	s_waitcnt vmcnt(21)
	v_fma_f64 v[29:30], v[96:97], v[94:95], v[29:30]
	v_fma_f64 v[80:81], v[98:99], v[94:95], v[80:81]
	s_waitcnt vmcnt(20)
	v_fma_f64 v[82:83], v[100:101], v[94:95], v[82:83]
	v_fma_f64 v[84:85], v[102:103], v[94:95], v[84:85]
	s_waitcnt vmcnt(16)
	s_delay_alu instid0(VALU_DEP_4) | instskip(NEXT) | instid1(VALU_DEP_4)
	v_fma_f64 v[29:30], v[104:105], v[116:117], v[29:30]
	v_fma_f64 v[80:81], v[106:107], v[116:117], v[80:81]
	s_delay_alu instid0(VALU_DEP_4) | instskip(NEXT) | instid1(VALU_DEP_4)
	v_fma_f64 v[82:83], v[112:113], v[116:117], v[82:83]
	v_fma_f64 v[84:85], v[114:115], v[116:117], v[84:85]
	;; [unrolled: 3-line block ×3, first 2 shown]
	s_waitcnt vmcnt(15)
	s_delay_alu instid0(VALU_DEP_4) | instskip(NEXT) | instid1(VALU_DEP_4)
	v_fma_f64 v[11:12], v[11:12], v[118:119], v[82:83]
	v_fma_f64 v[13:14], v[13:14], v[118:119], v[84:85]
	s_waitcnt vmcnt(12)
	s_delay_alu instid0(VALU_DEP_4) | instskip(NEXT) | instid1(VALU_DEP_4)
	v_fma_f64 v[21:22], v[21:22], v[25:26], v[29:30]
	v_fma_f64 v[23:24], v[23:24], v[25:26], v[80:81]
	s_delay_alu instid0(VALU_DEP_4) | instskip(NEXT) | instid1(VALU_DEP_4)
	v_fma_f64 v[11:12], v[15:16], v[25:26], v[11:12]
	v_fma_f64 v[13:14], v[17:18], v[25:26], v[13:14]
	s_waitcnt vmcnt(11)
	s_delay_alu instid0(VALU_DEP_4) | instskip(NEXT) | instid1(VALU_DEP_4)
	v_fma_f64 v[15:16], v[32:33], v[27:28], v[21:22]
	v_fma_f64 v[17:18], v[34:35], v[27:28], v[23:24]
	s_waitcnt vmcnt(10)
	s_delay_alu instid0(VALU_DEP_4) | instskip(NEXT) | instid1(VALU_DEP_4)
	v_fma_f64 v[11:12], v[36:37], v[27:28], v[11:12]
	v_fma_f64 v[13:14], v[38:39], v[27:28], v[13:14]
	s_waitcnt vmcnt(7)
	s_delay_alu instid0(VALU_DEP_4) | instskip(NEXT) | instid1(VALU_DEP_4)
	v_fma_f64 v[15:16], v[40:41], v[48:49], v[15:16]
	v_fma_f64 v[17:18], v[42:43], v[48:49], v[17:18]
	s_delay_alu instid0(VALU_DEP_4) | instskip(NEXT) | instid1(VALU_DEP_4)
	v_fma_f64 v[11:12], v[44:45], v[48:49], v[11:12]
	v_fma_f64 v[13:14], v[46:47], v[48:49], v[13:14]
	s_waitcnt vmcnt(6)
	s_delay_alu instid0(VALU_DEP_4) | instskip(NEXT) | instid1(VALU_DEP_4)
	v_fma_f64 v[15:16], v[52:53], v[50:51], v[15:16]
	v_fma_f64 v[17:18], v[54:55], v[50:51], v[17:18]
	;; [unrolled: 15-line block ×3, first 2 shown]
	s_waitcnt vmcnt(0)
	s_delay_alu instid0(VALU_DEP_4) | instskip(NEXT) | instid1(VALU_DEP_4)
	v_fma_f64 v[13:14], v[76:77], v[70:71], v[11:12]
	v_fma_f64 v[11:12], v[78:79], v[70:71], v[21:22]
	s_and_not1_b32 exec_lo, exec_lo, s7
	s_cbranch_execnz .LBB28_33
; %bb.34:
	s_or_b32 exec_lo, exec_lo, s7
.LBB28_35:
	s_delay_alu instid0(SALU_CYCLE_1)
	s_or_b32 exec_lo, exec_lo, s6
.LBB28_36:
	s_delay_alu instid0(SALU_CYCLE_1)
	s_or_b32 exec_lo, exec_lo, s3
.LBB28_37:
	v_mbcnt_lo_u32_b32 v23, -1, 0
	s_delay_alu instid0(VALU_DEP_1) | instskip(NEXT) | instid1(VALU_DEP_1)
	v_xor_b32_e32 v0, 16, v23
	v_cmp_gt_i32_e32 vcc_lo, 32, v0
	v_cndmask_b32_e32 v0, v23, v0, vcc_lo
	s_delay_alu instid0(VALU_DEP_1)
	v_lshlrev_b32_e32 v20, 2, v0
	ds_bpermute_b32 v6, v20, v13
	ds_bpermute_b32 v7, v20, v14
	s_waitcnt lgkmcnt(0)
	v_add_f64 v[6:7], v[13:14], v[6:7]
	v_xor_b32_e32 v13, 8, v23
	s_delay_alu instid0(VALU_DEP_1)
	v_cmp_gt_i32_e32 vcc_lo, 32, v13
	v_cndmask_b32_e32 v13, v23, v13, vcc_lo
	ds_bpermute_b32 v0, v20, v15
	ds_bpermute_b32 v1, v20, v16
	;; [unrolled: 1-line block ×6, first 2 shown]
	s_waitcnt lgkmcnt(4)
	v_add_f64 v[0:1], v[15:16], v[0:1]
	s_waitcnt lgkmcnt(2)
	v_add_f64 v[4:5], v[17:18], v[4:5]
	;; [unrolled: 2-line block ×3, first 2 shown]
	v_lshlrev_b32_e32 v20, 2, v13
	ds_bpermute_b32 v17, v20, v6
	ds_bpermute_b32 v18, v20, v7
	s_waitcnt lgkmcnt(0)
	v_add_f64 v[6:7], v[6:7], v[17:18]
	ds_bpermute_b32 v13, v20, v0
	ds_bpermute_b32 v14, v20, v1
	;; [unrolled: 1-line block ×6, first 2 shown]
	s_waitcnt lgkmcnt(4)
	v_add_f64 v[0:1], v[0:1], v[13:14]
	v_xor_b32_e32 v13, 4, v23
	s_waitcnt lgkmcnt(2)
	v_add_f64 v[4:5], v[4:5], v[15:16]
	s_waitcnt lgkmcnt(0)
	v_add_f64 v[11:12], v[11:12], v[19:20]
	v_cmp_gt_i32_e32 vcc_lo, 32, v13
	v_cndmask_b32_e32 v13, v23, v13, vcc_lo
	s_delay_alu instid0(VALU_DEP_1)
	v_lshlrev_b32_e32 v20, 2, v13
	ds_bpermute_b32 v17, v20, v6
	ds_bpermute_b32 v18, v20, v7
	;; [unrolled: 1-line block ×8, first 2 shown]
	s_waitcnt lgkmcnt(4)
	v_add_f64 v[0:1], v[0:1], v[13:14]
	v_add_f64 v[13:14], v[6:7], v[17:18]
	s_waitcnt lgkmcnt(2)
	v_add_f64 v[4:5], v[4:5], v[15:16]
	v_xor_b32_e32 v6, 2, v23
	s_waitcnt lgkmcnt(0)
	v_add_f64 v[15:16], v[11:12], v[19:20]
	s_delay_alu instid0(VALU_DEP_2) | instskip(SKIP_1) | instid1(VALU_DEP_1)
	v_cmp_gt_i32_e32 vcc_lo, 32, v6
	v_cndmask_b32_e32 v6, v23, v6, vcc_lo
	v_lshlrev_b32_e32 v11, 2, v6
	ds_bpermute_b32 v6, v11, v0
	ds_bpermute_b32 v7, v11, v1
	;; [unrolled: 1-line block ×8, first 2 shown]
	s_waitcnt lgkmcnt(6)
	v_add_f64 v[11:12], v[0:1], v[6:7]
	s_waitcnt lgkmcnt(4)
	v_add_f64 v[6:7], v[4:5], v[17:18]
	;; [unrolled: 2-line block ×3, first 2 shown]
	v_xor_b32_e32 v13, 1, v23
	s_waitcnt lgkmcnt(0)
	v_add_f64 v[4:5], v[15:16], v[21:22]
	s_delay_alu instid0(VALU_DEP_2) | instskip(SKIP_2) | instid1(VALU_DEP_2)
	v_cmp_gt_i32_e32 vcc_lo, 32, v13
	v_cndmask_b32_e32 v13, v23, v13, vcc_lo
	v_cmp_eq_u32_e32 vcc_lo, 31, v31
	v_lshlrev_b32_e32 v14, 2, v13
	ds_bpermute_b32 v19, v14, v11
	ds_bpermute_b32 v20, v14, v12
	;; [unrolled: 1-line block ×8, first 2 shown]
	s_and_b32 exec_lo, exec_lo, vcc_lo
	s_cbranch_execz .LBB28_10
; %bb.38:
	s_waitcnt lgkmcnt(6)
	v_add_f64 v[11:12], v[11:12], v[19:20]
	s_waitcnt lgkmcnt(4)
	v_add_f64 v[6:7], v[6:7], v[17:18]
	;; [unrolled: 2-line block ×4, first 2 shown]
	s_load_b64 s[0:1], s[0:1], 0x50
	v_lshlrev_b32_e32 v10, 2, v10
	s_mov_b32 s2, exec_lo
	v_mul_f64 v[4:5], v[2:3], v[11:12]
	v_mul_f64 v[6:7], v[2:3], v[6:7]
	;; [unrolled: 1-line block ×4, first 2 shown]
	v_cmpx_eq_f64_e32 0, v[8:9]
	s_xor_b32 s2, exec_lo, s2
	s_cbranch_execz .LBB28_40
; %bb.39:
	v_ashrrev_i32_e32 v11, 31, v10
	s_delay_alu instid0(VALU_DEP_1) | instskip(SKIP_1) | instid1(VALU_DEP_1)
	v_lshlrev_b64 v[8:9], 3, v[10:11]
                                        ; implicit-def: $vgpr10
	s_waitcnt lgkmcnt(0)
	v_add_co_u32 v8, vcc_lo, s0, v8
	s_delay_alu instid0(VALU_DEP_2)
	v_add_co_ci_u32_e32 v9, vcc_lo, s1, v9, vcc_lo
	s_clause 0x1
	global_store_b128 v[8:9], v[4:7], off
	global_store_b128 v[8:9], v[0:3], off offset:16
                                        ; implicit-def: $vgpr8_vgpr9
                                        ; implicit-def: $vgpr4_vgpr5
                                        ; implicit-def: $vgpr0_vgpr1
.LBB28_40:
	s_and_not1_saveexec_b32 s2, s2
	s_cbranch_execz .LBB28_10
; %bb.41:
	v_ashrrev_i32_e32 v11, 31, v10
	s_delay_alu instid0(VALU_DEP_1) | instskip(SKIP_1) | instid1(VALU_DEP_1)
	v_lshlrev_b64 v[10:11], 3, v[10:11]
	s_waitcnt lgkmcnt(0)
	v_add_co_u32 v18, vcc_lo, s0, v10
	s_delay_alu instid0(VALU_DEP_2)
	v_add_co_ci_u32_e32 v19, vcc_lo, s1, v11, vcc_lo
	s_clause 0x1
	global_load_b128 v[10:13], v[18:19], off
	global_load_b128 v[14:17], v[18:19], off offset:16
	s_waitcnt vmcnt(1)
	v_fma_f64 v[4:5], v[8:9], v[10:11], v[4:5]
	v_fma_f64 v[6:7], v[8:9], v[12:13], v[6:7]
	s_waitcnt vmcnt(0)
	v_fma_f64 v[0:1], v[8:9], v[14:15], v[0:1]
	v_fma_f64 v[2:3], v[8:9], v[16:17], v[2:3]
	s_clause 0x1
	global_store_b128 v[18:19], v[4:7], off
	global_store_b128 v[18:19], v[0:3], off offset:16
	s_nop 0
	s_sendmsg sendmsg(MSG_DEALLOC_VGPRS)
	s_endpgm
	.section	.rodata,"a",@progbits
	.p2align	6, 0x0
	.amdhsa_kernel _ZN9rocsparseL18bsrxmvn_4x4_kernelILj128ELj32EdlidddEEvT3_20rocsparse_direction_NS_24const_host_device_scalarIT1_EES1_PKS1_PKT2_SA_S7_PKT4_PKT5_S5_PT6_21rocsparse_index_base_b
		.amdhsa_group_segment_fixed_size 0
		.amdhsa_private_segment_fixed_size 0
		.amdhsa_kernarg_size 96
		.amdhsa_user_sgpr_count 15
		.amdhsa_user_sgpr_dispatch_ptr 0
		.amdhsa_user_sgpr_queue_ptr 0
		.amdhsa_user_sgpr_kernarg_segment_ptr 1
		.amdhsa_user_sgpr_dispatch_id 0
		.amdhsa_user_sgpr_private_segment_size 0
		.amdhsa_wavefront_size32 1
		.amdhsa_uses_dynamic_stack 0
		.amdhsa_enable_private_segment 0
		.amdhsa_system_sgpr_workgroup_id_x 1
		.amdhsa_system_sgpr_workgroup_id_y 0
		.amdhsa_system_sgpr_workgroup_id_z 0
		.amdhsa_system_sgpr_workgroup_info 0
		.amdhsa_system_vgpr_workitem_id 0
		.amdhsa_next_free_vgpr 146
		.amdhsa_next_free_sgpr 16
		.amdhsa_reserve_vcc 1
		.amdhsa_float_round_mode_32 0
		.amdhsa_float_round_mode_16_64 0
		.amdhsa_float_denorm_mode_32 3
		.amdhsa_float_denorm_mode_16_64 3
		.amdhsa_dx10_clamp 1
		.amdhsa_ieee_mode 1
		.amdhsa_fp16_overflow 0
		.amdhsa_workgroup_processor_mode 1
		.amdhsa_memory_ordered 1
		.amdhsa_forward_progress 0
		.amdhsa_shared_vgpr_count 0
		.amdhsa_exception_fp_ieee_invalid_op 0
		.amdhsa_exception_fp_denorm_src 0
		.amdhsa_exception_fp_ieee_div_zero 0
		.amdhsa_exception_fp_ieee_overflow 0
		.amdhsa_exception_fp_ieee_underflow 0
		.amdhsa_exception_fp_ieee_inexact 0
		.amdhsa_exception_int_div_zero 0
	.end_amdhsa_kernel
	.section	.text._ZN9rocsparseL18bsrxmvn_4x4_kernelILj128ELj32EdlidddEEvT3_20rocsparse_direction_NS_24const_host_device_scalarIT1_EES1_PKS1_PKT2_SA_S7_PKT4_PKT5_S5_PT6_21rocsparse_index_base_b,"axG",@progbits,_ZN9rocsparseL18bsrxmvn_4x4_kernelILj128ELj32EdlidddEEvT3_20rocsparse_direction_NS_24const_host_device_scalarIT1_EES1_PKS1_PKT2_SA_S7_PKT4_PKT5_S5_PT6_21rocsparse_index_base_b,comdat
.Lfunc_end28:
	.size	_ZN9rocsparseL18bsrxmvn_4x4_kernelILj128ELj32EdlidddEEvT3_20rocsparse_direction_NS_24const_host_device_scalarIT1_EES1_PKS1_PKT2_SA_S7_PKT4_PKT5_S5_PT6_21rocsparse_index_base_b, .Lfunc_end28-_ZN9rocsparseL18bsrxmvn_4x4_kernelILj128ELj32EdlidddEEvT3_20rocsparse_direction_NS_24const_host_device_scalarIT1_EES1_PKS1_PKT2_SA_S7_PKT4_PKT5_S5_PT6_21rocsparse_index_base_b
                                        ; -- End function
	.section	.AMDGPU.csdata,"",@progbits
; Kernel info:
; codeLenInByte = 5820
; NumSgprs: 18
; NumVgprs: 146
; ScratchSize: 0
; MemoryBound: 1
; FloatMode: 240
; IeeeMode: 1
; LDSByteSize: 0 bytes/workgroup (compile time only)
; SGPRBlocks: 2
; VGPRBlocks: 18
; NumSGPRsForWavesPerEU: 18
; NumVGPRsForWavesPerEU: 146
; Occupancy: 9
; WaveLimiterHint : 1
; COMPUTE_PGM_RSRC2:SCRATCH_EN: 0
; COMPUTE_PGM_RSRC2:USER_SGPR: 15
; COMPUTE_PGM_RSRC2:TRAP_HANDLER: 0
; COMPUTE_PGM_RSRC2:TGID_X_EN: 1
; COMPUTE_PGM_RSRC2:TGID_Y_EN: 0
; COMPUTE_PGM_RSRC2:TGID_Z_EN: 0
; COMPUTE_PGM_RSRC2:TIDIG_COMP_CNT: 0
	.section	.text._ZN9rocsparseL18bsrxmvn_4x4_kernelILj128ELj64EdlidddEEvT3_20rocsparse_direction_NS_24const_host_device_scalarIT1_EES1_PKS1_PKT2_SA_S7_PKT4_PKT5_S5_PT6_21rocsparse_index_base_b,"axG",@progbits,_ZN9rocsparseL18bsrxmvn_4x4_kernelILj128ELj64EdlidddEEvT3_20rocsparse_direction_NS_24const_host_device_scalarIT1_EES1_PKS1_PKT2_SA_S7_PKT4_PKT5_S5_PT6_21rocsparse_index_base_b,comdat
	.globl	_ZN9rocsparseL18bsrxmvn_4x4_kernelILj128ELj64EdlidddEEvT3_20rocsparse_direction_NS_24const_host_device_scalarIT1_EES1_PKS1_PKT2_SA_S7_PKT4_PKT5_S5_PT6_21rocsparse_index_base_b ; -- Begin function _ZN9rocsparseL18bsrxmvn_4x4_kernelILj128ELj64EdlidddEEvT3_20rocsparse_direction_NS_24const_host_device_scalarIT1_EES1_PKS1_PKT2_SA_S7_PKT4_PKT5_S5_PT6_21rocsparse_index_base_b
	.p2align	8
	.type	_ZN9rocsparseL18bsrxmvn_4x4_kernelILj128ELj64EdlidddEEvT3_20rocsparse_direction_NS_24const_host_device_scalarIT1_EES1_PKS1_PKT2_SA_S7_PKT4_PKT5_S5_PT6_21rocsparse_index_base_b,@function
_ZN9rocsparseL18bsrxmvn_4x4_kernelILj128ELj64EdlidddEEvT3_20rocsparse_direction_NS_24const_host_device_scalarIT1_EES1_PKS1_PKT2_SA_S7_PKT4_PKT5_S5_PT6_21rocsparse_index_base_b: ; @_ZN9rocsparseL18bsrxmvn_4x4_kernelILj128ELj64EdlidddEEvT3_20rocsparse_direction_NS_24const_host_device_scalarIT1_EES1_PKS1_PKT2_SA_S7_PKT4_PKT5_S5_PT6_21rocsparse_index_base_b
; %bb.0:
	s_clause 0x2
	s_load_b64 s[12:13], s[0:1], 0x58
	s_load_b64 s[4:5], s[0:1], 0x8
	;; [unrolled: 1-line block ×3, first 2 shown]
	s_waitcnt lgkmcnt(0)
	s_bitcmp1_b32 s13, 0
	v_dual_mov_b32 v2, s4 :: v_dual_mov_b32 v3, s5
	s_cselect_b32 s6, -1, 0
	s_delay_alu instid0(SALU_CYCLE_1)
	s_and_b32 vcc_lo, exec_lo, s6
	s_xor_b32 s6, s6, -1
	s_cbranch_vccnz .LBB29_2
; %bb.1:
	v_dual_mov_b32 v1, s4 :: v_dual_mov_b32 v2, s5
	flat_load_b64 v[2:3], v[1:2]
.LBB29_2:
	v_dual_mov_b32 v9, s3 :: v_dual_mov_b32 v8, s2
	s_and_not1_b32 vcc_lo, exec_lo, s6
	s_cbranch_vccnz .LBB29_4
; %bb.3:
	v_dual_mov_b32 v5, s3 :: v_dual_mov_b32 v4, s2
	flat_load_b64 v[8:9], v[4:5]
.LBB29_4:
	s_waitcnt vmcnt(0) lgkmcnt(0)
	v_cmp_neq_f64_e32 vcc_lo, 0, v[2:3]
	v_cmp_neq_f64_e64 s2, 1.0, v[8:9]
	s_delay_alu instid0(VALU_DEP_1) | instskip(NEXT) | instid1(SALU_CYCLE_1)
	s_or_b32 s2, vcc_lo, s2
	s_and_saveexec_b32 s3, s2
	s_cbranch_execz .LBB29_10
; %bb.5:
	s_clause 0x1
	s_load_b64 s[4:5], s[0:1], 0x18
	s_load_b64 s[2:3], s[0:1], 0x0
	v_lshrrev_b32_e32 v1, 6, v0
	s_delay_alu instid0(VALU_DEP_1)
	v_lshl_or_b32 v10, s15, 1, v1
	s_waitcnt lgkmcnt(0)
	s_cmp_lg_u64 s[4:5], 0
	s_cbranch_scc0 .LBB29_11
; %bb.6:
	s_load_b32 s6, s[0:1], 0x10
	s_mov_b32 s7, 0
                                        ; implicit-def: $vgpr1
	s_waitcnt lgkmcnt(0)
	v_cmp_gt_i32_e32 vcc_lo, s6, v10
	s_mov_b32 s6, 0
	s_and_saveexec_b32 s8, vcc_lo
	s_delay_alu instid0(SALU_CYCLE_1)
	s_xor_b32 s8, exec_lo, s8
	s_cbranch_execz .LBB29_8
; %bb.7:
	v_ashrrev_i32_e32 v11, 31, v10
	s_mov_b32 s6, exec_lo
	s_delay_alu instid0(VALU_DEP_1) | instskip(NEXT) | instid1(VALU_DEP_1)
	v_lshlrev_b64 v[4:5], 2, v[10:11]
	v_add_co_u32 v4, vcc_lo, s4, v4
	s_delay_alu instid0(VALU_DEP_2)
	v_add_co_ci_u32_e32 v5, vcc_lo, s5, v5, vcc_lo
	global_load_b32 v1, v[4:5], off
	s_waitcnt vmcnt(0)
	v_subrev_nc_u32_e32 v1, s12, v1
.LBB29_8:
	s_or_b32 exec_lo, exec_lo, s8
	s_delay_alu instid0(SALU_CYCLE_1)
	s_and_b32 vcc_lo, exec_lo, s7
	s_cbranch_vccz .LBB29_12
.LBB29_9:
	v_cmp_gt_i32_e32 vcc_lo, s2, v10
	s_and_not1_b32 s2, s6, exec_lo
	s_and_b32 s4, vcc_lo, exec_lo
	s_delay_alu instid0(SALU_CYCLE_1) | instskip(NEXT) | instid1(SALU_CYCLE_1)
	s_or_b32 s6, s2, s4
	s_and_b32 exec_lo, exec_lo, s6
	s_cbranch_execnz .LBB29_13
.LBB29_10:
	s_nop 0
	s_sendmsg sendmsg(MSG_DEALLOC_VGPRS)
	s_endpgm
.LBB29_11:
	s_mov_b32 s6, 0
                                        ; implicit-def: $vgpr1
	s_cbranch_execnz .LBB29_9
.LBB29_12:
	s_delay_alu instid0(VALU_DEP_1)
	v_mov_b32_e32 v10, v1
	s_and_b32 exec_lo, exec_lo, s6
	s_cbranch_execz .LBB29_10
.LBB29_13:
	s_load_b256 s[4:11], s[0:1], 0x20
	s_delay_alu instid0(VALU_DEP_1) | instskip(SKIP_1) | instid1(VALU_DEP_2)
	v_ashrrev_i32_e32 v11, 31, v10
	v_and_b32_e32 v31, 63, v0
	v_lshlrev_b64 v[4:5], 3, v[10:11]
	s_waitcnt lgkmcnt(0)
	s_delay_alu instid0(VALU_DEP_1) | instskip(NEXT) | instid1(VALU_DEP_2)
	v_add_co_u32 v6, vcc_lo, s4, v4
	v_add_co_ci_u32_e32 v7, vcc_lo, s5, v5, vcc_lo
	v_add_co_u32 v1, vcc_lo, s6, v4
	v_add_co_ci_u32_e32 v4, vcc_lo, s7, v5, vcc_lo
	s_delay_alu instid0(VALU_DEP_4)
	v_add_co_u32 v11, vcc_lo, v6, 8
	global_load_b64 v[19:20], v[6:7], off
	v_add_co_ci_u32_e32 v5, vcc_lo, 0, v7, vcc_lo
	s_cmp_eq_u64 s[6:7], 0
	s_load_b64 s[4:5], s[0:1], 0x40
	s_cselect_b32 vcc_lo, -1, 0
	s_cmp_eq_u32 s3, 1
	v_dual_cndmask_b32 v5, v4, v5 :: v_dual_cndmask_b32 v4, v1, v11
	global_load_b64 v[4:5], v[4:5], off
	s_waitcnt vmcnt(1)
	v_sub_co_u32 v0, vcc_lo, v19, s12
	v_subrev_co_ci_u32_e32 v1, vcc_lo, 0, v20, vcc_lo
	s_delay_alu instid0(VALU_DEP_2) | instskip(NEXT) | instid1(VALU_DEP_2)
	v_add_co_u32 v0, vcc_lo, v0, v31
	v_add_co_ci_u32_e32 v1, vcc_lo, 0, v1, vcc_lo
	s_delay_alu instid0(VALU_DEP_1) | instskip(SKIP_3) | instid1(VALU_DEP_3)
	v_lshlrev_b64 v[6:7], 7, v[0:1]
	s_waitcnt vmcnt(0)
	v_sub_co_u32 v4, vcc_lo, v4, s12
	v_subrev_co_ci_u32_e32 v5, vcc_lo, 0, v5, vcc_lo
	v_add_co_u32 v6, vcc_lo, s10, v6
	s_delay_alu instid0(VALU_DEP_2)
	v_cmp_lt_i64_e64 s2, v[0:1], v[4:5]
	v_add_co_ci_u32_e32 v7, vcc_lo, s11, v7, vcc_lo
	s_cbranch_scc1 .LBB29_25
; %bb.14:
	v_mov_b32_e32 v11, 0
	v_mov_b32_e32 v12, 0
	s_delay_alu instid0(VALU_DEP_1)
	v_dual_mov_b32 v14, v12 :: v_dual_mov_b32 v13, v11
	v_dual_mov_b32 v18, v12 :: v_dual_mov_b32 v17, v11
	;; [unrolled: 1-line block ×3, first 2 shown]
	s_and_saveexec_b32 s6, s2
	s_cbranch_execz .LBB29_24
; %bb.15:
	v_or_b32_e32 v11, 64, v31
	v_not_b32_e32 v14, v19
	v_not_b32_e32 v13, v20
	s_mov_b32 s10, 0
	s_mov_b32 s7, exec_lo
	v_sub_co_u32 v11, s3, v11, s12
	s_delay_alu instid0(VALU_DEP_1) | instskip(SKIP_1) | instid1(VALU_DEP_3)
	v_sub_co_ci_u32_e64 v12, null, 0, 0, s3
	v_sub_co_u32 v15, s3, s12, v31
	v_add_co_u32 v11, vcc_lo, v11, v19
	s_delay_alu instid0(VALU_DEP_3) | instskip(SKIP_2) | instid1(VALU_DEP_3)
	v_add_co_ci_u32_e32 v12, vcc_lo, v12, v20, vcc_lo
	v_sub_co_ci_u32_e64 v16, null, 0, 0, s3
	v_mov_b32_e32 v22, v1
	v_cmp_gt_i64_e32 vcc_lo, v[11:12], v[4:5]
	v_dual_mov_b32 v21, v0 :: v_dual_mov_b32 v24, v7
	v_dual_mov_b32 v23, v6 :: v_dual_cndmask_b32 v12, v5, v12
	v_cndmask_b32_e32 v11, v4, v11, vcc_lo
	v_add_co_u32 v14, vcc_lo, v15, v14
	v_add_co_ci_u32_e32 v13, vcc_lo, v16, v13, vcc_lo
	v_mov_b32_e32 v15, 0
	s_delay_alu instid0(VALU_DEP_3) | instskip(NEXT) | instid1(VALU_DEP_3)
	v_add_co_u32 v25, vcc_lo, v14, v11
	v_add_co_ci_u32_e32 v26, vcc_lo, v13, v12, vcc_lo
	v_mov_b32_e32 v16, 0
	s_delay_alu instid0(VALU_DEP_3) | instskip(NEXT) | instid1(VALU_DEP_2)
	v_lshrrev_b32_e32 v11, 6, v25
	v_dual_mov_b32 v13, v15 :: v_dual_mov_b32 v18, v16
	s_delay_alu instid0(VALU_DEP_2) | instskip(SKIP_1) | instid1(VALU_DEP_2)
	v_add_nc_u32_e32 v11, 1, v11
	v_dual_mov_b32 v17, v15 :: v_dual_mov_b32 v14, v16
	v_and_b32_e32 v27, 3, v11
	v_dual_mov_b32 v11, v15 :: v_dual_mov_b32 v12, v16
	s_delay_alu instid0(VALU_DEP_2)
	v_cmpx_ne_u32_e32 0, v27
	s_cbranch_execz .LBB29_19
; %bb.16:
	v_lshlrev_b64 v[13:14], 2, v[0:1]
	v_dual_mov_b32 v28, 0 :: v_dual_mov_b32 v11, 0
	v_dual_mov_b32 v12, 0 :: v_dual_lshlrev_b32 v27, 5, v27
	v_dual_mov_b32 v24, v7 :: v_dual_mov_b32 v23, v6
	s_delay_alu instid0(VALU_DEP_4)
	v_add_co_u32 v29, vcc_lo, s8, v13
	v_add_co_ci_u32_e32 v30, vcc_lo, s9, v14, vcc_lo
	v_dual_mov_b32 v22, v1 :: v_dual_mov_b32 v21, v0
	v_dual_mov_b32 v14, v12 :: v_dual_mov_b32 v13, v11
	;; [unrolled: 1-line block ×4, first 2 shown]
.LBB29_17:                              ; =>This Inner Loop Header: Depth=1
	global_load_b32 v60, v[29:30], off
	s_clause 0x6
	global_load_b128 v[32:35], v[23:24], off offset:48
	global_load_b128 v[36:39], v[23:24], off offset:32
	;; [unrolled: 1-line block ×3, first 2 shown]
	global_load_b128 v[44:47], v[23:24], off
	global_load_b128 v[48:51], v[23:24], off offset:112
	global_load_b128 v[52:55], v[23:24], off offset:96
	;; [unrolled: 1-line block ×3, first 2 shown]
	v_add_co_u32 v29, s3, 0x100, v29
	s_delay_alu instid0(VALU_DEP_1) | instskip(SKIP_2) | instid1(VALU_DEP_1)
	v_add_co_ci_u32_e64 v30, s3, 0, v30, s3
	s_waitcnt vmcnt(7)
	v_subrev_nc_u32_e32 v60, s12, v60
	v_lshlrev_b32_e32 v60, 2, v60
	s_delay_alu instid0(VALU_DEP_1) | instskip(NEXT) | instid1(VALU_DEP_1)
	v_ashrrev_i32_e32 v61, 31, v60
	v_lshlrev_b64 v[60:61], 3, v[60:61]
	s_waitcnt lgkmcnt(0)
	s_delay_alu instid0(VALU_DEP_1) | instskip(NEXT) | instid1(VALU_DEP_2)
	v_add_co_u32 v68, vcc_lo, s4, v60
	v_add_co_ci_u32_e32 v69, vcc_lo, s5, v61, vcc_lo
	global_load_b128 v[60:63], v[23:24], off offset:64
	s_clause 0x1
	global_load_b128 v[64:67], v[68:69], off
	global_load_b128 v[68:71], v[68:69], off offset:16
	v_add_co_u32 v23, vcc_lo, 0x2000, v23
	v_add_co_ci_u32_e32 v24, vcc_lo, 0, v24, vcc_lo
	v_add_co_u32 v27, vcc_lo, 0xffffffe0, v27
	v_add_co_ci_u32_e32 v28, vcc_lo, -1, v28, vcc_lo
	v_add_co_u32 v21, vcc_lo, v21, 64
	v_add_co_ci_u32_e32 v22, vcc_lo, 0, v22, vcc_lo
	s_delay_alu instid0(VALU_DEP_3)
	v_cmp_eq_u64_e32 vcc_lo, 0, v[27:28]
	s_or_b32 s10, vcc_lo, s10
	s_waitcnt vmcnt(1)
	v_fma_f64 v[15:16], v[44:45], v[64:65], v[15:16]
	v_fma_f64 v[17:18], v[36:37], v[64:65], v[17:18]
	;; [unrolled: 1-line block ×4, first 2 shown]
	s_delay_alu instid0(VALU_DEP_4) | instskip(NEXT) | instid1(VALU_DEP_4)
	v_fma_f64 v[15:16], v[46:47], v[66:67], v[15:16]
	v_fma_f64 v[17:18], v[38:39], v[66:67], v[17:18]
	s_delay_alu instid0(VALU_DEP_4) | instskip(NEXT) | instid1(VALU_DEP_4)
	v_fma_f64 v[13:14], v[62:63], v[66:67], v[13:14]
	v_fma_f64 v[11:12], v[54:55], v[66:67], v[11:12]
	s_waitcnt vmcnt(0)
	s_delay_alu instid0(VALU_DEP_4) | instskip(NEXT) | instid1(VALU_DEP_4)
	v_fma_f64 v[15:16], v[40:41], v[68:69], v[15:16]
	v_fma_f64 v[17:18], v[32:33], v[68:69], v[17:18]
	s_delay_alu instid0(VALU_DEP_4) | instskip(NEXT) | instid1(VALU_DEP_4)
	v_fma_f64 v[13:14], v[56:57], v[68:69], v[13:14]
	v_fma_f64 v[11:12], v[48:49], v[68:69], v[11:12]
	s_delay_alu instid0(VALU_DEP_4) | instskip(NEXT) | instid1(VALU_DEP_4)
	v_fma_f64 v[15:16], v[42:43], v[70:71], v[15:16]
	v_fma_f64 v[17:18], v[34:35], v[70:71], v[17:18]
	s_delay_alu instid0(VALU_DEP_4) | instskip(NEXT) | instid1(VALU_DEP_4)
	v_fma_f64 v[13:14], v[58:59], v[70:71], v[13:14]
	v_fma_f64 v[11:12], v[50:51], v[70:71], v[11:12]
	s_and_not1_b32 exec_lo, exec_lo, s10
	s_cbranch_execnz .LBB29_17
; %bb.18:
	s_or_b32 exec_lo, exec_lo, s10
.LBB29_19:
	s_delay_alu instid0(SALU_CYCLE_1) | instskip(NEXT) | instid1(SALU_CYCLE_1)
	s_or_b32 exec_lo, exec_lo, s7
	s_mov_b32 s7, exec_lo
	v_cmpx_lt_u64_e32 0xbf, v[25:26]
	s_cbranch_execz .LBB29_23
; %bb.20:
	v_lshlrev_b64 v[25:26], 2, v[21:22]
	s_mov_b32 s10, 0
	s_delay_alu instid0(VALU_DEP_1) | instskip(NEXT) | instid1(VALU_DEP_2)
	v_add_co_u32 v25, vcc_lo, v25, s8
	v_add_co_ci_u32_e32 v26, vcc_lo, s9, v26, vcc_lo
	s_delay_alu instid0(VALU_DEP_2) | instskip(NEXT) | instid1(VALU_DEP_2)
	v_add_co_u32 v25, vcc_lo, 0x200, v25
	v_add_co_ci_u32_e32 v26, vcc_lo, 0, v26, vcc_lo
.LBB29_21:                              ; =>This Inner Loop Header: Depth=1
	s_clause 0x2
	global_load_b32 v56, v[25:26], off offset:-512
	global_load_b32 v92, v[25:26], off offset:-256
	global_load_b32 v132, v[25:26], off
	s_clause 0x6
	global_load_b128 v[27:30], v[23:24], off offset:48
	global_load_b128 v[32:35], v[23:24], off offset:32
	;; [unrolled: 1-line block ×3, first 2 shown]
	global_load_b128 v[40:43], v[23:24], off
	global_load_b128 v[44:47], v[23:24], off offset:112
	global_load_b128 v[48:51], v[23:24], off offset:96
	;; [unrolled: 1-line block ×3, first 2 shown]
	global_load_b32 v144, v[25:26], off offset:256
	s_waitcnt vmcnt(10)
	v_subrev_nc_u32_e32 v56, s12, v56
	s_waitcnt vmcnt(9)
	v_subrev_nc_u32_e32 v92, s12, v92
	;; [unrolled: 2-line block ×3, first 2 shown]
	v_lshlrev_b32_e32 v56, 2, v56
	s_delay_alu instid0(VALU_DEP_3) | instskip(NEXT) | instid1(VALU_DEP_3)
	v_lshlrev_b32_e32 v92, 2, v92
	v_lshlrev_b32_e32 v132, 2, v132
	s_delay_alu instid0(VALU_DEP_3) | instskip(NEXT) | instid1(VALU_DEP_3)
	v_ashrrev_i32_e32 v57, 31, v56
	v_ashrrev_i32_e32 v93, 31, v92
	s_delay_alu instid0(VALU_DEP_3) | instskip(NEXT) | instid1(VALU_DEP_3)
	v_ashrrev_i32_e32 v133, 31, v132
	v_lshlrev_b64 v[56:57], 3, v[56:57]
	s_delay_alu instid0(VALU_DEP_3) | instskip(NEXT) | instid1(VALU_DEP_3)
	v_lshlrev_b64 v[92:93], 3, v[92:93]
	v_lshlrev_b64 v[132:133], 3, v[132:133]
	s_waitcnt lgkmcnt(0)
	s_delay_alu instid0(VALU_DEP_3) | instskip(NEXT) | instid1(VALU_DEP_4)
	v_add_co_u32 v64, vcc_lo, s4, v56
	v_add_co_ci_u32_e32 v65, vcc_lo, s5, v57, vcc_lo
	v_add_co_u32 v100, vcc_lo, 0x2000, v23
	global_load_b128 v[56:59], v[23:24], off offset:64
	s_clause 0x1
	global_load_b128 v[60:63], v[64:65], off
	global_load_b128 v[64:67], v[64:65], off offset:16
	v_add_co_ci_u32_e32 v101, vcc_lo, 0, v24, vcc_lo
	v_add_co_u32 v104, vcc_lo, s4, v92
	v_add_co_ci_u32_e32 v105, vcc_lo, s5, v93, vcc_lo
	s_clause 0x6
	global_load_b128 v[68:71], v[100:101], off offset:48
	global_load_b128 v[72:75], v[100:101], off offset:32
	;; [unrolled: 1-line block ×6, first 2 shown]
	global_load_b128 v[92:95], v[100:101], off
	global_load_b128 v[96:99], v[104:105], off
	global_load_b128 v[100:103], v[100:101], off offset:16
	global_load_b128 v[104:107], v[104:105], off offset:16
	v_add_co_u32 v140, vcc_lo, 0x4000, v23
	v_add_co_ci_u32_e32 v141, vcc_lo, 0, v24, vcc_lo
	v_add_co_u32 v142, vcc_lo, s4, v132
	v_add_co_ci_u32_e32 v143, vcc_lo, s5, v133, vcc_lo
	s_clause 0x6
	global_load_b128 v[108:111], v[140:141], off offset:48
	global_load_b128 v[112:115], v[140:141], off offset:32
	;; [unrolled: 1-line block ×6, first 2 shown]
	global_load_b128 v[132:135], v[140:141], off
	global_load_b128 v[136:139], v[142:143], off
	s_waitcnt vmcnt(19)
	v_fma_f64 v[15:16], v[40:41], v[60:61], v[15:16]
	v_fma_f64 v[17:18], v[32:33], v[60:61], v[17:18]
	;; [unrolled: 1-line block ×4, first 2 shown]
	s_delay_alu instid0(VALU_DEP_4) | instskip(NEXT) | instid1(VALU_DEP_4)
	v_fma_f64 v[32:33], v[42:43], v[62:63], v[15:16]
	v_fma_f64 v[34:35], v[34:35], v[62:63], v[17:18]
	s_delay_alu instid0(VALU_DEP_4) | instskip(NEXT) | instid1(VALU_DEP_4)
	v_fma_f64 v[40:41], v[58:59], v[62:63], v[13:14]
	v_fma_f64 v[42:43], v[50:51], v[62:63], v[11:12]
	global_load_b128 v[11:14], v[140:141], off offset:16
	global_load_b128 v[15:18], v[142:143], off offset:16
	v_subrev_nc_u32_e32 v140, s12, v144
	s_delay_alu instid0(VALU_DEP_1) | instskip(NEXT) | instid1(VALU_DEP_1)
	v_lshlrev_b32_e32 v140, 2, v140
	v_ashrrev_i32_e32 v141, 31, v140
	s_waitcnt vmcnt(20)
	v_fma_f64 v[36:37], v[36:37], v[64:65], v[32:33]
	v_fma_f64 v[27:28], v[27:28], v[64:65], v[34:35]
	;; [unrolled: 1-line block ×4, first 2 shown]
	v_add_co_u32 v64, vcc_lo, 0x6000, v23
	v_add_co_ci_u32_e32 v65, vcc_lo, 0, v24, vcc_lo
	s_clause 0x4
	global_load_b128 v[32:35], v[64:65], off
	global_load_b128 v[40:43], v[64:65], off offset:48
	global_load_b128 v[48:51], v[64:65], off offset:32
	;; [unrolled: 1-line block ×4, first 2 shown]
	v_add_co_u32 v23, s3, 0x8000, v23
	s_delay_alu instid0(VALU_DEP_1)
	v_add_co_ci_u32_e64 v24, s3, 0, v24, s3
	v_fma_f64 v[142:143], v[38:39], v[66:67], v[36:37]
	v_fma_f64 v[144:145], v[29:30], v[66:67], v[27:28]
	;; [unrolled: 1-line block ×4, first 2 shown]
	v_lshlrev_b64 v[27:28], 3, v[140:141]
	s_delay_alu instid0(VALU_DEP_1) | instskip(NEXT) | instid1(VALU_DEP_2)
	v_add_co_u32 v66, vcc_lo, s4, v27
	v_add_co_ci_u32_e32 v67, vcc_lo, s5, v28, vcc_lo
	global_load_b128 v[27:30], v[64:65], off offset:64
	global_load_b128 v[36:39], v[66:67], off
	v_add_co_u32 v21, vcc_lo, 0x100, v21
	v_add_co_ci_u32_e32 v22, vcc_lo, 0, v22, vcc_lo
	v_add_co_u32 v25, vcc_lo, 0x400, v25
	v_add_co_ci_u32_e32 v26, vcc_lo, 0, v26, vcc_lo
	s_delay_alu instid0(VALU_DEP_3)
	v_cmp_ge_i64_e32 vcc_lo, v[21:22], v[4:5]
	s_or_b32 s10, vcc_lo, s10
	s_waitcnt vmcnt(19)
	v_fma_f64 v[46:47], v[92:93], v[96:97], v[142:143]
	v_fma_f64 v[54:55], v[72:73], v[96:97], v[144:145]
	;; [unrolled: 1-line block ×4, first 2 shown]
	s_delay_alu instid0(VALU_DEP_4) | instskip(NEXT) | instid1(VALU_DEP_4)
	v_fma_f64 v[72:73], v[94:95], v[98:99], v[46:47]
	v_fma_f64 v[74:75], v[74:75], v[98:99], v[54:55]
	s_delay_alu instid0(VALU_DEP_4) | instskip(NEXT) | instid1(VALU_DEP_4)
	v_fma_f64 v[80:81], v[90:91], v[98:99], v[52:53]
	v_fma_f64 v[82:83], v[82:83], v[98:99], v[44:45]
	s_clause 0x1
	global_load_b128 v[44:47], v[64:65], off offset:80
	global_load_b128 v[52:55], v[64:65], off offset:16
	;; [unrolled: 1-line block ×3, first 2 shown]
	s_waitcnt vmcnt(20)
	v_fma_f64 v[72:73], v[100:101], v[104:105], v[72:73]
	v_fma_f64 v[68:69], v[68:69], v[104:105], v[74:75]
	;; [unrolled: 1-line block ×4, first 2 shown]
	s_delay_alu instid0(VALU_DEP_4) | instskip(NEXT) | instid1(VALU_DEP_4)
	v_fma_f64 v[72:73], v[102:103], v[106:107], v[72:73]
	v_fma_f64 v[68:69], v[70:71], v[106:107], v[68:69]
	s_delay_alu instid0(VALU_DEP_4) | instskip(NEXT) | instid1(VALU_DEP_4)
	v_fma_f64 v[70:71], v[86:87], v[106:107], v[74:75]
	v_fma_f64 v[74:75], v[78:79], v[106:107], v[76:77]
	s_waitcnt vmcnt(12)
	s_delay_alu instid0(VALU_DEP_4) | instskip(NEXT) | instid1(VALU_DEP_4)
	v_fma_f64 v[72:73], v[132:133], v[136:137], v[72:73]
	v_fma_f64 v[68:69], v[112:113], v[136:137], v[68:69]
	s_delay_alu instid0(VALU_DEP_4) | instskip(NEXT) | instid1(VALU_DEP_4)
	v_fma_f64 v[70:71], v[128:129], v[136:137], v[70:71]
	v_fma_f64 v[74:75], v[120:121], v[136:137], v[74:75]
	s_delay_alu instid0(VALU_DEP_4) | instskip(NEXT) | instid1(VALU_DEP_4)
	v_fma_f64 v[72:73], v[134:135], v[138:139], v[72:73]
	v_fma_f64 v[68:69], v[114:115], v[138:139], v[68:69]
	s_delay_alu instid0(VALU_DEP_4) | instskip(NEXT) | instid1(VALU_DEP_4)
	v_fma_f64 v[70:71], v[130:131], v[138:139], v[70:71]
	v_fma_f64 v[74:75], v[122:123], v[138:139], v[74:75]
	s_waitcnt vmcnt(10)
	s_delay_alu instid0(VALU_DEP_4) | instskip(NEXT) | instid1(VALU_DEP_4)
	v_fma_f64 v[11:12], v[11:12], v[15:16], v[72:73]
	v_fma_f64 v[68:69], v[108:109], v[15:16], v[68:69]
	s_delay_alu instid0(VALU_DEP_4) | instskip(NEXT) | instid1(VALU_DEP_4)
	v_fma_f64 v[70:71], v[124:125], v[15:16], v[70:71]
	v_fma_f64 v[15:16], v[116:117], v[15:16], v[74:75]
	;; [unrolled: 13-line block ×4, first 2 shown]
	s_delay_alu instid0(VALU_DEP_4) | instskip(NEXT) | instid1(VALU_DEP_4)
	v_fma_f64 v[15:16], v[54:55], v[66:67], v[11:12]
	v_fma_f64 v[17:18], v[42:43], v[66:67], v[13:14]
	s_delay_alu instid0(VALU_DEP_4) | instskip(NEXT) | instid1(VALU_DEP_4)
	v_fma_f64 v[13:14], v[46:47], v[66:67], v[27:28]
	v_fma_f64 v[11:12], v[58:59], v[66:67], v[29:30]
	s_and_not1_b32 exec_lo, exec_lo, s10
	s_cbranch_execnz .LBB29_21
; %bb.22:
	s_or_b32 exec_lo, exec_lo, s10
.LBB29_23:
	s_delay_alu instid0(SALU_CYCLE_1)
	s_or_b32 exec_lo, exec_lo, s7
.LBB29_24:
	s_delay_alu instid0(SALU_CYCLE_1)
	s_or_b32 exec_lo, exec_lo, s6
	s_cbranch_execz .LBB29_26
	s_branch .LBB29_37
.LBB29_25:
                                        ; implicit-def: $vgpr11_vgpr12
                                        ; implicit-def: $vgpr13_vgpr14
                                        ; implicit-def: $vgpr17_vgpr18
                                        ; implicit-def: $vgpr15_vgpr16
.LBB29_26:
	v_mov_b32_e32 v11, 0
	v_mov_b32_e32 v12, 0
	s_delay_alu instid0(VALU_DEP_1)
	v_dual_mov_b32 v14, v12 :: v_dual_mov_b32 v13, v11
	v_dual_mov_b32 v18, v12 :: v_dual_mov_b32 v17, v11
	;; [unrolled: 1-line block ×3, first 2 shown]
	s_and_saveexec_b32 s3, s2
	s_cbranch_execz .LBB29_36
; %bb.27:
	v_or_b32_e32 v11, 64, v31
	v_not_b32_e32 v14, v19
	v_not_b32_e32 v13, v20
	s_mov_b32 s7, 0
	s_mov_b32 s6, exec_lo
	v_sub_co_u32 v11, s2, v11, s12
	s_delay_alu instid0(VALU_DEP_1) | instskip(SKIP_1) | instid1(VALU_DEP_3)
	v_sub_co_ci_u32_e64 v12, null, 0, 0, s2
	v_sub_co_u32 v15, s2, s12, v31
	v_add_co_u32 v11, vcc_lo, v11, v19
	s_delay_alu instid0(VALU_DEP_3) | instskip(SKIP_1) | instid1(VALU_DEP_2)
	v_add_co_ci_u32_e32 v12, vcc_lo, v12, v20, vcc_lo
	v_sub_co_ci_u32_e64 v16, null, 0, 0, s2
	v_cmp_gt_i64_e32 vcc_lo, v[11:12], v[4:5]
	v_dual_cndmask_b32 v12, v5, v12 :: v_dual_cndmask_b32 v11, v4, v11
	v_add_co_u32 v14, vcc_lo, v15, v14
	s_delay_alu instid0(VALU_DEP_4) | instskip(SKIP_1) | instid1(VALU_DEP_3)
	v_add_co_ci_u32_e32 v13, vcc_lo, v16, v13, vcc_lo
	v_mov_b32_e32 v15, 0
	v_add_co_u32 v19, vcc_lo, v14, v11
	s_delay_alu instid0(VALU_DEP_3) | instskip(SKIP_1) | instid1(VALU_DEP_3)
	v_add_co_ci_u32_e32 v20, vcc_lo, v13, v12, vcc_lo
	v_mov_b32_e32 v16, 0
	v_lshrrev_b32_e32 v11, 6, v19
	s_delay_alu instid0(VALU_DEP_2) | instskip(NEXT) | instid1(VALU_DEP_2)
	v_dual_mov_b32 v13, v15 :: v_dual_mov_b32 v18, v16
	v_add_nc_u32_e32 v11, 1, v11
	v_dual_mov_b32 v17, v15 :: v_dual_mov_b32 v14, v16
	s_delay_alu instid0(VALU_DEP_2) | instskip(SKIP_1) | instid1(VALU_DEP_2)
	v_and_b32_e32 v21, 3, v11
	v_dual_mov_b32 v11, v15 :: v_dual_mov_b32 v12, v16
	v_cmpx_ne_u32_e32 0, v21
	s_cbranch_execz .LBB29_31
; %bb.28:
	v_lshlrev_b64 v[13:14], 2, v[0:1]
	v_dual_mov_b32 v22, 0 :: v_dual_mov_b32 v11, 0
	v_dual_mov_b32 v12, 0 :: v_dual_lshlrev_b32 v21, 5, v21
	s_delay_alu instid0(VALU_DEP_3) | instskip(NEXT) | instid1(VALU_DEP_4)
	v_add_co_u32 v23, vcc_lo, s8, v13
	v_add_co_ci_u32_e32 v24, vcc_lo, s9, v14, vcc_lo
	s_delay_alu instid0(VALU_DEP_3)
	v_dual_mov_b32 v14, v12 :: v_dual_mov_b32 v13, v11
	v_dual_mov_b32 v18, v12 :: v_dual_mov_b32 v17, v11
	;; [unrolled: 1-line block ×3, first 2 shown]
.LBB29_29:                              ; =>This Inner Loop Header: Depth=1
	global_load_b32 v29, v[23:24], off
	global_load_b128 v[25:28], v[6:7], off offset:16
	v_add_co_u32 v23, s2, 0x100, v23
	s_delay_alu instid0(VALU_DEP_1) | instskip(SKIP_2) | instid1(VALU_DEP_1)
	v_add_co_ci_u32_e64 v24, s2, 0, v24, s2
	s_waitcnt vmcnt(1)
	v_subrev_nc_u32_e32 v29, s12, v29
	v_lshlrev_b32_e32 v29, 2, v29
	s_delay_alu instid0(VALU_DEP_1) | instskip(NEXT) | instid1(VALU_DEP_1)
	v_ashrrev_i32_e32 v30, 31, v29
	v_lshlrev_b64 v[29:30], 3, v[29:30]
	s_waitcnt lgkmcnt(0)
	s_delay_alu instid0(VALU_DEP_1) | instskip(NEXT) | instid1(VALU_DEP_2)
	v_add_co_u32 v29, vcc_lo, s4, v29
	v_add_co_ci_u32_e32 v30, vcc_lo, s5, v30, vcc_lo
	global_load_b128 v[32:35], v[6:7], off
	s_clause 0x1
	global_load_b128 v[36:39], v[29:30], off
	global_load_b128 v[40:43], v[29:30], off offset:16
	s_clause 0x5
	global_load_b128 v[44:47], v[6:7], off offset:32
	global_load_b128 v[48:51], v[6:7], off offset:48
	;; [unrolled: 1-line block ×6, first 2 shown]
	v_add_co_u32 v6, vcc_lo, 0x2000, v6
	v_add_co_ci_u32_e32 v7, vcc_lo, 0, v7, vcc_lo
	v_add_co_u32 v21, vcc_lo, 0xffffffe0, v21
	v_add_co_ci_u32_e32 v22, vcc_lo, -1, v22, vcc_lo
	v_add_co_u32 v0, vcc_lo, v0, 64
	v_add_co_ci_u32_e32 v1, vcc_lo, 0, v1, vcc_lo
	s_delay_alu instid0(VALU_DEP_3)
	v_cmp_eq_u64_e32 vcc_lo, 0, v[21:22]
	s_or_b32 s7, vcc_lo, s7
	s_waitcnt vmcnt(7)
	v_fma_f64 v[15:16], v[32:33], v[36:37], v[15:16]
	v_fma_f64 v[17:18], v[34:35], v[36:37], v[17:18]
	;; [unrolled: 1-line block ×4, first 2 shown]
	s_waitcnt vmcnt(5)
	s_delay_alu instid0(VALU_DEP_4) | instskip(NEXT) | instid1(VALU_DEP_4)
	v_fma_f64 v[15:16], v[44:45], v[38:39], v[15:16]
	v_fma_f64 v[17:18], v[46:47], v[38:39], v[17:18]
	s_waitcnt vmcnt(4)
	s_delay_alu instid0(VALU_DEP_4) | instskip(NEXT) | instid1(VALU_DEP_4)
	v_fma_f64 v[13:14], v[48:49], v[38:39], v[13:14]
	v_fma_f64 v[11:12], v[50:51], v[38:39], v[11:12]
	;; [unrolled: 4-line block ×6, first 2 shown]
	s_and_not1_b32 exec_lo, exec_lo, s7
	s_cbranch_execnz .LBB29_29
; %bb.30:
	s_or_b32 exec_lo, exec_lo, s7
.LBB29_31:
	s_delay_alu instid0(SALU_CYCLE_1) | instskip(NEXT) | instid1(SALU_CYCLE_1)
	s_or_b32 exec_lo, exec_lo, s6
	s_mov_b32 s6, exec_lo
	v_cmpx_lt_u64_e32 0xbf, v[19:20]
	s_cbranch_execz .LBB29_35
; %bb.32:
	v_lshlrev_b64 v[19:20], 2, v[0:1]
	s_mov_b32 s7, 0
	s_delay_alu instid0(VALU_DEP_1) | instskip(NEXT) | instid1(VALU_DEP_2)
	v_add_co_u32 v19, vcc_lo, v19, s8
	v_add_co_ci_u32_e32 v20, vcc_lo, s9, v20, vcc_lo
	s_delay_alu instid0(VALU_DEP_2) | instskip(NEXT) | instid1(VALU_DEP_2)
	v_add_co_u32 v19, vcc_lo, 0x200, v19
	v_add_co_ci_u32_e32 v20, vcc_lo, 0, v20, vcc_lo
.LBB29_33:                              ; =>This Inner Loop Header: Depth=1
	s_clause 0x2
	global_load_b32 v25, v[19:20], off offset:-512
	global_load_b32 v68, v[19:20], off offset:-256
	global_load_b32 v108, v[19:20], off
	global_load_b128 v[21:24], v[6:7], off offset:16
	global_load_b32 v122, v[19:20], off offset:256
	s_waitcnt vmcnt(4)
	v_subrev_nc_u32_e32 v25, s12, v25
	s_waitcnt vmcnt(3)
	v_subrev_nc_u32_e32 v68, s12, v68
	s_delay_alu instid0(VALU_DEP_2) | instskip(NEXT) | instid1(VALU_DEP_2)
	v_lshlrev_b32_e32 v25, 2, v25
	v_lshlrev_b32_e32 v68, 2, v68
	s_delay_alu instid0(VALU_DEP_2) | instskip(NEXT) | instid1(VALU_DEP_2)
	v_ashrrev_i32_e32 v26, 31, v25
	v_ashrrev_i32_e32 v69, 31, v68
	s_delay_alu instid0(VALU_DEP_2) | instskip(NEXT) | instid1(VALU_DEP_2)
	v_lshlrev_b64 v[25:26], 3, v[25:26]
	v_lshlrev_b64 v[68:69], 3, v[68:69]
	s_waitcnt lgkmcnt(0)
	s_delay_alu instid0(VALU_DEP_2) | instskip(NEXT) | instid1(VALU_DEP_3)
	v_add_co_u32 v29, vcc_lo, s4, v25
	v_add_co_ci_u32_e32 v30, vcc_lo, s5, v26, vcc_lo
	global_load_b128 v[25:28], v[6:7], off
	global_load_b128 v[32:35], v[29:30], off
	s_clause 0x3
	global_load_b128 v[36:39], v[6:7], off offset:32
	global_load_b128 v[40:43], v[6:7], off offset:48
	;; [unrolled: 1-line block ×5, first 2 shown]
	s_clause 0x1
	global_load_b128 v[56:59], v[6:7], off offset:112
	global_load_b128 v[60:63], v[6:7], off offset:96
	v_add_co_u32 v29, vcc_lo, 0x2000, v6
	v_add_co_ci_u32_e32 v30, vcc_lo, 0, v7, vcc_lo
	v_add_co_u32 v92, vcc_lo, s4, v68
	v_add_co_ci_u32_e32 v93, vcc_lo, s5, v69, vcc_lo
	s_clause 0x1
	global_load_b128 v[64:67], v[29:30], off
	global_load_b128 v[68:71], v[29:30], off offset:16
	global_load_b128 v[72:75], v[92:93], off
	s_clause 0x3
	global_load_b128 v[76:79], v[29:30], off offset:32
	global_load_b128 v[80:83], v[29:30], off offset:48
	;; [unrolled: 1-line block ×5, first 2 shown]
	s_clause 0x1
	global_load_b128 v[96:99], v[29:30], off offset:96
	global_load_b128 v[100:103], v[29:30], off offset:112
	s_waitcnt vmcnt(21)
	v_subrev_nc_u32_e32 v29, s12, v108
	v_add_co_u32 v116, vcc_lo, 0x4000, v6
	v_add_co_ci_u32_e32 v117, vcc_lo, 0, v7, vcc_lo
	s_delay_alu instid0(VALU_DEP_3) | instskip(SKIP_2) | instid1(VALU_DEP_1)
	v_lshlrev_b32_e32 v29, 2, v29
	global_load_b128 v[104:107], v[116:117], off
	v_ashrrev_i32_e32 v30, 31, v29
	v_lshlrev_b64 v[29:30], 3, v[29:30]
	s_delay_alu instid0(VALU_DEP_1) | instskip(NEXT) | instid1(VALU_DEP_2)
	v_add_co_u32 v29, vcc_lo, s4, v29
	v_add_co_ci_u32_e32 v30, vcc_lo, s5, v30, vcc_lo
	global_load_b128 v[108:111], v[116:117], off offset:16
	global_load_b128 v[112:115], v[29:30], off
	v_add_co_u32 v120, vcc_lo, 0x6000, v6
	v_add_co_ci_u32_e32 v121, vcc_lo, 0, v7, vcc_lo
	v_add_co_u32 v6, s2, 0x8000, v6
	s_delay_alu instid0(VALU_DEP_1)
	v_add_co_ci_u32_e64 v7, s2, 0, v7, s2
	s_waitcnt vmcnt(20)
	v_fma_f64 v[25:26], v[25:26], v[32:33], v[15:16]
	v_fma_f64 v[27:28], v[27:28], v[32:33], v[17:18]
	;; [unrolled: 1-line block ×4, first 2 shown]
	s_clause 0x1
	global_load_b128 v[11:14], v[116:117], off offset:32
	global_load_b128 v[15:18], v[116:117], off offset:48
	s_waitcnt vmcnt(21)
	v_fma_f64 v[36:37], v[36:37], v[34:35], v[25:26]
	v_fma_f64 v[38:39], v[38:39], v[34:35], v[27:28]
	s_waitcnt vmcnt(20)
	v_fma_f64 v[40:41], v[40:41], v[34:35], v[21:22]
	v_fma_f64 v[42:43], v[42:43], v[34:35], v[23:24]
	s_clause 0x1
	global_load_b128 v[21:24], v[116:117], off offset:64
	global_load_b128 v[25:28], v[116:117], off offset:80
	;; [unrolled: 1-line block ×3, first 2 shown]
	s_waitcnt vmcnt(20)
	v_fma_f64 v[29:30], v[44:45], v[52:53], v[36:37]
	v_fma_f64 v[118:119], v[46:47], v[52:53], v[38:39]
	;; [unrolled: 1-line block ×4, first 2 shown]
	s_clause 0x1
	global_load_b128 v[36:39], v[116:117], off offset:96
	global_load_b128 v[40:43], v[116:117], off offset:112
	v_subrev_nc_u32_e32 v52, s12, v122
	global_load_b128 v[44:47], v[120:121], off
	v_lshlrev_b32_e32 v52, 2, v52
	s_delay_alu instid0(VALU_DEP_1)
	v_ashrrev_i32_e32 v53, 31, v52
	s_waitcnt vmcnt(21)
	v_fma_f64 v[29:30], v[60:61], v[54:55], v[29:30]
	v_fma_f64 v[60:61], v[62:63], v[54:55], v[118:119]
	;; [unrolled: 1-line block ×4, first 2 shown]
	v_lshlrev_b64 v[48:49], 3, v[52:53]
	s_delay_alu instid0(VALU_DEP_1) | instskip(NEXT) | instid1(VALU_DEP_2)
	v_add_co_u32 v116, vcc_lo, s4, v48
	v_add_co_ci_u32_e32 v117, vcc_lo, s5, v49, vcc_lo
	global_load_b128 v[48:51], v[120:121], off offset:16
	global_load_b128 v[52:55], v[116:117], off
	v_add_co_u32 v0, vcc_lo, 0x100, v0
	v_add_co_ci_u32_e32 v1, vcc_lo, 0, v1, vcc_lo
	v_add_co_u32 v19, vcc_lo, 0x400, v19
	v_add_co_ci_u32_e32 v20, vcc_lo, 0, v20, vcc_lo
	s_delay_alu instid0(VALU_DEP_3)
	v_cmp_ge_i64_e32 vcc_lo, v[0:1], v[4:5]
	s_or_b32 s7, vcc_lo, s7
	s_waitcnt vmcnt(20)
	v_fma_f64 v[29:30], v[64:65], v[72:73], v[29:30]
	v_fma_f64 v[64:65], v[66:67], v[72:73], v[60:61]
	;; [unrolled: 1-line block ×4, first 2 shown]
	s_clause 0x1
	global_load_b128 v[56:59], v[120:121], off offset:32
	global_load_b128 v[60:63], v[120:121], off offset:48
	s_waitcnt vmcnt(21)
	v_fma_f64 v[29:30], v[76:77], v[74:75], v[29:30]
	v_fma_f64 v[76:77], v[78:79], v[74:75], v[64:65]
	s_waitcnt vmcnt(20)
	v_fma_f64 v[78:79], v[80:81], v[74:75], v[66:67]
	v_fma_f64 v[80:81], v[82:83], v[74:75], v[68:69]
	s_clause 0x1
	global_load_b128 v[64:67], v[120:121], off offset:64
	global_load_b128 v[68:71], v[120:121], off offset:80
	;; [unrolled: 1-line block ×3, first 2 shown]
	s_waitcnt vmcnt(20)
	v_fma_f64 v[29:30], v[84:85], v[92:93], v[29:30]
	v_fma_f64 v[84:85], v[86:87], v[92:93], v[76:77]
	;; [unrolled: 1-line block ×4, first 2 shown]
	s_clause 0x1
	global_load_b128 v[76:79], v[120:121], off offset:96
	global_load_b128 v[80:83], v[120:121], off offset:112
	s_waitcnt vmcnt(21)
	v_fma_f64 v[29:30], v[96:97], v[94:95], v[29:30]
	v_fma_f64 v[84:85], v[98:99], v[94:95], v[84:85]
	s_waitcnt vmcnt(20)
	v_fma_f64 v[86:87], v[100:101], v[94:95], v[86:87]
	v_fma_f64 v[88:89], v[102:103], v[94:95], v[88:89]
	s_waitcnt vmcnt(17)
	s_delay_alu instid0(VALU_DEP_4) | instskip(NEXT) | instid1(VALU_DEP_4)
	v_fma_f64 v[29:30], v[104:105], v[112:113], v[29:30]
	v_fma_f64 v[84:85], v[106:107], v[112:113], v[84:85]
	s_delay_alu instid0(VALU_DEP_4) | instskip(NEXT) | instid1(VALU_DEP_4)
	v_fma_f64 v[86:87], v[108:109], v[112:113], v[86:87]
	v_fma_f64 v[88:89], v[110:111], v[112:113], v[88:89]
	s_waitcnt vmcnt(16)
	s_delay_alu instid0(VALU_DEP_4) | instskip(NEXT) | instid1(VALU_DEP_4)
	v_fma_f64 v[11:12], v[11:12], v[114:115], v[29:30]
	v_fma_f64 v[13:14], v[13:14], v[114:115], v[84:85]
	s_waitcnt vmcnt(15)
	s_delay_alu instid0(VALU_DEP_4) | instskip(NEXT) | instid1(VALU_DEP_4)
	v_fma_f64 v[15:16], v[15:16], v[114:115], v[86:87]
	v_fma_f64 v[17:18], v[17:18], v[114:115], v[88:89]
	s_waitcnt vmcnt(12)
	s_delay_alu instid0(VALU_DEP_4) | instskip(NEXT) | instid1(VALU_DEP_4)
	v_fma_f64 v[11:12], v[21:22], v[32:33], v[11:12]
	v_fma_f64 v[13:14], v[23:24], v[32:33], v[13:14]
	s_delay_alu instid0(VALU_DEP_4) | instskip(NEXT) | instid1(VALU_DEP_4)
	v_fma_f64 v[15:16], v[25:26], v[32:33], v[15:16]
	v_fma_f64 v[17:18], v[27:28], v[32:33], v[17:18]
	s_waitcnt vmcnt(11)
	s_delay_alu instid0(VALU_DEP_4) | instskip(NEXT) | instid1(VALU_DEP_4)
	v_fma_f64 v[11:12], v[36:37], v[34:35], v[11:12]
	v_fma_f64 v[13:14], v[38:39], v[34:35], v[13:14]
	s_waitcnt vmcnt(10)
	s_delay_alu instid0(VALU_DEP_4) | instskip(NEXT) | instid1(VALU_DEP_4)
	;; [unrolled: 15-line block ×4, first 2 shown]
	v_fma_f64 v[13:14], v[80:81], v[74:75], v[21:22]
	v_fma_f64 v[11:12], v[82:83], v[74:75], v[23:24]
	s_and_not1_b32 exec_lo, exec_lo, s7
	s_cbranch_execnz .LBB29_33
; %bb.34:
	s_or_b32 exec_lo, exec_lo, s7
.LBB29_35:
	s_delay_alu instid0(SALU_CYCLE_1)
	s_or_b32 exec_lo, exec_lo, s6
.LBB29_36:
	s_delay_alu instid0(SALU_CYCLE_1)
	s_or_b32 exec_lo, exec_lo, s3
.LBB29_37:
	v_mbcnt_lo_u32_b32 v23, -1, 0
	s_delay_alu instid0(VALU_DEP_1) | instskip(NEXT) | instid1(VALU_DEP_1)
	v_or_b32_e32 v0, 32, v23
	v_cmp_gt_i32_e32 vcc_lo, 32, v0
	v_cndmask_b32_e32 v0, v23, v0, vcc_lo
	s_delay_alu instid0(VALU_DEP_1)
	v_lshlrev_b32_e32 v20, 2, v0
	ds_bpermute_b32 v6, v20, v13
	ds_bpermute_b32 v7, v20, v14
	s_waitcnt lgkmcnt(0)
	v_add_f64 v[6:7], v[13:14], v[6:7]
	v_xor_b32_e32 v13, 16, v23
	s_delay_alu instid0(VALU_DEP_1)
	v_cmp_gt_i32_e32 vcc_lo, 32, v13
	v_cndmask_b32_e32 v13, v23, v13, vcc_lo
	ds_bpermute_b32 v0, v20, v15
	ds_bpermute_b32 v1, v20, v16
	;; [unrolled: 1-line block ×6, first 2 shown]
	s_waitcnt lgkmcnt(4)
	v_add_f64 v[0:1], v[15:16], v[0:1]
	s_waitcnt lgkmcnt(2)
	v_add_f64 v[4:5], v[17:18], v[4:5]
	;; [unrolled: 2-line block ×3, first 2 shown]
	v_lshlrev_b32_e32 v20, 2, v13
	ds_bpermute_b32 v17, v20, v6
	ds_bpermute_b32 v18, v20, v7
	s_waitcnt lgkmcnt(0)
	v_add_f64 v[6:7], v[6:7], v[17:18]
	ds_bpermute_b32 v13, v20, v0
	ds_bpermute_b32 v14, v20, v1
	;; [unrolled: 1-line block ×6, first 2 shown]
	s_waitcnt lgkmcnt(4)
	v_add_f64 v[0:1], v[0:1], v[13:14]
	v_xor_b32_e32 v13, 8, v23
	s_waitcnt lgkmcnt(2)
	v_add_f64 v[4:5], v[4:5], v[15:16]
	s_waitcnt lgkmcnt(0)
	v_add_f64 v[11:12], v[11:12], v[19:20]
	v_cmp_gt_i32_e32 vcc_lo, 32, v13
	v_cndmask_b32_e32 v13, v23, v13, vcc_lo
	s_delay_alu instid0(VALU_DEP_1)
	v_lshlrev_b32_e32 v20, 2, v13
	ds_bpermute_b32 v17, v20, v6
	ds_bpermute_b32 v18, v20, v7
	;; [unrolled: 1-line block ×8, first 2 shown]
	s_waitcnt lgkmcnt(6)
	v_add_f64 v[6:7], v[6:7], v[17:18]
	s_waitcnt lgkmcnt(4)
	v_add_f64 v[0:1], v[0:1], v[13:14]
	v_xor_b32_e32 v13, 4, v23
	s_waitcnt lgkmcnt(2)
	v_add_f64 v[4:5], v[4:5], v[15:16]
	s_waitcnt lgkmcnt(0)
	v_add_f64 v[11:12], v[11:12], v[19:20]
	v_cmp_gt_i32_e32 vcc_lo, 32, v13
	v_cndmask_b32_e32 v13, v23, v13, vcc_lo
	s_delay_alu instid0(VALU_DEP_1)
	v_lshlrev_b32_e32 v20, 2, v13
	ds_bpermute_b32 v17, v20, v6
	ds_bpermute_b32 v18, v20, v7
	ds_bpermute_b32 v13, v20, v0
	ds_bpermute_b32 v14, v20, v1
	ds_bpermute_b32 v15, v20, v4
	ds_bpermute_b32 v16, v20, v5
	ds_bpermute_b32 v19, v20, v11
	ds_bpermute_b32 v20, v20, v12
	s_waitcnt lgkmcnt(4)
	v_add_f64 v[0:1], v[0:1], v[13:14]
	v_add_f64 v[13:14], v[6:7], v[17:18]
	s_waitcnt lgkmcnt(2)
	v_add_f64 v[4:5], v[4:5], v[15:16]
	v_xor_b32_e32 v6, 2, v23
	s_waitcnt lgkmcnt(0)
	v_add_f64 v[15:16], v[11:12], v[19:20]
	s_delay_alu instid0(VALU_DEP_2) | instskip(SKIP_1) | instid1(VALU_DEP_1)
	v_cmp_gt_i32_e32 vcc_lo, 32, v6
	v_cndmask_b32_e32 v6, v23, v6, vcc_lo
	v_lshlrev_b32_e32 v11, 2, v6
	ds_bpermute_b32 v6, v11, v0
	ds_bpermute_b32 v7, v11, v1
	;; [unrolled: 1-line block ×8, first 2 shown]
	s_waitcnt lgkmcnt(6)
	v_add_f64 v[11:12], v[0:1], v[6:7]
	s_waitcnt lgkmcnt(4)
	v_add_f64 v[6:7], v[4:5], v[17:18]
	;; [unrolled: 2-line block ×3, first 2 shown]
	v_xor_b32_e32 v13, 1, v23
	s_waitcnt lgkmcnt(0)
	v_add_f64 v[4:5], v[15:16], v[21:22]
	s_delay_alu instid0(VALU_DEP_2) | instskip(SKIP_2) | instid1(VALU_DEP_2)
	v_cmp_gt_i32_e32 vcc_lo, 32, v13
	v_cndmask_b32_e32 v13, v23, v13, vcc_lo
	v_cmp_eq_u32_e32 vcc_lo, 63, v31
	v_lshlrev_b32_e32 v14, 2, v13
	ds_bpermute_b32 v19, v14, v11
	ds_bpermute_b32 v20, v14, v12
	;; [unrolled: 1-line block ×8, first 2 shown]
	s_and_b32 exec_lo, exec_lo, vcc_lo
	s_cbranch_execz .LBB29_10
; %bb.38:
	s_waitcnt lgkmcnt(6)
	v_add_f64 v[11:12], v[11:12], v[19:20]
	s_waitcnt lgkmcnt(4)
	v_add_f64 v[6:7], v[6:7], v[17:18]
	;; [unrolled: 2-line block ×4, first 2 shown]
	s_load_b64 s[0:1], s[0:1], 0x50
	v_lshlrev_b32_e32 v10, 2, v10
	s_mov_b32 s2, exec_lo
	v_mul_f64 v[4:5], v[2:3], v[11:12]
	v_mul_f64 v[6:7], v[2:3], v[6:7]
	;; [unrolled: 1-line block ×4, first 2 shown]
	v_cmpx_eq_f64_e32 0, v[8:9]
	s_xor_b32 s2, exec_lo, s2
	s_cbranch_execz .LBB29_40
; %bb.39:
	v_ashrrev_i32_e32 v11, 31, v10
	s_delay_alu instid0(VALU_DEP_1) | instskip(SKIP_1) | instid1(VALU_DEP_1)
	v_lshlrev_b64 v[8:9], 3, v[10:11]
                                        ; implicit-def: $vgpr10
	s_waitcnt lgkmcnt(0)
	v_add_co_u32 v8, vcc_lo, s0, v8
	s_delay_alu instid0(VALU_DEP_2)
	v_add_co_ci_u32_e32 v9, vcc_lo, s1, v9, vcc_lo
	s_clause 0x1
	global_store_b128 v[8:9], v[4:7], off
	global_store_b128 v[8:9], v[0:3], off offset:16
                                        ; implicit-def: $vgpr8_vgpr9
                                        ; implicit-def: $vgpr4_vgpr5
                                        ; implicit-def: $vgpr0_vgpr1
.LBB29_40:
	s_and_not1_saveexec_b32 s2, s2
	s_cbranch_execz .LBB29_10
; %bb.41:
	v_ashrrev_i32_e32 v11, 31, v10
	s_delay_alu instid0(VALU_DEP_1) | instskip(SKIP_1) | instid1(VALU_DEP_1)
	v_lshlrev_b64 v[10:11], 3, v[10:11]
	s_waitcnt lgkmcnt(0)
	v_add_co_u32 v18, vcc_lo, s0, v10
	s_delay_alu instid0(VALU_DEP_2)
	v_add_co_ci_u32_e32 v19, vcc_lo, s1, v11, vcc_lo
	s_clause 0x1
	global_load_b128 v[10:13], v[18:19], off
	global_load_b128 v[14:17], v[18:19], off offset:16
	s_waitcnt vmcnt(1)
	v_fma_f64 v[4:5], v[8:9], v[10:11], v[4:5]
	v_fma_f64 v[6:7], v[8:9], v[12:13], v[6:7]
	s_waitcnt vmcnt(0)
	v_fma_f64 v[0:1], v[8:9], v[14:15], v[0:1]
	v_fma_f64 v[2:3], v[8:9], v[16:17], v[2:3]
	s_clause 0x1
	global_store_b128 v[18:19], v[4:7], off
	global_store_b128 v[18:19], v[0:3], off offset:16
	s_nop 0
	s_sendmsg sendmsg(MSG_DEALLOC_VGPRS)
	s_endpgm
	.section	.rodata,"a",@progbits
	.p2align	6, 0x0
	.amdhsa_kernel _ZN9rocsparseL18bsrxmvn_4x4_kernelILj128ELj64EdlidddEEvT3_20rocsparse_direction_NS_24const_host_device_scalarIT1_EES1_PKS1_PKT2_SA_S7_PKT4_PKT5_S5_PT6_21rocsparse_index_base_b
		.amdhsa_group_segment_fixed_size 0
		.amdhsa_private_segment_fixed_size 0
		.amdhsa_kernarg_size 96
		.amdhsa_user_sgpr_count 15
		.amdhsa_user_sgpr_dispatch_ptr 0
		.amdhsa_user_sgpr_queue_ptr 0
		.amdhsa_user_sgpr_kernarg_segment_ptr 1
		.amdhsa_user_sgpr_dispatch_id 0
		.amdhsa_user_sgpr_private_segment_size 0
		.amdhsa_wavefront_size32 1
		.amdhsa_uses_dynamic_stack 0
		.amdhsa_enable_private_segment 0
		.amdhsa_system_sgpr_workgroup_id_x 1
		.amdhsa_system_sgpr_workgroup_id_y 0
		.amdhsa_system_sgpr_workgroup_id_z 0
		.amdhsa_system_sgpr_workgroup_info 0
		.amdhsa_system_vgpr_workitem_id 0
		.amdhsa_next_free_vgpr 146
		.amdhsa_next_free_sgpr 16
		.amdhsa_reserve_vcc 1
		.amdhsa_float_round_mode_32 0
		.amdhsa_float_round_mode_16_64 0
		.amdhsa_float_denorm_mode_32 3
		.amdhsa_float_denorm_mode_16_64 3
		.amdhsa_dx10_clamp 1
		.amdhsa_ieee_mode 1
		.amdhsa_fp16_overflow 0
		.amdhsa_workgroup_processor_mode 1
		.amdhsa_memory_ordered 1
		.amdhsa_forward_progress 0
		.amdhsa_shared_vgpr_count 0
		.amdhsa_exception_fp_ieee_invalid_op 0
		.amdhsa_exception_fp_denorm_src 0
		.amdhsa_exception_fp_ieee_div_zero 0
		.amdhsa_exception_fp_ieee_overflow 0
		.amdhsa_exception_fp_ieee_underflow 0
		.amdhsa_exception_fp_ieee_inexact 0
		.amdhsa_exception_int_div_zero 0
	.end_amdhsa_kernel
	.section	.text._ZN9rocsparseL18bsrxmvn_4x4_kernelILj128ELj64EdlidddEEvT3_20rocsparse_direction_NS_24const_host_device_scalarIT1_EES1_PKS1_PKT2_SA_S7_PKT4_PKT5_S5_PT6_21rocsparse_index_base_b,"axG",@progbits,_ZN9rocsparseL18bsrxmvn_4x4_kernelILj128ELj64EdlidddEEvT3_20rocsparse_direction_NS_24const_host_device_scalarIT1_EES1_PKS1_PKT2_SA_S7_PKT4_PKT5_S5_PT6_21rocsparse_index_base_b,comdat
.Lfunc_end29:
	.size	_ZN9rocsparseL18bsrxmvn_4x4_kernelILj128ELj64EdlidddEEvT3_20rocsparse_direction_NS_24const_host_device_scalarIT1_EES1_PKS1_PKT2_SA_S7_PKT4_PKT5_S5_PT6_21rocsparse_index_base_b, .Lfunc_end29-_ZN9rocsparseL18bsrxmvn_4x4_kernelILj128ELj64EdlidddEEvT3_20rocsparse_direction_NS_24const_host_device_scalarIT1_EES1_PKS1_PKT2_SA_S7_PKT4_PKT5_S5_PT6_21rocsparse_index_base_b
                                        ; -- End function
	.section	.AMDGPU.csdata,"",@progbits
; Kernel info:
; codeLenInByte = 5920
; NumSgprs: 18
; NumVgprs: 146
; ScratchSize: 0
; MemoryBound: 1
; FloatMode: 240
; IeeeMode: 1
; LDSByteSize: 0 bytes/workgroup (compile time only)
; SGPRBlocks: 2
; VGPRBlocks: 18
; NumSGPRsForWavesPerEU: 18
; NumVGPRsForWavesPerEU: 146
; Occupancy: 9
; WaveLimiterHint : 1
; COMPUTE_PGM_RSRC2:SCRATCH_EN: 0
; COMPUTE_PGM_RSRC2:USER_SGPR: 15
; COMPUTE_PGM_RSRC2:TRAP_HANDLER: 0
; COMPUTE_PGM_RSRC2:TGID_X_EN: 1
; COMPUTE_PGM_RSRC2:TGID_Y_EN: 0
; COMPUTE_PGM_RSRC2:TGID_Z_EN: 0
; COMPUTE_PGM_RSRC2:TIDIG_COMP_CNT: 0
	.section	.text._ZN9rocsparseL18bsrxmvn_4x4_kernelILj128ELj4E21rocsparse_complex_numIfEliS2_S2_S2_EEvT3_20rocsparse_direction_NS_24const_host_device_scalarIT1_EES3_PKS3_PKT2_SC_S9_PKT4_PKT5_S7_PT6_21rocsparse_index_base_b,"axG",@progbits,_ZN9rocsparseL18bsrxmvn_4x4_kernelILj128ELj4E21rocsparse_complex_numIfEliS2_S2_S2_EEvT3_20rocsparse_direction_NS_24const_host_device_scalarIT1_EES3_PKS3_PKT2_SC_S9_PKT4_PKT5_S7_PT6_21rocsparse_index_base_b,comdat
	.globl	_ZN9rocsparseL18bsrxmvn_4x4_kernelILj128ELj4E21rocsparse_complex_numIfEliS2_S2_S2_EEvT3_20rocsparse_direction_NS_24const_host_device_scalarIT1_EES3_PKS3_PKT2_SC_S9_PKT4_PKT5_S7_PT6_21rocsparse_index_base_b ; -- Begin function _ZN9rocsparseL18bsrxmvn_4x4_kernelILj128ELj4E21rocsparse_complex_numIfEliS2_S2_S2_EEvT3_20rocsparse_direction_NS_24const_host_device_scalarIT1_EES3_PKS3_PKT2_SC_S9_PKT4_PKT5_S7_PT6_21rocsparse_index_base_b
	.p2align	8
	.type	_ZN9rocsparseL18bsrxmvn_4x4_kernelILj128ELj4E21rocsparse_complex_numIfEliS2_S2_S2_EEvT3_20rocsparse_direction_NS_24const_host_device_scalarIT1_EES3_PKS3_PKT2_SC_S9_PKT4_PKT5_S7_PT6_21rocsparse_index_base_b,@function
_ZN9rocsparseL18bsrxmvn_4x4_kernelILj128ELj4E21rocsparse_complex_numIfEliS2_S2_S2_EEvT3_20rocsparse_direction_NS_24const_host_device_scalarIT1_EES3_PKS3_PKT2_SC_S9_PKT4_PKT5_S7_PT6_21rocsparse_index_base_b: ; @_ZN9rocsparseL18bsrxmvn_4x4_kernelILj128ELj4E21rocsparse_complex_numIfEliS2_S2_S2_EEvT3_20rocsparse_direction_NS_24const_host_device_scalarIT1_EES3_PKS3_PKT2_SC_S9_PKT4_PKT5_S7_PT6_21rocsparse_index_base_b
; %bb.0:
	s_clause 0x2
	s_load_b64 s[12:13], s[0:1], 0x58
	s_load_b64 s[4:5], s[0:1], 0x8
	s_load_b64 s[2:3], s[0:1], 0x48
	s_waitcnt lgkmcnt(0)
	s_bitcmp1_b32 s13, 0
	v_mov_b32_e32 v75, s4
	s_cselect_b32 s6, -1, 0
	s_delay_alu instid0(SALU_CYCLE_1)
	s_and_b32 vcc_lo, exec_lo, s6
	s_xor_b32 s6, s6, -1
	s_cbranch_vccz .LBB30_14
; %bb.1:
	v_cndmask_b32_e64 v1, 0, 1, s6
	v_mov_b32_e32 v76, s5
	s_and_not1_b32 vcc_lo, exec_lo, s6
	s_cbranch_vccz .LBB30_15
.LBB30_2:
	s_delay_alu instid0(VALU_DEP_2)
	v_cmp_ne_u32_e32 vcc_lo, 1, v1
	v_mov_b32_e32 v73, s2
	s_cbranch_vccz .LBB30_16
.LBB30_3:
	v_cmp_ne_u32_e32 vcc_lo, 1, v1
	v_mov_b32_e32 v74, s3
	s_cbranch_vccnz .LBB30_5
.LBB30_4:
	v_dual_mov_b32 v1, s2 :: v_dual_mov_b32 v2, s3
	flat_load_b32 v74, v[1:2] offset:4
.LBB30_5:
	s_waitcnt vmcnt(0) lgkmcnt(0)
	v_cmp_eq_f32_e32 vcc_lo, 0, v75
	v_cmp_eq_f32_e64 s2, 0, v76
	s_delay_alu instid0(VALU_DEP_1)
	s_and_b32 s4, vcc_lo, s2
	s_mov_b32 s2, -1
	s_and_saveexec_b32 s3, s4
; %bb.6:
	v_cmp_neq_f32_e32 vcc_lo, 1.0, v73
	v_cmp_neq_f32_e64 s2, 0, v74
	s_delay_alu instid0(VALU_DEP_1) | instskip(NEXT) | instid1(SALU_CYCLE_1)
	s_or_b32 s2, vcc_lo, s2
	s_or_not1_b32 s2, s2, exec_lo
; %bb.7:
	s_or_b32 exec_lo, exec_lo, s3
	s_and_saveexec_b32 s3, s2
	s_cbranch_execz .LBB30_13
; %bb.8:
	s_clause 0x1
	s_load_b64 s[4:5], s[0:1], 0x18
	s_load_b64 s[2:3], s[0:1], 0x0
	v_lshrrev_b32_e32 v1, 2, v0
	s_delay_alu instid0(VALU_DEP_1)
	v_lshl_or_b32 v64, s15, 5, v1
	s_waitcnt lgkmcnt(0)
	s_cmp_lg_u64 s[4:5], 0
	s_cbranch_scc0 .LBB30_17
; %bb.9:
	s_load_b32 s6, s[0:1], 0x10
	s_mov_b32 s7, 0
                                        ; implicit-def: $vgpr1
	s_waitcnt lgkmcnt(0)
	v_cmp_gt_i32_e32 vcc_lo, s6, v64
	s_mov_b32 s6, 0
	s_and_saveexec_b32 s8, vcc_lo
	s_delay_alu instid0(SALU_CYCLE_1)
	s_xor_b32 s8, exec_lo, s8
	s_cbranch_execz .LBB30_11
; %bb.10:
	v_ashrrev_i32_e32 v65, 31, v64
	s_mov_b32 s6, exec_lo
	s_delay_alu instid0(VALU_DEP_1) | instskip(NEXT) | instid1(VALU_DEP_1)
	v_lshlrev_b64 v[1:2], 2, v[64:65]
	v_add_co_u32 v1, vcc_lo, s4, v1
	s_delay_alu instid0(VALU_DEP_2)
	v_add_co_ci_u32_e32 v2, vcc_lo, s5, v2, vcc_lo
	global_load_b32 v1, v[1:2], off
	s_waitcnt vmcnt(0)
	v_subrev_nc_u32_e32 v1, s12, v1
.LBB30_11:
	s_or_b32 exec_lo, exec_lo, s8
	s_delay_alu instid0(SALU_CYCLE_1)
	s_and_b32 vcc_lo, exec_lo, s7
	s_cbranch_vccz .LBB30_18
.LBB30_12:
	v_cmp_gt_i32_e32 vcc_lo, s2, v64
	s_and_not1_b32 s2, s6, exec_lo
	s_and_b32 s4, vcc_lo, exec_lo
	s_delay_alu instid0(SALU_CYCLE_1) | instskip(NEXT) | instid1(SALU_CYCLE_1)
	s_or_b32 s6, s2, s4
	s_and_b32 exec_lo, exec_lo, s6
	s_cbranch_execnz .LBB30_19
.LBB30_13:
	s_nop 0
	s_sendmsg sendmsg(MSG_DEALLOC_VGPRS)
	s_endpgm
.LBB30_14:
	v_dual_mov_b32 v1, s4 :: v_dual_mov_b32 v2, s5
	flat_load_b32 v75, v[1:2]
	v_cndmask_b32_e64 v1, 0, 1, s6
	v_mov_b32_e32 v76, s5
	s_and_not1_b32 vcc_lo, exec_lo, s6
	s_cbranch_vccnz .LBB30_2
.LBB30_15:
	v_dual_mov_b32 v2, s4 :: v_dual_mov_b32 v3, s5
	flat_load_b32 v76, v[2:3] offset:4
	v_cmp_ne_u32_e32 vcc_lo, 1, v1
	v_mov_b32_e32 v73, s2
	s_cbranch_vccnz .LBB30_3
.LBB30_16:
	v_dual_mov_b32 v2, s2 :: v_dual_mov_b32 v3, s3
	flat_load_b32 v73, v[2:3]
	v_cmp_ne_u32_e32 vcc_lo, 1, v1
	v_mov_b32_e32 v74, s3
	s_cbranch_vccz .LBB30_4
	s_branch .LBB30_5
.LBB30_17:
	s_mov_b32 s6, 0
                                        ; implicit-def: $vgpr1
	s_cbranch_execnz .LBB30_12
.LBB30_18:
	s_delay_alu instid0(VALU_DEP_1)
	v_mov_b32_e32 v64, v1
	s_and_b32 exec_lo, exec_lo, s6
	s_cbranch_execz .LBB30_13
.LBB30_19:
	s_load_b256 s[4:11], s[0:1], 0x20
	s_delay_alu instid0(VALU_DEP_1) | instskip(SKIP_1) | instid1(VALU_DEP_2)
	v_ashrrev_i32_e32 v65, 31, v64
	v_dual_mov_b32 v78, 0 :: v_dual_and_b32 v77, 3, v0
	v_lshlrev_b64 v[1:2], 3, v[64:65]
	s_waitcnt lgkmcnt(0)
	s_delay_alu instid0(VALU_DEP_1) | instskip(NEXT) | instid1(VALU_DEP_2)
	v_add_co_u32 v3, vcc_lo, s4, v1
	v_add_co_ci_u32_e32 v4, vcc_lo, s5, v2, vcc_lo
	v_add_co_u32 v1, vcc_lo, s6, v1
	v_add_co_ci_u32_e32 v2, vcc_lo, s7, v2, vcc_lo
	s_delay_alu instid0(VALU_DEP_4)
	v_add_co_u32 v5, vcc_lo, v3, 8
	global_load_b64 v[36:37], v[3:4], off
	v_add_co_ci_u32_e32 v6, vcc_lo, 0, v4, vcc_lo
	s_cmp_eq_u64 s[6:7], 0
	s_load_b64 s[4:5], s[0:1], 0x40
	s_cselect_b32 vcc_lo, -1, 0
	s_cmp_eq_u32 s3, 1
	v_dual_cndmask_b32 v2, v2, v6 :: v_dual_cndmask_b32 v1, v1, v5
	s_mov_b32 s3, 0
	global_load_b64 v[1:2], v[1:2], off
	s_waitcnt vmcnt(1)
	v_sub_co_u32 v0, vcc_lo, v36, s12
	v_subrev_co_ci_u32_e32 v3, vcc_lo, 0, v37, vcc_lo
	s_delay_alu instid0(VALU_DEP_2) | instskip(NEXT) | instid1(VALU_DEP_2)
	v_add_co_u32 v65, vcc_lo, v0, v77
	v_add_co_ci_u32_e32 v66, vcc_lo, 0, v3, vcc_lo
	s_waitcnt vmcnt(0)
	v_sub_co_u32 v67, vcc_lo, v1, s12
	s_delay_alu instid0(VALU_DEP_2) | instskip(SKIP_1) | instid1(VALU_DEP_2)
	v_lshlrev_b64 v[0:1], 7, v[65:66]
	v_subrev_co_ci_u32_e32 v68, vcc_lo, 0, v2, vcc_lo
	v_add_co_u32 v69, vcc_lo, s10, v0
	s_delay_alu instid0(VALU_DEP_2) | instskip(NEXT) | instid1(VALU_DEP_4)
	v_cmp_lt_i64_e64 s2, v[65:66], v[67:68]
	v_add_co_ci_u32_e32 v70, vcc_lo, s11, v1, vcc_lo
	s_cbranch_scc1 .LBB30_31
; %bb.20:
	v_dual_mov_b32 v84, 0 :: v_dual_mov_b32 v83, 0
	v_dual_mov_b32 v82, 0 :: v_dual_mov_b32 v81, 0
	;; [unrolled: 1-line block ×3, first 2 shown]
	v_mov_b32_e32 v79, 0
	s_and_saveexec_b32 s6, s2
	s_cbranch_execz .LBB30_30
; %bb.21:
	v_or_b32_e32 v0, 4, v77
	v_not_b32_e32 v3, v36
	v_not_b32_e32 v2, v37
	v_mov_b32_e32 v38, v69
	v_mov_b32_e32 v40, v65
	v_sub_co_u32 v0, s7, v0, s12
	s_delay_alu instid0(VALU_DEP_1) | instskip(SKIP_1) | instid1(VALU_DEP_3)
	v_sub_co_ci_u32_e64 v1, null, 0, 0, s7
	v_sub_co_u32 v4, s7, s12, v77
	v_add_co_u32 v0, vcc_lo, v0, v36
	s_delay_alu instid0(VALU_DEP_3) | instskip(SKIP_2) | instid1(VALU_DEP_3)
	v_add_co_ci_u32_e32 v1, vcc_lo, v1, v37, vcc_lo
	v_sub_co_ci_u32_e64 v5, null, 0, 0, s7
	v_dual_mov_b32 v85, 0 :: v_dual_mov_b32 v80, 0
	v_cmp_gt_i64_e32 vcc_lo, v[0:1], v[67:68]
	v_dual_mov_b32 v83, 0 :: v_dual_mov_b32 v82, 0
	v_dual_mov_b32 v84, 0 :: v_dual_mov_b32 v39, v70
	;; [unrolled: 1-line block ×3, first 2 shown]
	v_dual_cndmask_b32 v1, v68, v1 :: v_dual_cndmask_b32 v0, v67, v0
	v_add_co_u32 v3, vcc_lo, v4, v3
	v_add_co_ci_u32_e32 v2, vcc_lo, v5, v2, vcc_lo
	s_mov_b32 s7, exec_lo
	s_delay_alu instid0(VALU_DEP_2) | instskip(NEXT) | instid1(VALU_DEP_2)
	v_add_co_u32 v0, vcc_lo, v3, v0
	v_add_co_ci_u32_e32 v1, vcc_lo, v2, v1, vcc_lo
	s_delay_alu instid0(VALU_DEP_2) | instskip(NEXT) | instid1(VALU_DEP_1)
	v_lshrrev_b32_e32 v2, 2, v0
	v_dual_mov_b32 v79, 0 :: v_dual_add_nc_u32 v2, 1, v2
	s_delay_alu instid0(VALU_DEP_1) | instskip(NEXT) | instid1(VALU_DEP_1)
	v_dual_mov_b32 v81, 0 :: v_dual_and_b32 v2, 3, v2
	v_cmpx_ne_u32_e32 0, v2
	s_cbranch_execz .LBB30_25
; %bb.22:
	v_lshlrev_b64 v[4:5], 2, v[65:66]
	v_dual_mov_b32 v3, 0 :: v_dual_lshlrev_b32 v2, 2, v2
	v_dual_mov_b32 v40, v65 :: v_dual_mov_b32 v41, v66
	v_dual_mov_b32 v38, v69 :: v_dual_mov_b32 v39, v70
	s_delay_alu instid0(VALU_DEP_4)
	v_add_co_u32 v4, vcc_lo, s8, v4
	v_add_co_ci_u32_e32 v5, vcc_lo, s9, v5, vcc_lo
	v_mov_b32_e32 v78, v3
	v_mov_b32_e32 v84, v3
	;; [unrolled: 1-line block ×8, first 2 shown]
	s_mov_b32 s10, 0
.LBB30_23:                              ; =>This Inner Loop Header: Depth=1
	global_load_b32 v34, v[4:5], off
	s_clause 0x7
	global_load_b128 v[6:9], v[38:39], off offset:48
	global_load_b128 v[10:13], v[38:39], off offset:32
	;; [unrolled: 1-line block ×3, first 2 shown]
	global_load_b128 v[18:21], v[38:39], off
	global_load_b128 v[22:25], v[38:39], off offset:112
	global_load_b128 v[26:29], v[38:39], off offset:96
	;; [unrolled: 1-line block ×4, first 2 shown]
	s_waitcnt vmcnt(8)
	v_subrev_nc_u32_e32 v34, s12, v34
	s_delay_alu instid0(VALU_DEP_1) | instskip(NEXT) | instid1(VALU_DEP_1)
	v_lshlrev_b32_e32 v34, 2, v34
	v_ashrrev_i32_e32 v35, 31, v34
	s_delay_alu instid0(VALU_DEP_1) | instskip(SKIP_1) | instid1(VALU_DEP_1)
	v_lshlrev_b64 v[34:35], 3, v[34:35]
	s_waitcnt lgkmcnt(0)
	v_add_co_u32 v34, vcc_lo, s4, v34
	s_delay_alu instid0(VALU_DEP_2)
	v_add_co_ci_u32_e32 v35, vcc_lo, s5, v35, vcc_lo
	v_add_co_u32 v38, vcc_lo, 0x200, v38
	v_add_co_ci_u32_e32 v39, vcc_lo, 0, v39, vcc_lo
	s_clause 0x1
	global_load_b128 v[46:49], v[34:35], off
	global_load_b128 v[50:53], v[34:35], off offset:16
	v_add_co_u32 v40, vcc_lo, v40, 4
	v_add_co_ci_u32_e32 v41, vcc_lo, 0, v41, vcc_lo
	v_add_co_u32 v2, vcc_lo, v2, -4
	v_add_co_ci_u32_e32 v3, vcc_lo, -1, v3, vcc_lo
	v_add_co_u32 v4, vcc_lo, v4, 16
	v_add_co_ci_u32_e32 v5, vcc_lo, 0, v5, vcc_lo
	s_delay_alu instid0(VALU_DEP_3)
	v_cmp_eq_u64_e32 vcc_lo, 0, v[2:3]
	s_or_b32 s10, vcc_lo, s10
	s_waitcnt vmcnt(1)
	v_fmac_f32_e32 v80, v27, v46
	v_fmac_f32_e32 v81, v43, v46
	;; [unrolled: 1-line block ×4, first 2 shown]
	s_delay_alu instid0(VALU_DEP_4) | instskip(NEXT) | instid1(VALU_DEP_4)
	v_fmac_f32_e32 v80, v26, v47
	v_dual_fmac_f32 v78, v19, v46 :: v_dual_fmac_f32 v81, v42, v47
	v_fmac_f32_e32 v79, v11, v46
	v_fma_f32 v19, -v19, v47, v84
	s_delay_alu instid0(VALU_DEP_3) | instskip(SKIP_1) | instid1(VALU_DEP_4)
	v_fmac_f32_e32 v78, v18, v47
	v_fmac_f32_e32 v85, v10, v46
	;; [unrolled: 1-line block ×3, first 2 shown]
	v_fma_f32 v10, -v43, v47, v83
	v_fmac_f32_e32 v19, v20, v48
	v_fmac_f32_e32 v78, v21, v48
	v_fma_f32 v11, -v11, v47, v85
	v_dual_fmac_f32 v82, v26, v46 :: v_dual_fmac_f32 v79, v13, v48
	v_fmac_f32_e32 v10, v44, v48
	s_delay_alu instid0(VALU_DEP_4) | instskip(NEXT) | instid1(VALU_DEP_4)
	v_dual_fmac_f32 v81, v45, v48 :: v_dual_fmac_f32 v78, v20, v49
	v_fmac_f32_e32 v11, v12, v48
	s_delay_alu instid0(VALU_DEP_4) | instskip(SKIP_2) | instid1(VALU_DEP_4)
	v_fma_f32 v18, -v27, v47, v82
	v_dual_fmac_f32 v80, v29, v48 :: v_dual_fmac_f32 v79, v12, v49
	v_fma_f32 v19, -v21, v49, v19
	v_fma_f32 v11, -v13, v49, v11
	s_delay_alu instid0(VALU_DEP_4)
	v_fmac_f32_e32 v18, v28, v48
	v_fma_f32 v10, -v45, v49, v10
	s_waitcnt vmcnt(0)
	v_dual_fmac_f32 v81, v44, v49 :: v_dual_fmac_f32 v78, v15, v50
	v_dual_fmac_f32 v80, v28, v49 :: v_dual_fmac_f32 v11, v6, v50
	v_fmac_f32_e32 v19, v14, v50
	v_fma_f32 v12, -v29, v49, v18
	s_delay_alu instid0(VALU_DEP_4) | instskip(NEXT) | instid1(VALU_DEP_4)
	v_dual_fmac_f32 v79, v7, v50 :: v_dual_fmac_f32 v78, v14, v51
	v_fmac_f32_e32 v80, v23, v50
	s_delay_alu instid0(VALU_DEP_4)
	v_fma_f32 v13, -v15, v51, v19
	v_fmac_f32_e32 v10, v30, v50
	v_fma_f32 v7, -v7, v51, v11
	v_fmac_f32_e32 v12, v22, v50
	v_fmac_f32_e32 v79, v6, v51
	v_dual_fmac_f32 v81, v31, v50 :: v_dual_fmac_f32 v80, v22, v51
	v_fmac_f32_e32 v13, v16, v52
	v_fma_f32 v6, -v31, v51, v10
	s_delay_alu instid0(VALU_DEP_3) | instskip(SKIP_2) | instid1(VALU_DEP_3)
	v_dual_fmac_f32 v78, v17, v52 :: v_dual_fmac_f32 v81, v30, v51
	v_fmac_f32_e32 v7, v8, v52
	v_fma_f32 v10, -v23, v51, v12
	v_dual_fmac_f32 v79, v9, v52 :: v_dual_fmac_f32 v78, v16, v53
	v_fmac_f32_e32 v6, v32, v52
	v_fmac_f32_e32 v80, v25, v52
	s_delay_alu instid0(VALU_DEP_4) | instskip(NEXT) | instid1(VALU_DEP_4)
	v_fmac_f32_e32 v10, v24, v52
	v_fmac_f32_e32 v79, v8, v53
	;; [unrolled: 1-line block ×3, first 2 shown]
	v_fma_f32 v84, -v17, v53, v13
	v_fmac_f32_e32 v80, v24, v53
	v_fma_f32 v85, -v9, v53, v7
	v_fma_f32 v83, -v33, v53, v6
	v_fmac_f32_e32 v81, v32, v53
	v_fma_f32 v82, -v25, v53, v10
	s_and_not1_b32 exec_lo, exec_lo, s10
	s_cbranch_execnz .LBB30_23
; %bb.24:
	s_or_b32 exec_lo, exec_lo, s10
.LBB30_25:
	s_delay_alu instid0(SALU_CYCLE_1) | instskip(NEXT) | instid1(SALU_CYCLE_1)
	s_or_b32 exec_lo, exec_lo, s7
	s_mov_b32 s7, exec_lo
	v_cmpx_lt_u64_e32 11, v[0:1]
	s_cbranch_execz .LBB30_29
; %bb.26:
	v_lshlrev_b64 v[0:1], 2, v[40:41]
	s_mov_b32 s10, 0
	s_delay_alu instid0(VALU_DEP_1) | instskip(NEXT) | instid1(VALU_DEP_2)
	v_add_co_u32 v0, vcc_lo, v0, s8
	v_add_co_ci_u32_e32 v1, vcc_lo, s9, v1, vcc_lo
	s_delay_alu instid0(VALU_DEP_2) | instskip(NEXT) | instid1(VALU_DEP_2)
	v_add_co_u32 v42, vcc_lo, v0, 32
	v_add_co_ci_u32_e32 v43, vcc_lo, 0, v1, vcc_lo
.LBB30_27:                              ; =>This Inner Loop Header: Depth=1
	s_clause 0x3
	global_load_b32 v44, v[42:43], off offset:-32
	global_load_b32 v61, v[42:43], off offset:-16
	global_load_b32 v62, v[42:43], off
	global_load_b32 v63, v[42:43], off offset:16
	s_clause 0x1e
	global_load_b128 v[45:48], v[38:39], off offset:48
	global_load_b128 v[49:52], v[38:39], off offset:32
	;; [unrolled: 1-line block ×3, first 2 shown]
	global_load_b128 v[57:60], v[38:39], off
	global_load_b128 v[86:89], v[38:39], off offset:112
	global_load_b128 v[90:93], v[38:39], off offset:96
	;; [unrolled: 1-line block ×27, first 2 shown]
	s_waitcnt vmcnt(34)
	v_subrev_nc_u32_e32 v44, s12, v44
	s_waitcnt vmcnt(33)
	v_subrev_nc_u32_e32 v71, s12, v61
	;; [unrolled: 2-line block ×4, first 2 shown]
	v_lshlrev_b32_e32 v61, 2, v44
	v_lshlrev_b32_e32 v71, 2, v71
	;; [unrolled: 1-line block ×3, first 2 shown]
	s_delay_alu instid0(VALU_DEP_4) | instskip(NEXT) | instid1(VALU_DEP_4)
	v_lshlrev_b32_e32 v160, 2, v63
	v_ashrrev_i32_e32 v62, 31, v61
	s_delay_alu instid0(VALU_DEP_4) | instskip(NEXT) | instid1(VALU_DEP_4)
	v_ashrrev_i32_e32 v72, 31, v71
	v_ashrrev_i32_e32 v159, 31, v158
	s_delay_alu instid0(VALU_DEP_4) | instskip(NEXT) | instid1(VALU_DEP_4)
	v_ashrrev_i32_e32 v161, 31, v160
	v_lshlrev_b64 v[61:62], 3, v[61:62]
	s_delay_alu instid0(VALU_DEP_4) | instskip(NEXT) | instid1(VALU_DEP_4)
	v_lshlrev_b64 v[71:72], 3, v[71:72]
	v_lshlrev_b64 v[158:159], 3, v[158:159]
	s_delay_alu instid0(VALU_DEP_4) | instskip(SKIP_1) | instid1(VALU_DEP_4)
	v_lshlrev_b64 v[160:161], 3, v[160:161]
	s_waitcnt lgkmcnt(0)
	v_add_co_u32 v61, vcc_lo, s4, v61
	v_add_co_ci_u32_e32 v62, vcc_lo, s5, v62, vcc_lo
	v_add_co_u32 v71, vcc_lo, s4, v71
	v_add_co_ci_u32_e32 v72, vcc_lo, s5, v72, vcc_lo
	;; [unrolled: 2-line block ×4, first 2 shown]
	s_clause 0x4
	global_load_b128 v[158:161], v[61:62], off
	global_load_b128 v[162:165], v[61:62], off offset:16
	global_load_b128 v[166:169], v[71:72], off
	global_load_b128 v[170:173], v[71:72], off offset:16
	global_load_b128 v[174:177], v[178:179], off
	v_add_co_u32 v40, vcc_lo, v40, 16
	v_add_co_ci_u32_e32 v41, vcc_lo, 0, v41, vcc_lo
	s_waitcnt vmcnt(4)
	v_fmac_f32_e32 v85, v49, v158
	v_fmac_f32_e32 v84, v57, v158
	;; [unrolled: 1-line block ×5, first 2 shown]
	v_fma_f32 v50, -v50, v159, v85
	v_fma_f32 v44, -v58, v159, v84
	v_fmac_f32_e32 v78, v57, v159
	v_fmac_f32_e32 v79, v49, v159
	v_fma_f32 v62, -v99, v159, v83
	v_fmac_f32_e32 v82, v90, v158
	v_fmac_f32_e32 v44, v59, v160
	;; [unrolled: 1-line block ×6, first 2 shown]
	v_fma_f32 v44, -v60, v161, v44
	v_fmac_f32_e32 v81, v98, v159
	v_fmac_f32_e32 v79, v51, v161
	;; [unrolled: 1-line block ×3, first 2 shown]
	global_load_b128 v[57:60], v[178:179], off offset:16
	v_dual_fmac_f32 v80, v91, v158 :: v_dual_fmac_f32 v81, v101, v160
	v_fmac_f32_e32 v50, v51, v160
	v_fma_f32 v62, -v101, v161, v62
	v_fma_f32 v63, -v91, v159, v82
	s_delay_alu instid0(VALU_DEP_4) | instskip(NEXT) | instid1(VALU_DEP_4)
	v_dual_fmac_f32 v80, v90, v159 :: v_dual_fmac_f32 v81, v100, v161
	v_fma_f32 v61, -v52, v161, v50
	global_load_b128 v[49:52], v[180:181], off
	v_fmac_f32_e32 v63, v92, v160
	global_load_b128 v[98:101], v[38:39], off offset:1616
	global_load_b128 v[178:181], v[180:181], off offset:16
	s_waitcnt vmcnt(7)
	v_dual_fmac_f32 v80, v93, v160 :: v_dual_fmac_f32 v79, v46, v162
	v_fmac_f32_e32 v78, v54, v162
	v_fma_f32 v63, -v93, v161, v63
	s_delay_alu instid0(VALU_DEP_3) | instskip(NEXT) | instid1(VALU_DEP_4)
	v_dual_fmac_f32 v61, v45, v162 :: v_dual_fmac_f32 v80, v92, v161
	v_dual_fmac_f32 v79, v45, v163 :: v_dual_fmac_f32 v62, v94, v162
	s_delay_alu instid0(VALU_DEP_4) | instskip(NEXT) | instid1(VALU_DEP_2)
	v_dual_fmac_f32 v81, v95, v162 :: v_dual_fmac_f32 v78, v53, v163
	v_dual_fmac_f32 v44, v53, v162 :: v_dual_fmac_f32 v79, v48, v164
	s_delay_alu instid0(VALU_DEP_3) | instskip(NEXT) | instid1(VALU_DEP_3)
	v_fma_f32 v45, -v95, v163, v62
	v_dual_fmac_f32 v81, v94, v163 :: v_dual_fmac_f32 v80, v87, v162
	s_delay_alu instid0(VALU_DEP_3) | instskip(SKIP_2) | instid1(VALU_DEP_4)
	v_fma_f32 v44, -v54, v163, v44
	v_fmac_f32_e32 v63, v86, v162
	v_fma_f32 v46, -v46, v163, v61
	v_dual_fmac_f32 v45, v96, v164 :: v_dual_fmac_f32 v80, v86, v163
	v_fmac_f32_e32 v81, v97, v164
	v_fmac_f32_e32 v44, v55, v164
	v_fma_f32 v53, -v87, v163, v63
	v_dual_fmac_f32 v78, v56, v164 :: v_dual_fmac_f32 v79, v47, v165
	s_delay_alu instid0(VALU_DEP_4)
	v_dual_fmac_f32 v46, v47, v164 :: v_dual_fmac_f32 v81, v96, v165
	v_fmac_f32_e32 v80, v89, v164
	v_fma_f32 v45, -v97, v165, v45
	s_waitcnt vmcnt(6)
	v_fmac_f32_e32 v79, v107, v166
	v_dual_fmac_f32 v53, v88, v164 :: v_dual_fmac_f32 v78, v55, v165
	v_fma_f32 v44, -v56, v165, v44
	v_fma_f32 v46, -v48, v165, v46
	v_dual_fmac_f32 v80, v88, v165 :: v_dual_fmac_f32 v45, v130, v166
	s_delay_alu instid0(VALU_DEP_4) | instskip(NEXT) | instid1(VALU_DEP_4)
	v_dual_fmac_f32 v78, v115, v166 :: v_dual_fmac_f32 v79, v106, v167
	v_fmac_f32_e32 v44, v114, v166
	v_fmac_f32_e32 v81, v131, v166
	s_delay_alu instid0(VALU_DEP_4) | instskip(NEXT) | instid1(VALU_DEP_4)
	v_fma_f32 v45, -v131, v167, v45
	v_fmac_f32_e32 v78, v114, v167
	v_fmac_f32_e32 v46, v106, v166
	v_fma_f32 v47, -v89, v165, v53
	v_dual_fmac_f32 v80, v123, v166 :: v_dual_fmac_f32 v81, v130, v167
	v_fmac_f32_e32 v79, v109, v168
	v_fma_f32 v44, -v115, v167, v44
	v_fmac_f32_e32 v45, v132, v168
	v_fma_f32 v46, -v107, v167, v46
	v_fmac_f32_e32 v47, v122, v166
	v_dual_fmac_f32 v80, v122, v167 :: v_dual_fmac_f32 v81, v133, v168
	v_fmac_f32_e32 v44, v116, v168
	v_dual_fmac_f32 v78, v117, v168 :: v_dual_fmac_f32 v79, v108, v169
	v_fmac_f32_e32 v46, v108, v168
	v_fma_f32 v47, -v123, v167, v47
	v_dual_fmac_f32 v80, v125, v168 :: v_dual_fmac_f32 v81, v132, v169
	v_fma_f32 v44, -v117, v169, v44
	v_fma_f32 v45, -v133, v169, v45
	s_waitcnt vmcnt(5)
	v_dual_fmac_f32 v78, v116, v169 :: v_dual_fmac_f32 v79, v103, v170
	v_fma_f32 v46, -v109, v169, v46
	v_dual_fmac_f32 v47, v124, v168 :: v_dual_fmac_f32 v44, v110, v170
	v_dual_fmac_f32 v80, v124, v169 :: v_dual_fmac_f32 v81, v127, v170
	v_fmac_f32_e32 v45, v126, v170
	v_dual_fmac_f32 v78, v111, v170 :: v_dual_fmac_f32 v79, v102, v171
	v_fmac_f32_e32 v46, v102, v170
	v_fma_f32 v47, -v125, v169, v47
	v_dual_fmac_f32 v80, v119, v170 :: v_dual_fmac_f32 v81, v126, v171
	v_fma_f32 v44, -v111, v171, v44
	v_fma_f32 v45, -v127, v171, v45
	v_dual_fmac_f32 v78, v110, v171 :: v_dual_fmac_f32 v79, v105, v172
	v_fma_f32 v46, -v103, v171, v46
	s_delay_alu instid0(VALU_DEP_4)
	v_dual_fmac_f32 v47, v118, v170 :: v_dual_fmac_f32 v44, v112, v172
	v_dual_fmac_f32 v80, v118, v171 :: v_dual_fmac_f32 v81, v129, v172
	v_fmac_f32_e32 v45, v128, v172
	v_dual_fmac_f32 v78, v113, v172 :: v_dual_fmac_f32 v79, v104, v173
	v_fmac_f32_e32 v46, v104, v172
	v_fma_f32 v47, -v119, v171, v47
	v_dual_fmac_f32 v80, v121, v172 :: v_dual_fmac_f32 v81, v128, v173
	v_fma_f32 v44, -v113, v173, v44
	s_waitcnt vmcnt(4)
	v_fmac_f32_e32 v79, v29, v174
	v_fma_f32 v46, -v105, v173, v46
	v_fmac_f32_e32 v47, v120, v172
	v_fma_f32 v45, -v129, v173, v45
	v_fmac_f32_e32 v44, v134, v174
	v_fmac_f32_e32 v78, v112, v173
	v_dual_fmac_f32 v80, v120, v173 :: v_dual_fmac_f32 v81, v139, v174
	v_fmac_f32_e32 v46, v28, v174
	v_fma_f32 v47, -v121, v173, v47
	v_fmac_f32_e32 v45, v138, v174
	v_dual_fmac_f32 v78, v135, v174 :: v_dual_fmac_f32 v79, v28, v175
	v_fma_f32 v44, -v135, v175, v44
	v_fmac_f32_e32 v81, v138, v175
	v_fma_f32 v29, -v29, v175, v46
	v_fmac_f32_e32 v80, v33, v174
	v_dual_fmac_f32 v47, v32, v174 :: v_dual_fmac_f32 v78, v134, v175
	v_fmac_f32_e32 v79, v31, v176
	v_fmac_f32_e32 v44, v136, v176
	s_delay_alu instid0(VALU_DEP_4)
	v_dual_fmac_f32 v29, v30, v176 :: v_dual_fmac_f32 v80, v32, v175
	v_fma_f32 v28, -v139, v175, v45
	v_fma_f32 v33, -v33, v175, v47
	v_fmac_f32_e32 v81, v141, v176
	v_dual_fmac_f32 v78, v137, v176 :: v_dual_fmac_f32 v79, v30, v177
	v_fma_f32 v32, -v137, v177, v44
	v_fmac_f32_e32 v28, v140, v176
	v_fmac_f32_e32 v33, v34, v176
	v_fma_f32 v29, -v31, v177, v29
	v_dual_fmac_f32 v80, v35, v176 :: v_dual_fmac_f32 v81, v140, v177
	v_fmac_f32_e32 v78, v136, v177
	v_add_co_u32 v38, vcc_lo, 0x800, v38
	v_add_co_ci_u32_e32 v39, vcc_lo, 0, v39, vcc_lo
	v_add_co_u32 v42, vcc_lo, v42, 64
	v_add_co_ci_u32_e32 v43, vcc_lo, 0, v43, vcc_lo
	v_cmp_ge_i64_e32 vcc_lo, v[40:41], v[67:68]
	s_or_b32 s10, vcc_lo, s10
	s_waitcnt vmcnt(3)
	v_fmac_f32_e32 v29, v8, v57
	v_fmac_f32_e32 v32, v16, v57
	;; [unrolled: 1-line block ×3, first 2 shown]
	v_fma_f32 v28, -v141, v177, v28
	v_fma_f32 v30, -v35, v177, v33
	v_fmac_f32_e32 v80, v34, v177
	v_fmac_f32_e32 v81, v21, v57
	;; [unrolled: 1-line block ×3, first 2 shown]
	v_fma_f32 v17, -v17, v58, v32
	v_fmac_f32_e32 v79, v8, v58
	v_fmac_f32_e32 v28, v20, v57
	;; [unrolled: 1-line block ×3, first 2 shown]
	v_fma_f32 v9, -v9, v58, v29
	v_fmac_f32_e32 v30, v12, v57
	v_fmac_f32_e32 v81, v20, v58
	v_dual_fmac_f32 v78, v16, v58 :: v_dual_fmac_f32 v17, v18, v59
	s_delay_alu instid0(VALU_DEP_4) | instskip(SKIP_4) | instid1(VALU_DEP_4)
	v_fmac_f32_e32 v9, v10, v59
	v_fmac_f32_e32 v79, v11, v59
	v_fma_f32 v8, -v21, v58, v28
	v_fma_f32 v13, -v13, v58, v30
	v_dual_fmac_f32 v80, v12, v58 :: v_dual_fmac_f32 v81, v23, v59
	v_dual_fmac_f32 v78, v19, v59 :: v_dual_fmac_f32 v79, v10, v60
	v_fma_f32 v12, -v19, v60, v17
	s_delay_alu instid0(VALU_DEP_3) | instskip(SKIP_1) | instid1(VALU_DEP_3)
	v_dual_fmac_f32 v80, v15, v59 :: v_dual_fmac_f32 v81, v22, v60
	s_waitcnt vmcnt(2)
	v_dual_fmac_f32 v78, v18, v60 :: v_dual_fmac_f32 v79, v25, v49
	v_fmac_f32_e32 v13, v14, v59
	v_fma_f32 v9, -v11, v60, v9
	v_fmac_f32_e32 v8, v22, v59
	s_delay_alu instid0(VALU_DEP_4)
	v_dual_fmac_f32 v12, v142, v49 :: v_dual_fmac_f32 v79, v24, v50
	v_dual_fmac_f32 v80, v14, v60 :: v_dual_fmac_f32 v81, v155, v49
	v_fmac_f32_e32 v78, v143, v49
	v_fma_f32 v10, -v15, v60, v13
	v_fmac_f32_e32 v9, v24, v49
	v_fma_f32 v8, -v23, v60, v8
	v_fma_f32 v11, -v143, v50, v12
	v_dual_fmac_f32 v80, v151, v49 :: v_dual_fmac_f32 v81, v154, v50
	v_dual_fmac_f32 v10, v150, v49 :: v_dual_fmac_f32 v79, v27, v51
	s_delay_alu instid0(VALU_DEP_3) | instskip(NEXT) | instid1(VALU_DEP_3)
	v_dual_fmac_f32 v8, v154, v49 :: v_dual_fmac_f32 v11, v144, v51
	v_dual_fmac_f32 v78, v142, v50 :: v_dual_fmac_f32 v81, v157, v51
	v_fma_f32 v9, -v25, v50, v9
	s_delay_alu instid0(VALU_DEP_3) | instskip(SKIP_1) | instid1(VALU_DEP_4)
	v_fma_f32 v8, -v155, v50, v8
	v_fma_f32 v10, -v151, v50, v10
	v_dual_fmac_f32 v80, v150, v50 :: v_dual_fmac_f32 v81, v156, v52
	v_dual_fmac_f32 v78, v145, v51 :: v_dual_fmac_f32 v79, v26, v52
	v_fma_f32 v11, -v145, v52, v11
	v_fmac_f32_e32 v9, v26, v51
	v_fmac_f32_e32 v8, v156, v51
	s_waitcnt vmcnt(0)
	v_dual_fmac_f32 v10, v152, v51 :: v_dual_fmac_f32 v81, v99, v178
	v_dual_fmac_f32 v80, v153, v51 :: v_dual_fmac_f32 v11, v4, v178
	v_fmac_f32_e32 v78, v144, v52
	v_fma_f32 v9, -v27, v52, v9
	s_delay_alu instid0(VALU_DEP_4) | instskip(NEXT) | instid1(VALU_DEP_4)
	v_fma_f32 v10, -v153, v52, v10
	v_dual_fmac_f32 v80, v152, v52 :: v_dual_fmac_f32 v81, v98, v179
	v_fmac_f32_e32 v79, v1, v178
	v_fma_f32 v8, -v157, v52, v8
	v_fmac_f32_e32 v78, v5, v178
	v_fma_f32 v5, -v5, v179, v11
	v_dual_fmac_f32 v10, v146, v178 :: v_dual_fmac_f32 v81, v101, v180
	v_dual_fmac_f32 v80, v147, v178 :: v_dual_fmac_f32 v79, v0, v179
	s_delay_alu instid0(VALU_DEP_3) | instskip(SKIP_2) | instid1(VALU_DEP_4)
	v_fmac_f32_e32 v5, v6, v180
	v_fmac_f32_e32 v9, v0, v178
	;; [unrolled: 1-line block ×3, first 2 shown]
	v_dual_fmac_f32 v80, v146, v179 :: v_dual_fmac_f32 v79, v3, v180
	s_delay_alu instid0(VALU_DEP_4) | instskip(NEXT) | instid1(VALU_DEP_4)
	v_fma_f32 v84, -v7, v181, v5
	v_fma_f32 v1, -v1, v179, v9
	v_fmac_f32_e32 v78, v4, v179
	v_fma_f32 v0, -v99, v179, v8
	v_fma_f32 v4, -v147, v179, v10
	v_dual_fmac_f32 v80, v149, v180 :: v_dual_fmac_f32 v81, v100, v181
	v_fmac_f32_e32 v1, v2, v180
	v_dual_fmac_f32 v78, v7, v180 :: v_dual_fmac_f32 v79, v2, v181
	v_fmac_f32_e32 v0, v100, v180
	v_fmac_f32_e32 v4, v148, v180
	s_delay_alu instid0(VALU_DEP_4) | instskip(NEXT) | instid1(VALU_DEP_4)
	v_fma_f32 v85, -v3, v181, v1
	v_fmac_f32_e32 v78, v6, v181
	v_fmac_f32_e32 v80, v148, v181
	v_fma_f32 v83, -v101, v181, v0
	v_fma_f32 v82, -v149, v181, v4
	s_and_not1_b32 exec_lo, exec_lo, s10
	s_cbranch_execnz .LBB30_27
; %bb.28:
	s_or_b32 exec_lo, exec_lo, s10
.LBB30_29:
	s_delay_alu instid0(SALU_CYCLE_1)
	s_or_b32 exec_lo, exec_lo, s7
.LBB30_30:
	s_delay_alu instid0(SALU_CYCLE_1) | instskip(NEXT) | instid1(SALU_CYCLE_1)
	s_or_b32 exec_lo, exec_lo, s6
	s_and_not1_b32 vcc_lo, exec_lo, s3
	s_cbranch_vccz .LBB30_32
	s_branch .LBB30_43
.LBB30_31:
                                        ; implicit-def: $vgpr78
                                        ; implicit-def: $vgpr84
                                        ; implicit-def: $vgpr82
                                        ; implicit-def: $vgpr80
                                        ; implicit-def: $vgpr83
                                        ; implicit-def: $vgpr81
                                        ; implicit-def: $vgpr85
                                        ; implicit-def: $vgpr79
.LBB30_32:
	v_dual_mov_b32 v78, 0 :: v_dual_mov_b32 v83, 0
	v_dual_mov_b32 v84, 0 :: v_dual_mov_b32 v81, 0
	;; [unrolled: 1-line block ×4, first 2 shown]
	s_and_saveexec_b32 s3, s2
	s_cbranch_execz .LBB30_42
; %bb.33:
	v_or_b32_e32 v0, 4, v77
	v_not_b32_e32 v3, v36
	v_not_b32_e32 v2, v37
	v_dual_mov_b32 v81, 0 :: v_dual_mov_b32 v80, 0
	s_delay_alu instid0(VALU_DEP_4) | instskip(NEXT) | instid1(VALU_DEP_1)
	v_sub_co_u32 v0, s2, v0, s12
	v_sub_co_ci_u32_e64 v1, null, 0, 0, s2
	v_sub_co_u32 v4, s2, s12, v77
	s_delay_alu instid0(VALU_DEP_3) | instskip(NEXT) | instid1(VALU_DEP_3)
	v_add_co_u32 v0, vcc_lo, v0, v36
	v_add_co_ci_u32_e32 v1, vcc_lo, v1, v37, vcc_lo
	v_sub_co_ci_u32_e64 v5, null, 0, 0, s2
	v_dual_mov_b32 v83, 0 :: v_dual_mov_b32 v82, 0
	s_delay_alu instid0(VALU_DEP_3)
	v_cmp_gt_i64_e32 vcc_lo, v[0:1], v[67:68]
	v_mov_b32_e32 v84, 0
	v_mov_b32_e32 v78, 0
	s_mov_b32 s2, exec_lo
	v_mov_b32_e32 v79, 0
	v_dual_cndmask_b32 v1, v68, v1 :: v_dual_cndmask_b32 v0, v67, v0
	v_add_co_u32 v3, vcc_lo, v4, v3
	v_add_co_ci_u32_e32 v2, vcc_lo, v5, v2, vcc_lo
	s_delay_alu instid0(VALU_DEP_2) | instskip(NEXT) | instid1(VALU_DEP_2)
	v_add_co_u32 v0, vcc_lo, v3, v0
	v_add_co_ci_u32_e32 v1, vcc_lo, v2, v1, vcc_lo
	s_delay_alu instid0(VALU_DEP_2) | instskip(NEXT) | instid1(VALU_DEP_1)
	v_lshrrev_b32_e32 v2, 2, v0
	v_dual_mov_b32 v85, 0 :: v_dual_add_nc_u32 v2, 1, v2
	s_delay_alu instid0(VALU_DEP_1) | instskip(NEXT) | instid1(VALU_DEP_1)
	v_and_b32_e32 v2, 3, v2
	v_cmpx_ne_u32_e32 0, v2
	s_cbranch_execz .LBB30_37
; %bb.34:
	v_lshlrev_b64 v[4:5], 2, v[65:66]
	v_dual_mov_b32 v3, 0 :: v_dual_lshlrev_b32 v2, 2, v2
	s_mov_b32 s6, 0
	s_delay_alu instid0(VALU_DEP_1) | instskip(NEXT) | instid1(VALU_DEP_3)
	v_mov_b32_e32 v78, v3
	v_add_co_u32 v4, vcc_lo, s8, v4
	s_delay_alu instid0(VALU_DEP_4)
	v_add_co_ci_u32_e32 v5, vcc_lo, s9, v5, vcc_lo
	v_mov_b32_e32 v84, v3
	v_mov_b32_e32 v82, v3
	;; [unrolled: 1-line block ×7, first 2 shown]
.LBB30_35:                              ; =>This Inner Loop Header: Depth=1
	global_load_b32 v18, v[4:5], off
	s_clause 0x2
	global_load_b128 v[6:9], v[69:70], off offset:32
	global_load_b128 v[10:13], v[69:70], off offset:16
	global_load_b128 v[14:17], v[69:70], off
	s_waitcnt vmcnt(3)
	v_subrev_nc_u32_e32 v18, s12, v18
	s_delay_alu instid0(VALU_DEP_1) | instskip(NEXT) | instid1(VALU_DEP_1)
	v_lshlrev_b32_e32 v18, 2, v18
	v_ashrrev_i32_e32 v19, 31, v18
	s_delay_alu instid0(VALU_DEP_1) | instskip(SKIP_1) | instid1(VALU_DEP_1)
	v_lshlrev_b64 v[18:19], 3, v[18:19]
	s_waitcnt lgkmcnt(0)
	v_add_co_u32 v22, vcc_lo, s4, v18
	s_delay_alu instid0(VALU_DEP_2)
	v_add_co_ci_u32_e32 v23, vcc_lo, s5, v19, vcc_lo
	s_clause 0x1
	global_load_b128 v[18:21], v[22:23], off
	global_load_b128 v[22:25], v[22:23], off offset:16
	s_clause 0x4
	global_load_b128 v[26:29], v[69:70], off offset:48
	global_load_b128 v[30:33], v[69:70], off offset:64
	;; [unrolled: 1-line block ×5, first 2 shown]
	v_add_co_u32 v69, vcc_lo, 0x200, v69
	v_add_co_ci_u32_e32 v70, vcc_lo, 0, v70, vcc_lo
	v_add_co_u32 v65, vcc_lo, v65, 4
	v_add_co_ci_u32_e32 v66, vcc_lo, 0, v66, vcc_lo
	v_add_co_u32 v2, vcc_lo, v2, -4
	v_add_co_ci_u32_e32 v3, vcc_lo, -1, v3, vcc_lo
	v_add_co_u32 v4, vcc_lo, v4, 16
	v_add_co_ci_u32_e32 v5, vcc_lo, 0, v5, vcc_lo
	s_delay_alu instid0(VALU_DEP_3) | instskip(SKIP_3) | instid1(VALU_DEP_1)
	v_cmp_eq_u64_e32 vcc_lo, 0, v[2:3]
	s_or_b32 s6, vcc_lo, s6
	s_waitcnt vmcnt(6)
	v_fmac_f32_e32 v81, v11, v18
	v_dual_fmac_f32 v78, v15, v18 :: v_dual_fmac_f32 v81, v10, v19
	s_delay_alu instid0(VALU_DEP_1) | instskip(NEXT) | instid1(VALU_DEP_1)
	v_dual_fmac_f32 v85, v16, v18 :: v_dual_fmac_f32 v78, v14, v19
	v_dual_fmac_f32 v83, v10, v18 :: v_dual_fmac_f32 v78, v7, v20
	s_delay_alu instid0(VALU_DEP_1) | instskip(SKIP_2) | instid1(VALU_DEP_3)
	v_fma_f32 v11, -v11, v19, v83
	s_waitcnt vmcnt(4)
	v_dual_fmac_f32 v80, v13, v18 :: v_dual_fmac_f32 v81, v27, v20
	v_fmac_f32_e32 v78, v6, v21
	s_delay_alu instid0(VALU_DEP_3) | instskip(NEXT) | instid1(VALU_DEP_3)
	v_fmac_f32_e32 v11, v26, v20
	v_dual_fmac_f32 v79, v17, v18 :: v_dual_fmac_f32 v80, v12, v19
	s_delay_alu instid0(VALU_DEP_4) | instskip(NEXT) | instid1(VALU_DEP_2)
	v_fmac_f32_e32 v81, v26, v21
	v_dual_fmac_f32 v79, v16, v19 :: v_dual_fmac_f32 v84, v14, v18
	v_fma_f32 v14, -v17, v19, v85
	s_delay_alu instid0(VALU_DEP_2) | instskip(NEXT) | instid1(VALU_DEP_3)
	v_fmac_f32_e32 v79, v9, v20
	v_fma_f32 v15, -v15, v19, v84
	v_fmac_f32_e32 v82, v12, v18
	v_fmac_f32_e32 v80, v29, v20
	;; [unrolled: 1-line block ×5, first 2 shown]
	v_fma_f32 v10, -v13, v19, v82
	v_fma_f32 v8, -v27, v21, v11
	;; [unrolled: 1-line block ×3, first 2 shown]
	s_waitcnt vmcnt(3)
	v_fmac_f32_e32 v79, v33, v22
	v_fma_f32 v7, -v7, v21, v15
	v_fmac_f32_e32 v10, v28, v20
	v_fmac_f32_e32 v80, v28, v21
	s_delay_alu instid0(VALU_DEP_4) | instskip(NEXT) | instid1(VALU_DEP_4)
	v_dual_fmac_f32 v78, v31, v22 :: v_dual_fmac_f32 v79, v32, v23
	v_fmac_f32_e32 v7, v30, v22
	s_delay_alu instid0(VALU_DEP_4)
	v_fma_f32 v9, -v29, v21, v10
	s_waitcnt vmcnt(2)
	v_fmac_f32_e32 v8, v34, v22
	s_waitcnt vmcnt(1)
	v_dual_fmac_f32 v78, v30, v23 :: v_dual_fmac_f32 v79, v41, v24
	v_fma_f32 v7, -v31, v23, v7
	v_fmac_f32_e32 v80, v37, v22
	s_delay_alu instid0(VALU_DEP_3) | instskip(SKIP_1) | instid1(VALU_DEP_4)
	v_dual_fmac_f32 v9, v36, v22 :: v_dual_fmac_f32 v78, v39, v24
	v_fma_f32 v8, -v35, v23, v8
	v_fmac_f32_e32 v7, v38, v24
	s_delay_alu instid0(VALU_DEP_4)
	v_dual_fmac_f32 v81, v35, v22 :: v_dual_fmac_f32 v80, v36, v23
	v_fmac_f32_e32 v6, v32, v22
	v_fma_f32 v9, -v37, v23, v9
	s_waitcnt vmcnt(0)
	v_dual_fmac_f32 v8, v42, v24 :: v_dual_fmac_f32 v79, v40, v25
	v_fmac_f32_e32 v81, v34, v23
	v_fma_f32 v6, -v33, v23, v6
	v_fmac_f32_e32 v9, v44, v24
	v_fmac_f32_e32 v80, v45, v24
	s_delay_alu instid0(VALU_DEP_4) | instskip(NEXT) | instid1(VALU_DEP_4)
	v_dual_fmac_f32 v78, v38, v25 :: v_dual_fmac_f32 v81, v43, v24
	v_fmac_f32_e32 v6, v40, v24
	v_fma_f32 v84, -v39, v25, v7
	v_fma_f32 v83, -v43, v25, v8
	;; [unrolled: 1-line block ×3, first 2 shown]
	v_fmac_f32_e32 v81, v42, v25
	v_fma_f32 v85, -v41, v25, v6
	v_fmac_f32_e32 v80, v44, v25
	s_and_not1_b32 exec_lo, exec_lo, s6
	s_cbranch_execnz .LBB30_35
; %bb.36:
	s_or_b32 exec_lo, exec_lo, s6
.LBB30_37:
	s_delay_alu instid0(SALU_CYCLE_1) | instskip(NEXT) | instid1(SALU_CYCLE_1)
	s_or_b32 exec_lo, exec_lo, s2
	s_mov_b32 s2, exec_lo
	v_cmpx_lt_u64_e32 11, v[0:1]
	s_cbranch_execz .LBB30_41
; %bb.38:
	v_lshlrev_b64 v[0:1], 2, v[65:66]
	s_mov_b32 s6, 0
	s_delay_alu instid0(VALU_DEP_1) | instskip(NEXT) | instid1(VALU_DEP_2)
	v_add_co_u32 v0, vcc_lo, v0, s8
	v_add_co_ci_u32_e32 v1, vcc_lo, s9, v1, vcc_lo
	s_delay_alu instid0(VALU_DEP_2) | instskip(NEXT) | instid1(VALU_DEP_2)
	v_add_co_u32 v71, vcc_lo, v0, 32
	v_add_co_ci_u32_e32 v72, vcc_lo, 0, v1, vcc_lo
.LBB30_39:                              ; =>This Inner Loop Header: Depth=1
	global_load_b32 v86, v[71:72], off offset:-32
	s_clause 0xf
	global_load_b128 v[8:11], v[69:70], off offset:48
	global_load_b128 v[20:23], v[69:70], off offset:32
	;; [unrolled: 1-line block ×3, first 2 shown]
	global_load_b128 v[60:63], v[69:70], off
	global_load_b128 v[32:35], v[69:70], off offset:112
	global_load_b128 v[40:43], v[69:70], off offset:96
	;; [unrolled: 1-line block ×12, first 2 shown]
	s_clause 0x2
	global_load_b32 v143, v[71:72], off offset:-16
	global_load_b32 v144, v[71:72], off
	global_load_b32 v145, v[71:72], off offset:16
	s_clause 0xb
	global_load_b128 v[87:90], v[69:70], off offset:1072
	global_load_b128 v[91:94], v[69:70], off offset:1056
	;; [unrolled: 1-line block ×12, first 2 shown]
	s_waitcnt vmcnt(31)
	v_subrev_nc_u32_e32 v86, s12, v86
	s_delay_alu instid0(VALU_DEP_1) | instskip(NEXT) | instid1(VALU_DEP_1)
	v_lshlrev_b32_e32 v135, 2, v86
	v_ashrrev_i32_e32 v136, 31, v135
	s_delay_alu instid0(VALU_DEP_1) | instskip(SKIP_1) | instid1(VALU_DEP_1)
	v_lshlrev_b64 v[135:136], 3, v[135:136]
	s_waitcnt lgkmcnt(0)
	v_add_co_u32 v139, vcc_lo, s4, v135
	s_delay_alu instid0(VALU_DEP_2)
	v_add_co_ci_u32_e32 v140, vcc_lo, s5, v136, vcc_lo
	s_clause 0x1
	global_load_b128 v[135:138], v[139:140], off
	global_load_b128 v[139:142], v[139:140], off offset:16
	s_waitcnt vmcnt(1)
	v_fmac_f32_e32 v80, v59, v135
	s_delay_alu instid0(VALU_DEP_1) | instskip(NEXT) | instid1(VALU_DEP_1)
	v_dual_fmac_f32 v79, v63, v135 :: v_dual_fmac_f32 v80, v58, v136
	v_dual_fmac_f32 v84, v60, v135 :: v_dual_fmac_f32 v79, v62, v136
	v_fmac_f32_e32 v82, v58, v135
	s_delay_alu instid0(VALU_DEP_2) | instskip(NEXT) | instid1(VALU_DEP_3)
	v_fma_f32 v84, -v61, v136, v84
	v_fmac_f32_e32 v79, v23, v137
	v_fmac_f32_e32 v81, v57, v135
	s_delay_alu instid0(VALU_DEP_4) | instskip(SKIP_2) | instid1(VALU_DEP_4)
	v_fma_f32 v146, -v59, v136, v82
	v_subrev_nc_u32_e32 v82, s12, v143
	v_fmac_f32_e32 v84, v20, v137
	v_dual_fmac_f32 v78, v61, v135 :: v_dual_fmac_f32 v81, v56, v136
	s_delay_alu instid0(VALU_DEP_3) | instskip(NEXT) | instid1(VALU_DEP_2)
	v_dual_fmac_f32 v85, v62, v135 :: v_dual_lshlrev_b32 v82, 2, v82
	v_fmac_f32_e32 v78, v60, v136
	v_fmac_f32_e32 v83, v56, v135
	s_delay_alu instid0(VALU_DEP_3)
	v_fma_f32 v85, -v63, v136, v85
	v_subrev_nc_u32_e32 v135, s12, v145
	v_fma_f32 v145, -v21, v138, v84
	v_fmac_f32_e32 v78, v21, v137
	v_fma_f32 v86, -v57, v136, v83
	v_subrev_nc_u32_e32 v83, s12, v144
	v_fmac_f32_e32 v79, v22, v138
	s_delay_alu instid0(VALU_DEP_4) | instskip(NEXT) | instid1(VALU_DEP_3)
	v_dual_fmac_f32 v85, v22, v137 :: v_dual_fmac_f32 v78, v20, v138
	v_dual_fmac_f32 v81, v9, v137 :: v_dual_lshlrev_b32 v20, 2, v83
	v_ashrrev_i32_e32 v83, 31, v82
	v_lshlrev_b32_e32 v22, 2, v135
	s_delay_alu instid0(VALU_DEP_4) | instskip(NEXT) | instid1(VALU_DEP_4)
	v_fma_f32 v147, -v23, v138, v85
	v_fmac_f32_e32 v81, v8, v138
	v_ashrrev_i32_e32 v21, 31, v20
	v_lshlrev_b64 v[82:83], 3, v[82:83]
	v_ashrrev_i32_e32 v23, 31, v22
	s_waitcnt vmcnt(0)
	v_dual_fmac_f32 v86, v8, v137 :: v_dual_fmac_f32 v147, v54, v139
	v_lshlrev_b64 v[20:21], 3, v[20:21]
	v_dual_fmac_f32 v146, v10, v137 :: v_dual_fmac_f32 v145, v52, v139
	v_lshlrev_b64 v[22:23], 3, v[22:23]
	v_add_co_u32 v82, vcc_lo, s4, v82
	v_add_co_ci_u32_e32 v83, vcc_lo, s5, v83, vcc_lo
	v_add_co_u32 v135, vcc_lo, s4, v20
	v_fmac_f32_e32 v79, v55, v139
	v_fmac_f32_e32 v80, v11, v137
	v_add_co_ci_u32_e32 v136, vcc_lo, s5, v21, vcc_lo
	v_add_co_u32 v143, vcc_lo, s4, v22
	s_delay_alu instid0(VALU_DEP_4)
	v_fmac_f32_e32 v79, v54, v140
	s_clause 0x1
	global_load_b128 v[60:63], v[69:70], off offset:1600
	global_load_b128 v[56:59], v[69:70], off offset:1616
	v_add_co_ci_u32_e32 v144, vcc_lo, s5, v23, vcc_lo
	v_fma_f32 v86, -v9, v138, v86
	v_fma_f32 v137, -v11, v138, v146
	v_dual_fmac_f32 v80, v10, v138 :: v_dual_fmac_f32 v81, v49, v139
	s_clause 0x2
	global_load_b128 v[8:11], v[82:83], off
	global_load_b128 v[20:23], v[82:83], off offset:16
	global_load_b128 v[82:85], v[135:136], off
	v_fmac_f32_e32 v78, v53, v139
	v_fma_f32 v138, -v53, v140, v145
	v_fma_f32 v145, -v55, v140, v147
	v_fmac_f32_e32 v81, v48, v140
	v_fmac_f32_e32 v86, v48, v139
	;; [unrolled: 1-line block ×3, first 2 shown]
	global_load_b128 v[52:55], v[135:136], off offset:16
	v_dual_fmac_f32 v137, v50, v139 :: v_dual_fmac_f32 v138, v40, v141
	v_fmac_f32_e32 v79, v43, v141
	v_dual_fmac_f32 v80, v51, v139 :: v_dual_fmac_f32 v145, v42, v141
	v_fma_f32 v86, -v49, v140, v86
	s_delay_alu instid0(VALU_DEP_4) | instskip(NEXT) | instid1(VALU_DEP_4)
	v_fma_f32 v139, -v51, v140, v137
	v_fmac_f32_e32 v79, v42, v142
	s_delay_alu instid0(VALU_DEP_4)
	v_dual_fmac_f32 v80, v50, v140 :: v_dual_fmac_f32 v81, v33, v141
	global_load_b128 v[48:51], v[143:144], off
	v_fmac_f32_e32 v78, v41, v141
	v_fma_f32 v140, -v41, v142, v138
	v_fma_f32 v145, -v43, v142, v145
	v_fmac_f32_e32 v81, v32, v142
	v_fmac_f32_e32 v86, v32, v141
	;; [unrolled: 1-line block ×3, first 2 shown]
	global_load_b128 v[40:43], v[69:70], off offset:1632
	global_load_b128 v[135:138], v[143:144], off offset:16
	v_fmac_f32_e32 v139, v34, v141
	s_waitcnt vmcnt(6)
	v_dual_fmac_f32 v80, v35, v141 :: v_dual_fmac_f32 v81, v13, v8
	s_delay_alu instid0(VALU_DEP_1)
	v_dual_fmac_f32 v80, v34, v142 :: v_dual_fmac_f32 v79, v19, v8
	v_fmac_f32_e32 v140, v16, v8
	v_fma_f32 v139, -v35, v142, v139
	v_fmac_f32_e32 v145, v18, v8
	v_fma_f32 v86, -v33, v142, v86
	global_load_b128 v[32:35], v[69:70], off offset:1648
	v_dual_fmac_f32 v78, v17, v8 :: v_dual_fmac_f32 v79, v18, v9
	v_fmac_f32_e32 v139, v14, v8
	v_fmac_f32_e32 v86, v12, v8
	v_dual_fmac_f32 v80, v15, v8 :: v_dual_fmac_f32 v81, v12, v9
	v_fma_f32 v8, -v17, v9, v140
	v_fmac_f32_e32 v78, v16, v9
	v_fma_f32 v16, -v19, v9, v145
	v_fmac_f32_e32 v79, v7, v10
	;; [unrolled: 2-line block ×3, first 2 shown]
	v_dual_fmac_f32 v80, v14, v9 :: v_dual_fmac_f32 v81, v1, v10
	v_fmac_f32_e32 v78, v5, v10
	s_delay_alu instid0(VALU_DEP_4)
	v_fmac_f32_e32 v13, v0, v10
	v_fmac_f32_e32 v79, v6, v11
	v_fma_f32 v5, -v5, v11, v8
	v_dual_fmac_f32 v81, v0, v11 :: v_dual_fmac_f32 v16, v6, v10
	v_fma_f32 v12, -v15, v9, v139
	v_fmac_f32_e32 v78, v4, v11
	s_waitcnt vmcnt(6)
	v_fmac_f32_e32 v5, v44, v20
	v_fma_f32 v1, -v1, v11, v13
	v_fmac_f32_e32 v80, v3, v10
	v_fma_f32 v4, -v7, v11, v16
	v_dual_fmac_f32 v12, v2, v10 :: v_dual_fmac_f32 v79, v47, v20
	s_delay_alu instid0(VALU_DEP_3) | instskip(SKIP_1) | instid1(VALU_DEP_4)
	v_dual_fmac_f32 v1, v36, v20 :: v_dual_fmac_f32 v80, v2, v11
	v_fmac_f32_e32 v81, v37, v20
	v_fmac_f32_e32 v4, v46, v20
	s_delay_alu instid0(VALU_DEP_4) | instskip(SKIP_1) | instid1(VALU_DEP_4)
	v_fma_f32 v0, -v3, v11, v12
	v_dual_fmac_f32 v78, v45, v20 :: v_dual_fmac_f32 v79, v46, v21
	v_fmac_f32_e32 v81, v36, v21
	s_delay_alu instid0(VALU_DEP_4) | instskip(SKIP_1) | instid1(VALU_DEP_4)
	v_fma_f32 v3, -v47, v21, v4
	v_fmac_f32_e32 v80, v39, v20
	v_fmac_f32_e32 v78, v44, v21
	v_fma_f32 v1, -v37, v21, v1
	v_fmac_f32_e32 v81, v25, v22
	v_fmac_f32_e32 v3, v30, v22
	;; [unrolled: 1-line block ×6, first 2 shown]
	v_fma_f32 v3, -v31, v23, v3
	v_dual_fmac_f32 v0, v38, v20 :: v_dual_fmac_f32 v79, v31, v22
	v_fmac_f32_e32 v78, v28, v23
	v_fma_f32 v2, -v45, v21, v5
	s_waitcnt vmcnt(5)
	v_fmac_f32_e32 v3, v101, v82
	v_fma_f32 v1, -v25, v23, v1
	v_fmac_f32_e32 v79, v30, v23
	v_fma_f32 v0, -v39, v21, v0
	v_fmac_f32_e32 v2, v28, v22
	v_fma_f32 v3, -v102, v83, v3
	v_fmac_f32_e32 v80, v27, v22
	v_fmac_f32_e32 v1, v95, v82
	v_add_co_u32 v69, vcc_lo, 0x800, v69
	s_delay_alu instid0(VALU_DEP_3) | instskip(SKIP_1) | instid1(VALU_DEP_4)
	v_dual_fmac_f32 v3, v93, v84 :: v_dual_fmac_f32 v80, v26, v23
	v_fma_f32 v2, -v29, v23, v2
	v_fma_f32 v1, -v96, v83, v1
	v_add_co_ci_u32_e32 v70, vcc_lo, 0, v70, vcc_lo
	s_delay_alu instid0(VALU_DEP_4) | instskip(SKIP_1) | instid1(VALU_DEP_4)
	v_fmac_f32_e32 v80, v98, v82
	v_fmac_f32_e32 v81, v96, v82
	;; [unrolled: 1-line block ×3, first 2 shown]
	v_fma_f32 v3, -v94, v85, v3
	v_add_co_u32 v65, vcc_lo, v65, 16
	v_fmac_f32_e32 v80, v97, v83
	v_dual_fmac_f32 v78, v100, v82 :: v_dual_fmac_f32 v81, v95, v83
	v_fmac_f32_e32 v79, v102, v82
	v_fma_f32 v1, -v88, v85, v1
	s_waitcnt vmcnt(4)
	s_delay_alu instid0(VALU_DEP_3) | instskip(NEXT) | instid1(VALU_DEP_3)
	v_dual_fmac_f32 v3, v117, v52 :: v_dual_fmac_f32 v78, v99, v83
	v_dual_fmac_f32 v0, v26, v22 :: v_dual_fmac_f32 v79, v101, v83
	;; [unrolled: 1-line block ×3, first 2 shown]
	s_delay_alu instid0(VALU_DEP_3) | instskip(NEXT) | instid1(VALU_DEP_3)
	v_fmac_f32_e32 v78, v92, v84
	v_fma_f32 v0, -v27, v23, v0
	s_delay_alu instid0(VALU_DEP_4) | instskip(NEXT) | instid1(VALU_DEP_4)
	v_fmac_f32_e32 v79, v94, v84
	v_fma_f32 v2, -v100, v83, v2
	v_fmac_f32_e32 v81, v87, v85
	s_delay_alu instid0(VALU_DEP_4) | instskip(NEXT) | instid1(VALU_DEP_3)
	v_dual_fmac_f32 v1, v111, v52 :: v_dual_fmac_f32 v0, v97, v82
	v_dual_fmac_f32 v79, v93, v85 :: v_dual_fmac_f32 v2, v91, v84
	v_fmac_f32_e32 v78, v91, v85
	v_fma_f32 v3, -v118, v53, v3
	s_delay_alu instid0(VALU_DEP_4) | instskip(NEXT) | instid1(VALU_DEP_4)
	v_fma_f32 v0, -v98, v83, v0
	v_fmac_f32_e32 v79, v118, v52
	v_fmac_f32_e32 v80, v90, v84
	v_fma_f32 v2, -v92, v85, v2
	v_fma_f32 v1, -v112, v53, v1
	v_fmac_f32_e32 v3, v109, v54
	v_fmac_f32_e32 v79, v117, v53
	;; [unrolled: 1-line block ×4, first 2 shown]
	v_dual_fmac_f32 v78, v116, v52 :: v_dual_fmac_f32 v1, v103, v54
	s_delay_alu instid0(VALU_DEP_4) | instskip(NEXT) | instid1(VALU_DEP_4)
	v_fmac_f32_e32 v79, v110, v54
	v_fmac_f32_e32 v80, v114, v52
	;; [unrolled: 1-line block ×3, first 2 shown]
	v_fma_f32 v2, -v116, v53, v2
	s_delay_alu instid0(VALU_DEP_4) | instskip(NEXT) | instid1(VALU_DEP_4)
	v_dual_fmac_f32 v78, v115, v53 :: v_dual_fmac_f32 v79, v109, v55
	v_fmac_f32_e32 v80, v113, v53
	s_delay_alu instid0(VALU_DEP_4) | instskip(NEXT) | instid1(VALU_DEP_4)
	v_dual_fmac_f32 v0, v89, v84 :: v_dual_fmac_f32 v81, v111, v53
	v_fmac_f32_e32 v2, v107, v54
	v_fma_f32 v3, -v110, v55, v3
	s_delay_alu instid0(VALU_DEP_4) | instskip(NEXT) | instid1(VALU_DEP_4)
	v_fmac_f32_e32 v80, v106, v54
	v_fma_f32 v0, -v90, v85, v0
	v_fmac_f32_e32 v81, v104, v54
	v_fmac_f32_e32 v78, v108, v54
	v_fma_f32 v2, -v108, v55, v2
	s_waitcnt vmcnt(3)
	v_fmac_f32_e32 v79, v134, v48
	v_fmac_f32_e32 v0, v113, v52
	v_fma_f32 v1, -v104, v55, v1
	v_fmac_f32_e32 v81, v103, v55
	v_fmac_f32_e32 v78, v107, v55
	v_dual_fmac_f32 v2, v131, v48 :: v_dual_fmac_f32 v79, v133, v49
	v_fma_f32 v0, -v114, v53, v0
	v_fmac_f32_e32 v3, v133, v48
	v_dual_fmac_f32 v80, v105, v55 :: v_dual_fmac_f32 v1, v127, v48
	s_delay_alu instid0(VALU_DEP_3) | instskip(SKIP_3) | instid1(VALU_DEP_4)
	v_dual_fmac_f32 v81, v128, v48 :: v_dual_fmac_f32 v0, v105, v54
	v_fmac_f32_e32 v78, v132, v48
	v_fma_f32 v2, -v132, v49, v2
	v_fma_f32 v3, -v134, v49, v3
	v_fmac_f32_e32 v81, v127, v49
	v_fma_f32 v0, -v106, v55, v0
	v_fmac_f32_e32 v80, v130, v48
	v_fmac_f32_e32 v79, v126, v50
	v_dual_fmac_f32 v3, v125, v50 :: v_dual_fmac_f32 v78, v131, v49
	s_delay_alu instid0(VALU_DEP_4) | instskip(SKIP_3) | instid1(VALU_DEP_4)
	v_dual_fmac_f32 v81, v120, v50 :: v_dual_fmac_f32 v0, v129, v48
	v_fma_f32 v1, -v128, v49, v1
	v_fmac_f32_e32 v80, v129, v49
	v_dual_fmac_f32 v2, v123, v50 :: v_dual_fmac_f32 v79, v125, v51
	v_dual_fmac_f32 v78, v124, v50 :: v_dual_fmac_f32 v81, v119, v51
	s_delay_alu instid0(VALU_DEP_4) | instskip(SKIP_1) | instid1(VALU_DEP_3)
	v_fmac_f32_e32 v1, v119, v50
	s_waitcnt vmcnt(1)
	v_dual_fmac_f32 v80, v122, v50 :: v_dual_fmac_f32 v79, v63, v135
	s_delay_alu instid0(VALU_DEP_3) | instskip(SKIP_3) | instid1(VALU_DEP_4)
	v_fmac_f32_e32 v78, v123, v51
	v_fma_f32 v0, -v130, v49, v0
	v_fma_f32 v3, -v126, v51, v3
	;; [unrolled: 1-line block ×3, first 2 shown]
	v_dual_fmac_f32 v79, v62, v136 :: v_dual_fmac_f32 v78, v61, v135
	s_delay_alu instid0(VALU_DEP_3) | instskip(SKIP_1) | instid1(VALU_DEP_3)
	v_dual_fmac_f32 v0, v121, v50 :: v_dual_fmac_f32 v3, v62, v135
	v_fma_f32 v2, -v124, v51, v2
	v_fmac_f32_e32 v79, v43, v137
	s_delay_alu instid0(VALU_DEP_4) | instskip(SKIP_3) | instid1(VALU_DEP_4)
	v_dual_fmac_f32 v81, v57, v135 :: v_dual_fmac_f32 v78, v60, v136
	v_fmac_f32_e32 v80, v121, v51
	v_fma_f32 v0, -v122, v51, v0
	v_fma_f32 v3, -v63, v136, v3
	v_fmac_f32_e32 v81, v56, v136
	v_fmac_f32_e32 v2, v60, v135
	;; [unrolled: 1-line block ×3, first 2 shown]
	v_add_co_ci_u32_e32 v66, vcc_lo, 0, v66, vcc_lo
	v_fmac_f32_e32 v3, v42, v137
	s_delay_alu instid0(VALU_DEP_4) | instskip(SKIP_2) | instid1(VALU_DEP_3)
	v_fma_f32 v2, -v61, v136, v2
	v_add_co_u32 v71, vcc_lo, v71, 64
	v_add_co_ci_u32_e32 v72, vcc_lo, 0, v72, vcc_lo
	v_dual_fmac_f32 v2, v40, v137 :: v_dual_fmac_f32 v79, v42, v138
	v_cmp_ge_i64_e32 vcc_lo, v[65:66], v[67:68]
	v_fma_f32 v85, -v43, v138, v3
	s_delay_alu instid0(VALU_DEP_3) | instskip(SKIP_4) | instid1(VALU_DEP_2)
	v_fma_f32 v84, -v41, v138, v2
	s_or_b32 s6, vcc_lo, s6
	s_waitcnt vmcnt(0)
	v_fmac_f32_e32 v81, v33, v137
	v_dual_fmac_f32 v1, v56, v135 :: v_dual_fmac_f32 v80, v58, v136
	v_dual_fmac_f32 v78, v41, v137 :: v_dual_fmac_f32 v81, v32, v138
	s_delay_alu instid0(VALU_DEP_2) | instskip(SKIP_1) | instid1(VALU_DEP_4)
	v_fma_f32 v1, -v57, v136, v1
	v_fmac_f32_e32 v0, v58, v135
	v_fmac_f32_e32 v80, v35, v137
	s_delay_alu instid0(VALU_DEP_4) | instskip(NEXT) | instid1(VALU_DEP_4)
	v_fmac_f32_e32 v78, v40, v138
	v_fmac_f32_e32 v1, v32, v137
	s_delay_alu instid0(VALU_DEP_4) | instskip(NEXT) | instid1(VALU_DEP_4)
	v_fma_f32 v0, -v59, v136, v0
	v_fmac_f32_e32 v80, v34, v138
	s_delay_alu instid0(VALU_DEP_3) | instskip(NEXT) | instid1(VALU_DEP_3)
	v_fma_f32 v83, -v33, v138, v1
	v_fmac_f32_e32 v0, v34, v137
	s_delay_alu instid0(VALU_DEP_1)
	v_fma_f32 v82, -v35, v138, v0
	s_and_not1_b32 exec_lo, exec_lo, s6
	s_cbranch_execnz .LBB30_39
; %bb.40:
	s_or_b32 exec_lo, exec_lo, s6
.LBB30_41:
	s_delay_alu instid0(SALU_CYCLE_1)
	s_or_b32 exec_lo, exec_lo, s2
.LBB30_42:
	s_delay_alu instid0(SALU_CYCLE_1)
	s_or_b32 exec_lo, exec_lo, s3
.LBB30_43:
	v_mbcnt_lo_u32_b32 v0, -1, 0
	s_delay_alu instid0(VALU_DEP_1) | instskip(NEXT) | instid1(VALU_DEP_1)
	v_xor_b32_e32 v1, 2, v0
	v_cmp_gt_i32_e32 vcc_lo, 32, v1
	v_cndmask_b32_e32 v1, v0, v1, vcc_lo
	s_delay_alu instid0(VALU_DEP_1)
	v_lshlrev_b32_e32 v1, 2, v1
	ds_bpermute_b32 v2, v1, v84
	ds_bpermute_b32 v3, v1, v78
	;; [unrolled: 1-line block ×8, first 2 shown]
	v_xor_b32_e32 v1, 1, v0
	s_delay_alu instid0(VALU_DEP_1) | instskip(SKIP_4) | instid1(VALU_DEP_3)
	v_cmp_gt_i32_e32 vcc_lo, 32, v1
	v_cndmask_b32_e32 v0, v0, v1, vcc_lo
	v_cmp_eq_u32_e32 vcc_lo, 3, v77
	s_waitcnt lgkmcnt(0)
	v_add_f32_e32 v1, v78, v3
	v_dual_add_f32 v0, v84, v2 :: v_dual_lshlrev_b32 v15, 2, v0
	v_add_f32_e32 v2, v85, v4
	v_add_f32_e32 v4, v83, v6
	v_dual_add_f32 v3, v79, v5 :: v_dual_add_f32 v6, v82, v8
	v_add_f32_e32 v5, v81, v7
	v_add_f32_e32 v7, v80, v9
	ds_bpermute_b32 v8, v15, v0
	ds_bpermute_b32 v9, v15, v1
	ds_bpermute_b32 v10, v15, v2
	ds_bpermute_b32 v11, v15, v3
	ds_bpermute_b32 v12, v15, v4
	ds_bpermute_b32 v13, v15, v5
	ds_bpermute_b32 v14, v15, v6
	ds_bpermute_b32 v15, v15, v7
	s_and_b32 exec_lo, exec_lo, vcc_lo
	s_cbranch_execz .LBB30_13
; %bb.44:
	s_load_b64 s[2:3], s[0:1], 0x50
	s_waitcnt lgkmcnt(0)
	v_add_f32_e32 v8, v0, v8
	v_dual_add_f32 v0, v1, v9 :: v_dual_add_f32 v1, v3, v11
	v_dual_add_f32 v9, v2, v10 :: v_dual_add_f32 v2, v5, v13
	;; [unrolled: 1-line block ×3, first 2 shown]
	v_add_f32_e32 v11, v6, v14
	s_delay_alu instid0(VALU_DEP_4)
	v_mul_f32_e64 v4, v0, -v76
	v_mul_f32_e32 v5, v0, v75
	v_mul_f32_e64 v6, v1, -v76
	v_mul_f32_e32 v7, v1, v75
	;; [unrolled: 2-line block ×3, first 2 shown]
	v_mul_f32_e64 v2, v3, -v76
	v_fmac_f32_e32 v6, v75, v9
	v_mul_f32_e32 v3, v3, v75
	v_cmp_eq_f32_e32 vcc_lo, 0, v73
	v_cmp_eq_f32_e64 s0, 0, v74
	v_fmac_f32_e32 v4, v75, v8
	v_dual_fmac_f32 v5, v76, v8 :: v_dual_fmac_f32 v0, v75, v10
	v_dual_fmac_f32 v7, v76, v9 :: v_dual_lshlrev_b32 v8, 2, v64
	v_dual_fmac_f32 v2, v75, v11 :: v_dual_fmac_f32 v1, v76, v10
	v_fmac_f32_e32 v3, v76, v11
	s_and_b32 s0, vcc_lo, s0
	s_delay_alu instid0(SALU_CYCLE_1) | instskip(NEXT) | instid1(SALU_CYCLE_1)
	s_and_saveexec_b32 s1, s0
	s_xor_b32 s0, exec_lo, s1
; %bb.45:
	v_ashrrev_i32_e32 v9, 31, v8
                                        ; implicit-def: $vgpr73
                                        ; implicit-def: $vgpr74
	s_delay_alu instid0(VALU_DEP_1) | instskip(NEXT) | instid1(VALU_DEP_1)
	v_lshlrev_b64 v[8:9], 3, v[8:9]
	v_add_co_u32 v8, vcc_lo, s2, v8
	s_delay_alu instid0(VALU_DEP_2)
	v_add_co_ci_u32_e32 v9, vcc_lo, s3, v9, vcc_lo
	s_clause 0x1
	global_store_b128 v[8:9], v[4:7], off
	global_store_b128 v[8:9], v[0:3], off offset:16
                                        ; implicit-def: $vgpr4
                                        ; implicit-def: $vgpr8
                                        ; implicit-def: $vgpr0
; %bb.46:
	s_and_not1_saveexec_b32 s0, s0
	s_cbranch_execz .LBB30_13
; %bb.47:
	v_ashrrev_i32_e32 v9, 31, v8
	s_delay_alu instid0(VALU_DEP_1) | instskip(NEXT) | instid1(VALU_DEP_1)
	v_lshlrev_b64 v[8:9], 3, v[8:9]
	v_add_co_u32 v16, vcc_lo, s2, v8
	s_delay_alu instid0(VALU_DEP_2)
	v_add_co_ci_u32_e32 v17, vcc_lo, s3, v9, vcc_lo
	s_clause 0x1
	global_load_b128 v[8:11], v[16:17], off
	global_load_b128 v[12:15], v[16:17], off offset:16
	s_waitcnt vmcnt(1)
	v_dual_fmac_f32 v4, v73, v8 :: v_dual_fmac_f32 v7, v74, v10
	v_dual_fmac_f32 v5, v74, v8 :: v_dual_fmac_f32 v6, v73, v10
	s_waitcnt vmcnt(0)
	v_dual_fmac_f32 v0, v73, v12 :: v_dual_fmac_f32 v3, v74, v14
	v_dual_fmac_f32 v1, v74, v12 :: v_dual_fmac_f32 v2, v73, v14
	v_fma_f32 v4, -v74, v9, v4
	v_fmac_f32_e32 v5, v73, v9
	v_fma_f32 v6, -v74, v11, v6
	v_fmac_f32_e32 v7, v73, v11
	;; [unrolled: 2-line block ×4, first 2 shown]
	s_clause 0x1
	global_store_b128 v[16:17], v[4:7], off
	global_store_b128 v[16:17], v[0:3], off offset:16
	s_nop 0
	s_sendmsg sendmsg(MSG_DEALLOC_VGPRS)
	s_endpgm
	.section	.rodata,"a",@progbits
	.p2align	6, 0x0
	.amdhsa_kernel _ZN9rocsparseL18bsrxmvn_4x4_kernelILj128ELj4E21rocsparse_complex_numIfEliS2_S2_S2_EEvT3_20rocsparse_direction_NS_24const_host_device_scalarIT1_EES3_PKS3_PKT2_SC_S9_PKT4_PKT5_S7_PT6_21rocsparse_index_base_b
		.amdhsa_group_segment_fixed_size 0
		.amdhsa_private_segment_fixed_size 0
		.amdhsa_kernarg_size 96
		.amdhsa_user_sgpr_count 15
		.amdhsa_user_sgpr_dispatch_ptr 0
		.amdhsa_user_sgpr_queue_ptr 0
		.amdhsa_user_sgpr_kernarg_segment_ptr 1
		.amdhsa_user_sgpr_dispatch_id 0
		.amdhsa_user_sgpr_private_segment_size 0
		.amdhsa_wavefront_size32 1
		.amdhsa_uses_dynamic_stack 0
		.amdhsa_enable_private_segment 0
		.amdhsa_system_sgpr_workgroup_id_x 1
		.amdhsa_system_sgpr_workgroup_id_y 0
		.amdhsa_system_sgpr_workgroup_id_z 0
		.amdhsa_system_sgpr_workgroup_info 0
		.amdhsa_system_vgpr_workitem_id 0
		.amdhsa_next_free_vgpr 182
		.amdhsa_next_free_sgpr 16
		.amdhsa_reserve_vcc 1
		.amdhsa_float_round_mode_32 0
		.amdhsa_float_round_mode_16_64 0
		.amdhsa_float_denorm_mode_32 3
		.amdhsa_float_denorm_mode_16_64 3
		.amdhsa_dx10_clamp 1
		.amdhsa_ieee_mode 1
		.amdhsa_fp16_overflow 0
		.amdhsa_workgroup_processor_mode 1
		.amdhsa_memory_ordered 1
		.amdhsa_forward_progress 0
		.amdhsa_shared_vgpr_count 0
		.amdhsa_exception_fp_ieee_invalid_op 0
		.amdhsa_exception_fp_denorm_src 0
		.amdhsa_exception_fp_ieee_div_zero 0
		.amdhsa_exception_fp_ieee_overflow 0
		.amdhsa_exception_fp_ieee_underflow 0
		.amdhsa_exception_fp_ieee_inexact 0
		.amdhsa_exception_int_div_zero 0
	.end_amdhsa_kernel
	.section	.text._ZN9rocsparseL18bsrxmvn_4x4_kernelILj128ELj4E21rocsparse_complex_numIfEliS2_S2_S2_EEvT3_20rocsparse_direction_NS_24const_host_device_scalarIT1_EES3_PKS3_PKT2_SC_S9_PKT4_PKT5_S7_PT6_21rocsparse_index_base_b,"axG",@progbits,_ZN9rocsparseL18bsrxmvn_4x4_kernelILj128ELj4E21rocsparse_complex_numIfEliS2_S2_S2_EEvT3_20rocsparse_direction_NS_24const_host_device_scalarIT1_EES3_PKS3_PKT2_SC_S9_PKT4_PKT5_S7_PT6_21rocsparse_index_base_b,comdat
.Lfunc_end30:
	.size	_ZN9rocsparseL18bsrxmvn_4x4_kernelILj128ELj4E21rocsparse_complex_numIfEliS2_S2_S2_EEvT3_20rocsparse_direction_NS_24const_host_device_scalarIT1_EES3_PKS3_PKT2_SC_S9_PKT4_PKT5_S7_PT6_21rocsparse_index_base_b, .Lfunc_end30-_ZN9rocsparseL18bsrxmvn_4x4_kernelILj128ELj4E21rocsparse_complex_numIfEliS2_S2_S2_EEvT3_20rocsparse_direction_NS_24const_host_device_scalarIT1_EES3_PKS3_PKT2_SC_S9_PKT4_PKT5_S7_PT6_21rocsparse_index_base_b
                                        ; -- End function
	.section	.AMDGPU.csdata,"",@progbits
; Kernel info:
; codeLenInByte = 7340
; NumSgprs: 18
; NumVgprs: 182
; ScratchSize: 0
; MemoryBound: 0
; FloatMode: 240
; IeeeMode: 1
; LDSByteSize: 0 bytes/workgroup (compile time only)
; SGPRBlocks: 2
; VGPRBlocks: 22
; NumSGPRsForWavesPerEU: 18
; NumVGPRsForWavesPerEU: 182
; Occupancy: 8
; WaveLimiterHint : 1
; COMPUTE_PGM_RSRC2:SCRATCH_EN: 0
; COMPUTE_PGM_RSRC2:USER_SGPR: 15
; COMPUTE_PGM_RSRC2:TRAP_HANDLER: 0
; COMPUTE_PGM_RSRC2:TGID_X_EN: 1
; COMPUTE_PGM_RSRC2:TGID_Y_EN: 0
; COMPUTE_PGM_RSRC2:TGID_Z_EN: 0
; COMPUTE_PGM_RSRC2:TIDIG_COMP_CNT: 0
	.section	.text._ZN9rocsparseL18bsrxmvn_4x4_kernelILj128ELj8E21rocsparse_complex_numIfEliS2_S2_S2_EEvT3_20rocsparse_direction_NS_24const_host_device_scalarIT1_EES3_PKS3_PKT2_SC_S9_PKT4_PKT5_S7_PT6_21rocsparse_index_base_b,"axG",@progbits,_ZN9rocsparseL18bsrxmvn_4x4_kernelILj128ELj8E21rocsparse_complex_numIfEliS2_S2_S2_EEvT3_20rocsparse_direction_NS_24const_host_device_scalarIT1_EES3_PKS3_PKT2_SC_S9_PKT4_PKT5_S7_PT6_21rocsparse_index_base_b,comdat
	.globl	_ZN9rocsparseL18bsrxmvn_4x4_kernelILj128ELj8E21rocsparse_complex_numIfEliS2_S2_S2_EEvT3_20rocsparse_direction_NS_24const_host_device_scalarIT1_EES3_PKS3_PKT2_SC_S9_PKT4_PKT5_S7_PT6_21rocsparse_index_base_b ; -- Begin function _ZN9rocsparseL18bsrxmvn_4x4_kernelILj128ELj8E21rocsparse_complex_numIfEliS2_S2_S2_EEvT3_20rocsparse_direction_NS_24const_host_device_scalarIT1_EES3_PKS3_PKT2_SC_S9_PKT4_PKT5_S7_PT6_21rocsparse_index_base_b
	.p2align	8
	.type	_ZN9rocsparseL18bsrxmvn_4x4_kernelILj128ELj8E21rocsparse_complex_numIfEliS2_S2_S2_EEvT3_20rocsparse_direction_NS_24const_host_device_scalarIT1_EES3_PKS3_PKT2_SC_S9_PKT4_PKT5_S7_PT6_21rocsparse_index_base_b,@function
_ZN9rocsparseL18bsrxmvn_4x4_kernelILj128ELj8E21rocsparse_complex_numIfEliS2_S2_S2_EEvT3_20rocsparse_direction_NS_24const_host_device_scalarIT1_EES3_PKS3_PKT2_SC_S9_PKT4_PKT5_S7_PT6_21rocsparse_index_base_b: ; @_ZN9rocsparseL18bsrxmvn_4x4_kernelILj128ELj8E21rocsparse_complex_numIfEliS2_S2_S2_EEvT3_20rocsparse_direction_NS_24const_host_device_scalarIT1_EES3_PKS3_PKT2_SC_S9_PKT4_PKT5_S7_PT6_21rocsparse_index_base_b
; %bb.0:
	s_clause 0x2
	s_load_b64 s[12:13], s[0:1], 0x58
	s_load_b64 s[4:5], s[0:1], 0x8
	;; [unrolled: 1-line block ×3, first 2 shown]
	s_waitcnt lgkmcnt(0)
	s_bitcmp1_b32 s13, 0
	v_mov_b32_e32 v75, s4
	s_cselect_b32 s6, -1, 0
	s_delay_alu instid0(SALU_CYCLE_1)
	s_and_b32 vcc_lo, exec_lo, s6
	s_xor_b32 s6, s6, -1
	s_cbranch_vccz .LBB31_14
; %bb.1:
	v_cndmask_b32_e64 v1, 0, 1, s6
	v_mov_b32_e32 v76, s5
	s_and_not1_b32 vcc_lo, exec_lo, s6
	s_cbranch_vccz .LBB31_15
.LBB31_2:
	s_delay_alu instid0(VALU_DEP_2)
	v_cmp_ne_u32_e32 vcc_lo, 1, v1
	v_mov_b32_e32 v73, s2
	s_cbranch_vccz .LBB31_16
.LBB31_3:
	v_cmp_ne_u32_e32 vcc_lo, 1, v1
	v_mov_b32_e32 v74, s3
	s_cbranch_vccnz .LBB31_5
.LBB31_4:
	v_dual_mov_b32 v1, s2 :: v_dual_mov_b32 v2, s3
	flat_load_b32 v74, v[1:2] offset:4
.LBB31_5:
	s_waitcnt vmcnt(0) lgkmcnt(0)
	v_cmp_eq_f32_e32 vcc_lo, 0, v75
	v_cmp_eq_f32_e64 s2, 0, v76
	s_delay_alu instid0(VALU_DEP_1)
	s_and_b32 s4, vcc_lo, s2
	s_mov_b32 s2, -1
	s_and_saveexec_b32 s3, s4
; %bb.6:
	v_cmp_neq_f32_e32 vcc_lo, 1.0, v73
	v_cmp_neq_f32_e64 s2, 0, v74
	s_delay_alu instid0(VALU_DEP_1) | instskip(NEXT) | instid1(SALU_CYCLE_1)
	s_or_b32 s2, vcc_lo, s2
	s_or_not1_b32 s2, s2, exec_lo
; %bb.7:
	s_or_b32 exec_lo, exec_lo, s3
	s_and_saveexec_b32 s3, s2
	s_cbranch_execz .LBB31_13
; %bb.8:
	s_clause 0x1
	s_load_b64 s[4:5], s[0:1], 0x18
	s_load_b64 s[2:3], s[0:1], 0x0
	v_lshrrev_b32_e32 v1, 3, v0
	s_delay_alu instid0(VALU_DEP_1)
	v_lshl_or_b32 v64, s15, 4, v1
	s_waitcnt lgkmcnt(0)
	s_cmp_lg_u64 s[4:5], 0
	s_cbranch_scc0 .LBB31_17
; %bb.9:
	s_load_b32 s6, s[0:1], 0x10
	s_mov_b32 s7, 0
                                        ; implicit-def: $vgpr1
	s_waitcnt lgkmcnt(0)
	v_cmp_gt_i32_e32 vcc_lo, s6, v64
	s_mov_b32 s6, 0
	s_and_saveexec_b32 s8, vcc_lo
	s_delay_alu instid0(SALU_CYCLE_1)
	s_xor_b32 s8, exec_lo, s8
	s_cbranch_execz .LBB31_11
; %bb.10:
	v_ashrrev_i32_e32 v65, 31, v64
	s_mov_b32 s6, exec_lo
	s_delay_alu instid0(VALU_DEP_1) | instskip(NEXT) | instid1(VALU_DEP_1)
	v_lshlrev_b64 v[1:2], 2, v[64:65]
	v_add_co_u32 v1, vcc_lo, s4, v1
	s_delay_alu instid0(VALU_DEP_2)
	v_add_co_ci_u32_e32 v2, vcc_lo, s5, v2, vcc_lo
	global_load_b32 v1, v[1:2], off
	s_waitcnt vmcnt(0)
	v_subrev_nc_u32_e32 v1, s12, v1
.LBB31_11:
	s_or_b32 exec_lo, exec_lo, s8
	s_delay_alu instid0(SALU_CYCLE_1)
	s_and_b32 vcc_lo, exec_lo, s7
	s_cbranch_vccz .LBB31_18
.LBB31_12:
	v_cmp_gt_i32_e32 vcc_lo, s2, v64
	s_and_not1_b32 s2, s6, exec_lo
	s_and_b32 s4, vcc_lo, exec_lo
	s_delay_alu instid0(SALU_CYCLE_1) | instskip(NEXT) | instid1(SALU_CYCLE_1)
	s_or_b32 s6, s2, s4
	s_and_b32 exec_lo, exec_lo, s6
	s_cbranch_execnz .LBB31_19
.LBB31_13:
	s_nop 0
	s_sendmsg sendmsg(MSG_DEALLOC_VGPRS)
	s_endpgm
.LBB31_14:
	v_dual_mov_b32 v1, s4 :: v_dual_mov_b32 v2, s5
	flat_load_b32 v75, v[1:2]
	v_cndmask_b32_e64 v1, 0, 1, s6
	v_mov_b32_e32 v76, s5
	s_and_not1_b32 vcc_lo, exec_lo, s6
	s_cbranch_vccnz .LBB31_2
.LBB31_15:
	v_dual_mov_b32 v2, s4 :: v_dual_mov_b32 v3, s5
	flat_load_b32 v76, v[2:3] offset:4
	v_cmp_ne_u32_e32 vcc_lo, 1, v1
	v_mov_b32_e32 v73, s2
	s_cbranch_vccnz .LBB31_3
.LBB31_16:
	v_dual_mov_b32 v2, s2 :: v_dual_mov_b32 v3, s3
	flat_load_b32 v73, v[2:3]
	v_cmp_ne_u32_e32 vcc_lo, 1, v1
	v_mov_b32_e32 v74, s3
	s_cbranch_vccz .LBB31_4
	s_branch .LBB31_5
.LBB31_17:
	s_mov_b32 s6, 0
                                        ; implicit-def: $vgpr1
	s_cbranch_execnz .LBB31_12
.LBB31_18:
	s_delay_alu instid0(VALU_DEP_1)
	v_mov_b32_e32 v64, v1
	s_and_b32 exec_lo, exec_lo, s6
	s_cbranch_execz .LBB31_13
.LBB31_19:
	s_load_b256 s[4:11], s[0:1], 0x20
	s_delay_alu instid0(VALU_DEP_1) | instskip(SKIP_1) | instid1(VALU_DEP_2)
	v_ashrrev_i32_e32 v65, 31, v64
	v_dual_mov_b32 v78, 0 :: v_dual_and_b32 v77, 7, v0
	v_lshlrev_b64 v[1:2], 3, v[64:65]
	s_waitcnt lgkmcnt(0)
	s_delay_alu instid0(VALU_DEP_1) | instskip(NEXT) | instid1(VALU_DEP_2)
	v_add_co_u32 v3, vcc_lo, s4, v1
	v_add_co_ci_u32_e32 v4, vcc_lo, s5, v2, vcc_lo
	v_add_co_u32 v1, vcc_lo, s6, v1
	v_add_co_ci_u32_e32 v2, vcc_lo, s7, v2, vcc_lo
	s_delay_alu instid0(VALU_DEP_4)
	v_add_co_u32 v5, vcc_lo, v3, 8
	global_load_b64 v[36:37], v[3:4], off
	v_add_co_ci_u32_e32 v6, vcc_lo, 0, v4, vcc_lo
	s_cmp_eq_u64 s[6:7], 0
	s_load_b64 s[4:5], s[0:1], 0x40
	s_cselect_b32 vcc_lo, -1, 0
	s_cmp_eq_u32 s3, 1
	v_dual_cndmask_b32 v2, v2, v6 :: v_dual_cndmask_b32 v1, v1, v5
	s_mov_b32 s3, 0
	global_load_b64 v[1:2], v[1:2], off
	s_waitcnt vmcnt(1)
	v_sub_co_u32 v0, vcc_lo, v36, s12
	v_subrev_co_ci_u32_e32 v3, vcc_lo, 0, v37, vcc_lo
	s_delay_alu instid0(VALU_DEP_2) | instskip(NEXT) | instid1(VALU_DEP_2)
	v_add_co_u32 v65, vcc_lo, v0, v77
	v_add_co_ci_u32_e32 v66, vcc_lo, 0, v3, vcc_lo
	s_waitcnt vmcnt(0)
	v_sub_co_u32 v67, vcc_lo, v1, s12
	s_delay_alu instid0(VALU_DEP_2) | instskip(SKIP_1) | instid1(VALU_DEP_2)
	v_lshlrev_b64 v[0:1], 7, v[65:66]
	v_subrev_co_ci_u32_e32 v68, vcc_lo, 0, v2, vcc_lo
	v_add_co_u32 v69, vcc_lo, s10, v0
	s_delay_alu instid0(VALU_DEP_2) | instskip(NEXT) | instid1(VALU_DEP_4)
	v_cmp_lt_i64_e64 s2, v[65:66], v[67:68]
	v_add_co_ci_u32_e32 v70, vcc_lo, s11, v1, vcc_lo
	s_cbranch_scc1 .LBB31_31
; %bb.20:
	v_dual_mov_b32 v84, 0 :: v_dual_mov_b32 v83, 0
	v_dual_mov_b32 v82, 0 :: v_dual_mov_b32 v81, 0
	;; [unrolled: 1-line block ×3, first 2 shown]
	v_mov_b32_e32 v79, 0
	s_and_saveexec_b32 s6, s2
	s_cbranch_execz .LBB31_30
; %bb.21:
	v_or_b32_e32 v0, 8, v77
	v_not_b32_e32 v3, v36
	v_not_b32_e32 v2, v37
	v_mov_b32_e32 v38, v69
	v_mov_b32_e32 v40, v65
	v_sub_co_u32 v0, s7, v0, s12
	s_delay_alu instid0(VALU_DEP_1) | instskip(SKIP_1) | instid1(VALU_DEP_3)
	v_sub_co_ci_u32_e64 v1, null, 0, 0, s7
	v_sub_co_u32 v4, s7, s12, v77
	v_add_co_u32 v0, vcc_lo, v0, v36
	s_delay_alu instid0(VALU_DEP_3) | instskip(SKIP_2) | instid1(VALU_DEP_3)
	v_add_co_ci_u32_e32 v1, vcc_lo, v1, v37, vcc_lo
	v_sub_co_ci_u32_e64 v5, null, 0, 0, s7
	v_dual_mov_b32 v85, 0 :: v_dual_mov_b32 v80, 0
	v_cmp_gt_i64_e32 vcc_lo, v[0:1], v[67:68]
	v_dual_mov_b32 v83, 0 :: v_dual_mov_b32 v82, 0
	v_dual_mov_b32 v84, 0 :: v_dual_mov_b32 v39, v70
	;; [unrolled: 1-line block ×3, first 2 shown]
	v_dual_cndmask_b32 v1, v68, v1 :: v_dual_cndmask_b32 v0, v67, v0
	v_add_co_u32 v3, vcc_lo, v4, v3
	v_add_co_ci_u32_e32 v2, vcc_lo, v5, v2, vcc_lo
	s_mov_b32 s7, exec_lo
	s_delay_alu instid0(VALU_DEP_2) | instskip(NEXT) | instid1(VALU_DEP_2)
	v_add_co_u32 v0, vcc_lo, v3, v0
	v_add_co_ci_u32_e32 v1, vcc_lo, v2, v1, vcc_lo
	s_delay_alu instid0(VALU_DEP_2) | instskip(NEXT) | instid1(VALU_DEP_1)
	v_lshrrev_b32_e32 v2, 3, v0
	v_dual_mov_b32 v79, 0 :: v_dual_add_nc_u32 v2, 1, v2
	s_delay_alu instid0(VALU_DEP_1) | instskip(NEXT) | instid1(VALU_DEP_1)
	v_dual_mov_b32 v81, 0 :: v_dual_and_b32 v2, 3, v2
	v_cmpx_ne_u32_e32 0, v2
	s_cbranch_execz .LBB31_25
; %bb.22:
	v_lshlrev_b64 v[4:5], 2, v[65:66]
	v_dual_mov_b32 v3, 0 :: v_dual_lshlrev_b32 v2, 2, v2
	v_dual_mov_b32 v40, v65 :: v_dual_mov_b32 v41, v66
	v_dual_mov_b32 v38, v69 :: v_dual_mov_b32 v39, v70
	s_delay_alu instid0(VALU_DEP_4)
	v_add_co_u32 v4, vcc_lo, s8, v4
	v_add_co_ci_u32_e32 v5, vcc_lo, s9, v5, vcc_lo
	v_mov_b32_e32 v78, v3
	v_mov_b32_e32 v84, v3
	;; [unrolled: 1-line block ×8, first 2 shown]
	s_mov_b32 s10, 0
.LBB31_23:                              ; =>This Inner Loop Header: Depth=1
	global_load_b32 v34, v[4:5], off
	s_clause 0x7
	global_load_b128 v[6:9], v[38:39], off offset:48
	global_load_b128 v[10:13], v[38:39], off offset:32
	;; [unrolled: 1-line block ×3, first 2 shown]
	global_load_b128 v[18:21], v[38:39], off
	global_load_b128 v[22:25], v[38:39], off offset:112
	global_load_b128 v[26:29], v[38:39], off offset:96
	;; [unrolled: 1-line block ×4, first 2 shown]
	s_waitcnt vmcnt(8)
	v_subrev_nc_u32_e32 v34, s12, v34
	s_delay_alu instid0(VALU_DEP_1) | instskip(NEXT) | instid1(VALU_DEP_1)
	v_lshlrev_b32_e32 v34, 2, v34
	v_ashrrev_i32_e32 v35, 31, v34
	s_delay_alu instid0(VALU_DEP_1) | instskip(SKIP_1) | instid1(VALU_DEP_1)
	v_lshlrev_b64 v[34:35], 3, v[34:35]
	s_waitcnt lgkmcnt(0)
	v_add_co_u32 v34, vcc_lo, s4, v34
	s_delay_alu instid0(VALU_DEP_2)
	v_add_co_ci_u32_e32 v35, vcc_lo, s5, v35, vcc_lo
	v_add_co_u32 v38, vcc_lo, 0x400, v38
	v_add_co_ci_u32_e32 v39, vcc_lo, 0, v39, vcc_lo
	s_clause 0x1
	global_load_b128 v[46:49], v[34:35], off
	global_load_b128 v[50:53], v[34:35], off offset:16
	v_add_co_u32 v40, vcc_lo, v40, 8
	v_add_co_ci_u32_e32 v41, vcc_lo, 0, v41, vcc_lo
	v_add_co_u32 v2, vcc_lo, v2, -4
	v_add_co_ci_u32_e32 v3, vcc_lo, -1, v3, vcc_lo
	v_add_co_u32 v4, vcc_lo, v4, 32
	v_add_co_ci_u32_e32 v5, vcc_lo, 0, v5, vcc_lo
	s_delay_alu instid0(VALU_DEP_3)
	v_cmp_eq_u64_e32 vcc_lo, 0, v[2:3]
	s_or_b32 s10, vcc_lo, s10
	s_waitcnt vmcnt(1)
	v_fmac_f32_e32 v80, v27, v46
	v_fmac_f32_e32 v81, v43, v46
	;; [unrolled: 1-line block ×4, first 2 shown]
	s_delay_alu instid0(VALU_DEP_4) | instskip(NEXT) | instid1(VALU_DEP_4)
	v_fmac_f32_e32 v80, v26, v47
	v_dual_fmac_f32 v78, v19, v46 :: v_dual_fmac_f32 v81, v42, v47
	v_fmac_f32_e32 v79, v11, v46
	v_fma_f32 v19, -v19, v47, v84
	s_delay_alu instid0(VALU_DEP_3) | instskip(SKIP_1) | instid1(VALU_DEP_4)
	v_fmac_f32_e32 v78, v18, v47
	v_fmac_f32_e32 v85, v10, v46
	;; [unrolled: 1-line block ×3, first 2 shown]
	v_fma_f32 v10, -v43, v47, v83
	v_fmac_f32_e32 v19, v20, v48
	v_fmac_f32_e32 v78, v21, v48
	v_fma_f32 v11, -v11, v47, v85
	v_dual_fmac_f32 v82, v26, v46 :: v_dual_fmac_f32 v79, v13, v48
	v_fmac_f32_e32 v10, v44, v48
	s_delay_alu instid0(VALU_DEP_4) | instskip(NEXT) | instid1(VALU_DEP_4)
	v_dual_fmac_f32 v81, v45, v48 :: v_dual_fmac_f32 v78, v20, v49
	v_fmac_f32_e32 v11, v12, v48
	s_delay_alu instid0(VALU_DEP_4) | instskip(SKIP_2) | instid1(VALU_DEP_4)
	v_fma_f32 v18, -v27, v47, v82
	v_dual_fmac_f32 v80, v29, v48 :: v_dual_fmac_f32 v79, v12, v49
	v_fma_f32 v19, -v21, v49, v19
	v_fma_f32 v11, -v13, v49, v11
	s_delay_alu instid0(VALU_DEP_4)
	v_fmac_f32_e32 v18, v28, v48
	v_fma_f32 v10, -v45, v49, v10
	s_waitcnt vmcnt(0)
	v_dual_fmac_f32 v81, v44, v49 :: v_dual_fmac_f32 v78, v15, v50
	v_dual_fmac_f32 v80, v28, v49 :: v_dual_fmac_f32 v11, v6, v50
	v_fmac_f32_e32 v19, v14, v50
	v_fma_f32 v12, -v29, v49, v18
	s_delay_alu instid0(VALU_DEP_4) | instskip(NEXT) | instid1(VALU_DEP_4)
	v_dual_fmac_f32 v79, v7, v50 :: v_dual_fmac_f32 v78, v14, v51
	v_fmac_f32_e32 v80, v23, v50
	s_delay_alu instid0(VALU_DEP_4)
	v_fma_f32 v13, -v15, v51, v19
	v_fmac_f32_e32 v10, v30, v50
	v_fma_f32 v7, -v7, v51, v11
	v_fmac_f32_e32 v12, v22, v50
	v_fmac_f32_e32 v79, v6, v51
	v_dual_fmac_f32 v81, v31, v50 :: v_dual_fmac_f32 v80, v22, v51
	v_fmac_f32_e32 v13, v16, v52
	v_fma_f32 v6, -v31, v51, v10
	s_delay_alu instid0(VALU_DEP_3) | instskip(SKIP_2) | instid1(VALU_DEP_3)
	v_dual_fmac_f32 v78, v17, v52 :: v_dual_fmac_f32 v81, v30, v51
	v_fmac_f32_e32 v7, v8, v52
	v_fma_f32 v10, -v23, v51, v12
	v_dual_fmac_f32 v79, v9, v52 :: v_dual_fmac_f32 v78, v16, v53
	v_fmac_f32_e32 v6, v32, v52
	v_fmac_f32_e32 v80, v25, v52
	s_delay_alu instid0(VALU_DEP_4) | instskip(NEXT) | instid1(VALU_DEP_4)
	v_fmac_f32_e32 v10, v24, v52
	v_fmac_f32_e32 v79, v8, v53
	;; [unrolled: 1-line block ×3, first 2 shown]
	v_fma_f32 v84, -v17, v53, v13
	v_fmac_f32_e32 v80, v24, v53
	v_fma_f32 v85, -v9, v53, v7
	v_fma_f32 v83, -v33, v53, v6
	v_fmac_f32_e32 v81, v32, v53
	v_fma_f32 v82, -v25, v53, v10
	s_and_not1_b32 exec_lo, exec_lo, s10
	s_cbranch_execnz .LBB31_23
; %bb.24:
	s_or_b32 exec_lo, exec_lo, s10
.LBB31_25:
	s_delay_alu instid0(SALU_CYCLE_1) | instskip(NEXT) | instid1(SALU_CYCLE_1)
	s_or_b32 exec_lo, exec_lo, s7
	s_mov_b32 s7, exec_lo
	v_cmpx_lt_u64_e32 23, v[0:1]
	s_cbranch_execz .LBB31_29
; %bb.26:
	v_lshlrev_b64 v[0:1], 2, v[40:41]
	s_mov_b32 s10, 0
	s_delay_alu instid0(VALU_DEP_1) | instskip(NEXT) | instid1(VALU_DEP_2)
	v_add_co_u32 v0, vcc_lo, v0, s8
	v_add_co_ci_u32_e32 v1, vcc_lo, s9, v1, vcc_lo
	s_delay_alu instid0(VALU_DEP_2) | instskip(NEXT) | instid1(VALU_DEP_2)
	v_add_co_u32 v42, vcc_lo, v0, 64
	v_add_co_ci_u32_e32 v43, vcc_lo, 0, v1, vcc_lo
.LBB31_27:                              ; =>This Inner Loop Header: Depth=1
	s_clause 0x3
	global_load_b32 v44, v[42:43], off offset:-64
	global_load_b32 v61, v[42:43], off offset:-32
	global_load_b32 v62, v[42:43], off
	global_load_b32 v63, v[42:43], off offset:32
	s_clause 0x1e
	global_load_b128 v[45:48], v[38:39], off offset:48
	global_load_b128 v[49:52], v[38:39], off offset:32
	;; [unrolled: 1-line block ×3, first 2 shown]
	global_load_b128 v[57:60], v[38:39], off
	global_load_b128 v[86:89], v[38:39], off offset:112
	global_load_b128 v[90:93], v[38:39], off offset:96
	;; [unrolled: 1-line block ×27, first 2 shown]
	s_waitcnt vmcnt(34)
	v_subrev_nc_u32_e32 v44, s12, v44
	s_waitcnt vmcnt(33)
	v_subrev_nc_u32_e32 v71, s12, v61
	;; [unrolled: 2-line block ×4, first 2 shown]
	v_lshlrev_b32_e32 v61, 2, v44
	v_lshlrev_b32_e32 v71, 2, v71
	;; [unrolled: 1-line block ×3, first 2 shown]
	s_delay_alu instid0(VALU_DEP_4) | instskip(NEXT) | instid1(VALU_DEP_4)
	v_lshlrev_b32_e32 v160, 2, v63
	v_ashrrev_i32_e32 v62, 31, v61
	s_delay_alu instid0(VALU_DEP_4) | instskip(NEXT) | instid1(VALU_DEP_4)
	v_ashrrev_i32_e32 v72, 31, v71
	v_ashrrev_i32_e32 v159, 31, v158
	s_delay_alu instid0(VALU_DEP_4) | instskip(NEXT) | instid1(VALU_DEP_4)
	v_ashrrev_i32_e32 v161, 31, v160
	v_lshlrev_b64 v[61:62], 3, v[61:62]
	s_delay_alu instid0(VALU_DEP_4) | instskip(NEXT) | instid1(VALU_DEP_4)
	v_lshlrev_b64 v[71:72], 3, v[71:72]
	v_lshlrev_b64 v[158:159], 3, v[158:159]
	s_delay_alu instid0(VALU_DEP_4) | instskip(SKIP_1) | instid1(VALU_DEP_4)
	v_lshlrev_b64 v[160:161], 3, v[160:161]
	s_waitcnt lgkmcnt(0)
	v_add_co_u32 v61, vcc_lo, s4, v61
	v_add_co_ci_u32_e32 v62, vcc_lo, s5, v62, vcc_lo
	v_add_co_u32 v71, vcc_lo, s4, v71
	v_add_co_ci_u32_e32 v72, vcc_lo, s5, v72, vcc_lo
	;; [unrolled: 2-line block ×4, first 2 shown]
	s_clause 0x4
	global_load_b128 v[158:161], v[61:62], off
	global_load_b128 v[162:165], v[61:62], off offset:16
	global_load_b128 v[166:169], v[71:72], off
	global_load_b128 v[170:173], v[71:72], off offset:16
	global_load_b128 v[174:177], v[178:179], off
	v_add_co_u32 v40, vcc_lo, v40, 32
	v_add_co_ci_u32_e32 v41, vcc_lo, 0, v41, vcc_lo
	s_waitcnt vmcnt(4)
	v_fmac_f32_e32 v85, v49, v158
	v_fmac_f32_e32 v84, v57, v158
	;; [unrolled: 1-line block ×5, first 2 shown]
	v_fma_f32 v50, -v50, v159, v85
	v_fma_f32 v44, -v58, v159, v84
	v_fmac_f32_e32 v78, v57, v159
	v_fmac_f32_e32 v79, v49, v159
	v_fma_f32 v62, -v99, v159, v83
	v_fmac_f32_e32 v82, v90, v158
	v_fmac_f32_e32 v44, v59, v160
	;; [unrolled: 1-line block ×6, first 2 shown]
	v_fma_f32 v44, -v60, v161, v44
	v_fmac_f32_e32 v81, v98, v159
	v_fmac_f32_e32 v79, v51, v161
	;; [unrolled: 1-line block ×3, first 2 shown]
	global_load_b128 v[57:60], v[178:179], off offset:16
	v_dual_fmac_f32 v80, v91, v158 :: v_dual_fmac_f32 v81, v101, v160
	v_fmac_f32_e32 v50, v51, v160
	v_fma_f32 v62, -v101, v161, v62
	v_fma_f32 v63, -v91, v159, v82
	s_delay_alu instid0(VALU_DEP_4) | instskip(NEXT) | instid1(VALU_DEP_4)
	v_dual_fmac_f32 v80, v90, v159 :: v_dual_fmac_f32 v81, v100, v161
	v_fma_f32 v61, -v52, v161, v50
	global_load_b128 v[49:52], v[180:181], off
	v_fmac_f32_e32 v63, v92, v160
	global_load_b128 v[98:101], v[38:39], off offset:3152
	global_load_b128 v[178:181], v[180:181], off offset:16
	s_waitcnt vmcnt(7)
	v_dual_fmac_f32 v80, v93, v160 :: v_dual_fmac_f32 v79, v46, v162
	v_fmac_f32_e32 v78, v54, v162
	v_fma_f32 v63, -v93, v161, v63
	s_delay_alu instid0(VALU_DEP_3) | instskip(NEXT) | instid1(VALU_DEP_4)
	v_dual_fmac_f32 v61, v45, v162 :: v_dual_fmac_f32 v80, v92, v161
	v_dual_fmac_f32 v79, v45, v163 :: v_dual_fmac_f32 v62, v94, v162
	s_delay_alu instid0(VALU_DEP_4) | instskip(NEXT) | instid1(VALU_DEP_2)
	v_dual_fmac_f32 v81, v95, v162 :: v_dual_fmac_f32 v78, v53, v163
	v_dual_fmac_f32 v44, v53, v162 :: v_dual_fmac_f32 v79, v48, v164
	s_delay_alu instid0(VALU_DEP_3) | instskip(NEXT) | instid1(VALU_DEP_3)
	v_fma_f32 v45, -v95, v163, v62
	v_dual_fmac_f32 v81, v94, v163 :: v_dual_fmac_f32 v80, v87, v162
	s_delay_alu instid0(VALU_DEP_3) | instskip(SKIP_2) | instid1(VALU_DEP_4)
	v_fma_f32 v44, -v54, v163, v44
	v_fmac_f32_e32 v63, v86, v162
	v_fma_f32 v46, -v46, v163, v61
	v_dual_fmac_f32 v45, v96, v164 :: v_dual_fmac_f32 v80, v86, v163
	v_fmac_f32_e32 v81, v97, v164
	v_fmac_f32_e32 v44, v55, v164
	v_fma_f32 v53, -v87, v163, v63
	v_dual_fmac_f32 v78, v56, v164 :: v_dual_fmac_f32 v79, v47, v165
	s_delay_alu instid0(VALU_DEP_4)
	v_dual_fmac_f32 v46, v47, v164 :: v_dual_fmac_f32 v81, v96, v165
	v_fmac_f32_e32 v80, v89, v164
	v_fma_f32 v45, -v97, v165, v45
	s_waitcnt vmcnt(6)
	v_fmac_f32_e32 v79, v107, v166
	v_dual_fmac_f32 v53, v88, v164 :: v_dual_fmac_f32 v78, v55, v165
	v_fma_f32 v44, -v56, v165, v44
	v_fma_f32 v46, -v48, v165, v46
	v_dual_fmac_f32 v80, v88, v165 :: v_dual_fmac_f32 v45, v130, v166
	s_delay_alu instid0(VALU_DEP_4) | instskip(NEXT) | instid1(VALU_DEP_4)
	v_dual_fmac_f32 v78, v115, v166 :: v_dual_fmac_f32 v79, v106, v167
	v_fmac_f32_e32 v44, v114, v166
	v_fmac_f32_e32 v81, v131, v166
	s_delay_alu instid0(VALU_DEP_4) | instskip(NEXT) | instid1(VALU_DEP_4)
	v_fma_f32 v45, -v131, v167, v45
	v_fmac_f32_e32 v78, v114, v167
	v_fmac_f32_e32 v46, v106, v166
	v_fma_f32 v47, -v89, v165, v53
	v_dual_fmac_f32 v80, v123, v166 :: v_dual_fmac_f32 v81, v130, v167
	v_fmac_f32_e32 v79, v109, v168
	v_fma_f32 v44, -v115, v167, v44
	v_fmac_f32_e32 v45, v132, v168
	v_fma_f32 v46, -v107, v167, v46
	v_fmac_f32_e32 v47, v122, v166
	v_dual_fmac_f32 v80, v122, v167 :: v_dual_fmac_f32 v81, v133, v168
	v_fmac_f32_e32 v44, v116, v168
	v_dual_fmac_f32 v78, v117, v168 :: v_dual_fmac_f32 v79, v108, v169
	v_fmac_f32_e32 v46, v108, v168
	v_fma_f32 v47, -v123, v167, v47
	v_dual_fmac_f32 v80, v125, v168 :: v_dual_fmac_f32 v81, v132, v169
	v_fma_f32 v44, -v117, v169, v44
	v_fma_f32 v45, -v133, v169, v45
	s_waitcnt vmcnt(5)
	v_dual_fmac_f32 v78, v116, v169 :: v_dual_fmac_f32 v79, v103, v170
	v_fma_f32 v46, -v109, v169, v46
	v_dual_fmac_f32 v47, v124, v168 :: v_dual_fmac_f32 v44, v110, v170
	v_dual_fmac_f32 v80, v124, v169 :: v_dual_fmac_f32 v81, v127, v170
	v_fmac_f32_e32 v45, v126, v170
	v_dual_fmac_f32 v78, v111, v170 :: v_dual_fmac_f32 v79, v102, v171
	v_fmac_f32_e32 v46, v102, v170
	v_fma_f32 v47, -v125, v169, v47
	v_dual_fmac_f32 v80, v119, v170 :: v_dual_fmac_f32 v81, v126, v171
	v_fma_f32 v44, -v111, v171, v44
	v_fma_f32 v45, -v127, v171, v45
	v_dual_fmac_f32 v78, v110, v171 :: v_dual_fmac_f32 v79, v105, v172
	v_fma_f32 v46, -v103, v171, v46
	s_delay_alu instid0(VALU_DEP_4)
	v_dual_fmac_f32 v47, v118, v170 :: v_dual_fmac_f32 v44, v112, v172
	v_dual_fmac_f32 v80, v118, v171 :: v_dual_fmac_f32 v81, v129, v172
	v_fmac_f32_e32 v45, v128, v172
	v_dual_fmac_f32 v78, v113, v172 :: v_dual_fmac_f32 v79, v104, v173
	v_fmac_f32_e32 v46, v104, v172
	v_fma_f32 v47, -v119, v171, v47
	v_dual_fmac_f32 v80, v121, v172 :: v_dual_fmac_f32 v81, v128, v173
	v_fma_f32 v44, -v113, v173, v44
	s_waitcnt vmcnt(4)
	v_fmac_f32_e32 v79, v29, v174
	v_fma_f32 v46, -v105, v173, v46
	v_fmac_f32_e32 v47, v120, v172
	v_fma_f32 v45, -v129, v173, v45
	v_fmac_f32_e32 v44, v134, v174
	v_fmac_f32_e32 v78, v112, v173
	v_dual_fmac_f32 v80, v120, v173 :: v_dual_fmac_f32 v81, v139, v174
	v_fmac_f32_e32 v46, v28, v174
	v_fma_f32 v47, -v121, v173, v47
	v_fmac_f32_e32 v45, v138, v174
	v_dual_fmac_f32 v78, v135, v174 :: v_dual_fmac_f32 v79, v28, v175
	v_fma_f32 v44, -v135, v175, v44
	v_fmac_f32_e32 v81, v138, v175
	v_fma_f32 v29, -v29, v175, v46
	v_fmac_f32_e32 v80, v33, v174
	v_dual_fmac_f32 v47, v32, v174 :: v_dual_fmac_f32 v78, v134, v175
	v_fmac_f32_e32 v79, v31, v176
	v_fmac_f32_e32 v44, v136, v176
	s_delay_alu instid0(VALU_DEP_4)
	v_dual_fmac_f32 v29, v30, v176 :: v_dual_fmac_f32 v80, v32, v175
	v_fma_f32 v28, -v139, v175, v45
	v_fma_f32 v33, -v33, v175, v47
	v_fmac_f32_e32 v81, v141, v176
	v_dual_fmac_f32 v78, v137, v176 :: v_dual_fmac_f32 v79, v30, v177
	v_fma_f32 v32, -v137, v177, v44
	v_fmac_f32_e32 v28, v140, v176
	v_fmac_f32_e32 v33, v34, v176
	v_fma_f32 v29, -v31, v177, v29
	v_dual_fmac_f32 v80, v35, v176 :: v_dual_fmac_f32 v81, v140, v177
	v_fmac_f32_e32 v78, v136, v177
	v_add_co_u32 v38, vcc_lo, 0x1000, v38
	v_add_co_ci_u32_e32 v39, vcc_lo, 0, v39, vcc_lo
	v_add_co_u32 v42, vcc_lo, 0x80, v42
	v_add_co_ci_u32_e32 v43, vcc_lo, 0, v43, vcc_lo
	v_cmp_ge_i64_e32 vcc_lo, v[40:41], v[67:68]
	s_or_b32 s10, vcc_lo, s10
	s_waitcnt vmcnt(3)
	v_fmac_f32_e32 v29, v8, v57
	v_fmac_f32_e32 v32, v16, v57
	;; [unrolled: 1-line block ×3, first 2 shown]
	v_fma_f32 v28, -v141, v177, v28
	v_fma_f32 v30, -v35, v177, v33
	v_fmac_f32_e32 v80, v34, v177
	v_fmac_f32_e32 v81, v21, v57
	;; [unrolled: 1-line block ×3, first 2 shown]
	v_fma_f32 v17, -v17, v58, v32
	v_fmac_f32_e32 v79, v8, v58
	v_fmac_f32_e32 v28, v20, v57
	;; [unrolled: 1-line block ×3, first 2 shown]
	v_fma_f32 v9, -v9, v58, v29
	v_fmac_f32_e32 v30, v12, v57
	v_fmac_f32_e32 v81, v20, v58
	v_dual_fmac_f32 v78, v16, v58 :: v_dual_fmac_f32 v17, v18, v59
	s_delay_alu instid0(VALU_DEP_4) | instskip(SKIP_4) | instid1(VALU_DEP_4)
	v_fmac_f32_e32 v9, v10, v59
	v_fmac_f32_e32 v79, v11, v59
	v_fma_f32 v8, -v21, v58, v28
	v_fma_f32 v13, -v13, v58, v30
	v_dual_fmac_f32 v80, v12, v58 :: v_dual_fmac_f32 v81, v23, v59
	v_dual_fmac_f32 v78, v19, v59 :: v_dual_fmac_f32 v79, v10, v60
	v_fma_f32 v12, -v19, v60, v17
	s_delay_alu instid0(VALU_DEP_3) | instskip(SKIP_1) | instid1(VALU_DEP_3)
	v_dual_fmac_f32 v80, v15, v59 :: v_dual_fmac_f32 v81, v22, v60
	s_waitcnt vmcnt(2)
	v_dual_fmac_f32 v78, v18, v60 :: v_dual_fmac_f32 v79, v25, v49
	v_fmac_f32_e32 v13, v14, v59
	v_fma_f32 v9, -v11, v60, v9
	v_fmac_f32_e32 v8, v22, v59
	s_delay_alu instid0(VALU_DEP_4)
	v_dual_fmac_f32 v12, v142, v49 :: v_dual_fmac_f32 v79, v24, v50
	v_dual_fmac_f32 v80, v14, v60 :: v_dual_fmac_f32 v81, v155, v49
	v_fmac_f32_e32 v78, v143, v49
	v_fma_f32 v10, -v15, v60, v13
	v_fmac_f32_e32 v9, v24, v49
	v_fma_f32 v8, -v23, v60, v8
	v_fma_f32 v11, -v143, v50, v12
	v_dual_fmac_f32 v80, v151, v49 :: v_dual_fmac_f32 v81, v154, v50
	v_dual_fmac_f32 v10, v150, v49 :: v_dual_fmac_f32 v79, v27, v51
	s_delay_alu instid0(VALU_DEP_3) | instskip(NEXT) | instid1(VALU_DEP_3)
	v_dual_fmac_f32 v8, v154, v49 :: v_dual_fmac_f32 v11, v144, v51
	v_dual_fmac_f32 v78, v142, v50 :: v_dual_fmac_f32 v81, v157, v51
	v_fma_f32 v9, -v25, v50, v9
	s_delay_alu instid0(VALU_DEP_3) | instskip(SKIP_1) | instid1(VALU_DEP_4)
	v_fma_f32 v8, -v155, v50, v8
	v_fma_f32 v10, -v151, v50, v10
	v_dual_fmac_f32 v80, v150, v50 :: v_dual_fmac_f32 v81, v156, v52
	v_dual_fmac_f32 v78, v145, v51 :: v_dual_fmac_f32 v79, v26, v52
	v_fma_f32 v11, -v145, v52, v11
	v_fmac_f32_e32 v9, v26, v51
	v_fmac_f32_e32 v8, v156, v51
	s_waitcnt vmcnt(0)
	v_dual_fmac_f32 v10, v152, v51 :: v_dual_fmac_f32 v81, v99, v178
	v_dual_fmac_f32 v80, v153, v51 :: v_dual_fmac_f32 v11, v4, v178
	v_fmac_f32_e32 v78, v144, v52
	v_fma_f32 v9, -v27, v52, v9
	s_delay_alu instid0(VALU_DEP_4) | instskip(NEXT) | instid1(VALU_DEP_4)
	v_fma_f32 v10, -v153, v52, v10
	v_dual_fmac_f32 v80, v152, v52 :: v_dual_fmac_f32 v81, v98, v179
	v_fmac_f32_e32 v79, v1, v178
	v_fma_f32 v8, -v157, v52, v8
	v_fmac_f32_e32 v78, v5, v178
	v_fma_f32 v5, -v5, v179, v11
	v_dual_fmac_f32 v10, v146, v178 :: v_dual_fmac_f32 v81, v101, v180
	v_dual_fmac_f32 v80, v147, v178 :: v_dual_fmac_f32 v79, v0, v179
	s_delay_alu instid0(VALU_DEP_3) | instskip(SKIP_2) | instid1(VALU_DEP_4)
	v_fmac_f32_e32 v5, v6, v180
	v_fmac_f32_e32 v9, v0, v178
	;; [unrolled: 1-line block ×3, first 2 shown]
	v_dual_fmac_f32 v80, v146, v179 :: v_dual_fmac_f32 v79, v3, v180
	s_delay_alu instid0(VALU_DEP_4) | instskip(NEXT) | instid1(VALU_DEP_4)
	v_fma_f32 v84, -v7, v181, v5
	v_fma_f32 v1, -v1, v179, v9
	v_fmac_f32_e32 v78, v4, v179
	v_fma_f32 v0, -v99, v179, v8
	v_fma_f32 v4, -v147, v179, v10
	v_dual_fmac_f32 v80, v149, v180 :: v_dual_fmac_f32 v81, v100, v181
	v_fmac_f32_e32 v1, v2, v180
	v_dual_fmac_f32 v78, v7, v180 :: v_dual_fmac_f32 v79, v2, v181
	v_fmac_f32_e32 v0, v100, v180
	v_fmac_f32_e32 v4, v148, v180
	s_delay_alu instid0(VALU_DEP_4) | instskip(NEXT) | instid1(VALU_DEP_4)
	v_fma_f32 v85, -v3, v181, v1
	v_fmac_f32_e32 v78, v6, v181
	v_fmac_f32_e32 v80, v148, v181
	v_fma_f32 v83, -v101, v181, v0
	v_fma_f32 v82, -v149, v181, v4
	s_and_not1_b32 exec_lo, exec_lo, s10
	s_cbranch_execnz .LBB31_27
; %bb.28:
	s_or_b32 exec_lo, exec_lo, s10
.LBB31_29:
	s_delay_alu instid0(SALU_CYCLE_1)
	s_or_b32 exec_lo, exec_lo, s7
.LBB31_30:
	s_delay_alu instid0(SALU_CYCLE_1) | instskip(NEXT) | instid1(SALU_CYCLE_1)
	s_or_b32 exec_lo, exec_lo, s6
	s_and_not1_b32 vcc_lo, exec_lo, s3
	s_cbranch_vccz .LBB31_32
	s_branch .LBB31_43
.LBB31_31:
                                        ; implicit-def: $vgpr78
                                        ; implicit-def: $vgpr84
                                        ; implicit-def: $vgpr82
                                        ; implicit-def: $vgpr80
                                        ; implicit-def: $vgpr83
                                        ; implicit-def: $vgpr81
                                        ; implicit-def: $vgpr85
                                        ; implicit-def: $vgpr79
.LBB31_32:
	v_dual_mov_b32 v78, 0 :: v_dual_mov_b32 v83, 0
	v_dual_mov_b32 v84, 0 :: v_dual_mov_b32 v81, 0
	;; [unrolled: 1-line block ×4, first 2 shown]
	s_and_saveexec_b32 s3, s2
	s_cbranch_execz .LBB31_42
; %bb.33:
	v_or_b32_e32 v0, 8, v77
	v_not_b32_e32 v3, v36
	v_not_b32_e32 v2, v37
	v_dual_mov_b32 v81, 0 :: v_dual_mov_b32 v80, 0
	s_delay_alu instid0(VALU_DEP_4) | instskip(NEXT) | instid1(VALU_DEP_1)
	v_sub_co_u32 v0, s2, v0, s12
	v_sub_co_ci_u32_e64 v1, null, 0, 0, s2
	v_sub_co_u32 v4, s2, s12, v77
	s_delay_alu instid0(VALU_DEP_3) | instskip(NEXT) | instid1(VALU_DEP_3)
	v_add_co_u32 v0, vcc_lo, v0, v36
	v_add_co_ci_u32_e32 v1, vcc_lo, v1, v37, vcc_lo
	v_sub_co_ci_u32_e64 v5, null, 0, 0, s2
	v_dual_mov_b32 v83, 0 :: v_dual_mov_b32 v82, 0
	s_delay_alu instid0(VALU_DEP_3)
	v_cmp_gt_i64_e32 vcc_lo, v[0:1], v[67:68]
	v_mov_b32_e32 v84, 0
	v_mov_b32_e32 v78, 0
	s_mov_b32 s2, exec_lo
	v_mov_b32_e32 v79, 0
	v_dual_cndmask_b32 v1, v68, v1 :: v_dual_cndmask_b32 v0, v67, v0
	v_add_co_u32 v3, vcc_lo, v4, v3
	v_add_co_ci_u32_e32 v2, vcc_lo, v5, v2, vcc_lo
	s_delay_alu instid0(VALU_DEP_2) | instskip(NEXT) | instid1(VALU_DEP_2)
	v_add_co_u32 v0, vcc_lo, v3, v0
	v_add_co_ci_u32_e32 v1, vcc_lo, v2, v1, vcc_lo
	s_delay_alu instid0(VALU_DEP_2) | instskip(NEXT) | instid1(VALU_DEP_1)
	v_lshrrev_b32_e32 v2, 3, v0
	v_dual_mov_b32 v85, 0 :: v_dual_add_nc_u32 v2, 1, v2
	s_delay_alu instid0(VALU_DEP_1) | instskip(NEXT) | instid1(VALU_DEP_1)
	v_and_b32_e32 v2, 3, v2
	v_cmpx_ne_u32_e32 0, v2
	s_cbranch_execz .LBB31_37
; %bb.34:
	v_lshlrev_b64 v[4:5], 2, v[65:66]
	v_dual_mov_b32 v3, 0 :: v_dual_lshlrev_b32 v2, 2, v2
	s_mov_b32 s6, 0
	s_delay_alu instid0(VALU_DEP_1) | instskip(NEXT) | instid1(VALU_DEP_3)
	v_mov_b32_e32 v78, v3
	v_add_co_u32 v4, vcc_lo, s8, v4
	s_delay_alu instid0(VALU_DEP_4)
	v_add_co_ci_u32_e32 v5, vcc_lo, s9, v5, vcc_lo
	v_mov_b32_e32 v84, v3
	v_mov_b32_e32 v82, v3
	v_mov_b32_e32 v80, v3
	v_mov_b32_e32 v83, v3
	v_mov_b32_e32 v81, v3
	v_mov_b32_e32 v85, v3
	v_mov_b32_e32 v79, v3
.LBB31_35:                              ; =>This Inner Loop Header: Depth=1
	global_load_b32 v18, v[4:5], off
	s_clause 0x2
	global_load_b128 v[6:9], v[69:70], off offset:32
	global_load_b128 v[10:13], v[69:70], off offset:16
	global_load_b128 v[14:17], v[69:70], off
	s_waitcnt vmcnt(3)
	v_subrev_nc_u32_e32 v18, s12, v18
	s_delay_alu instid0(VALU_DEP_1) | instskip(NEXT) | instid1(VALU_DEP_1)
	v_lshlrev_b32_e32 v18, 2, v18
	v_ashrrev_i32_e32 v19, 31, v18
	s_delay_alu instid0(VALU_DEP_1) | instskip(SKIP_1) | instid1(VALU_DEP_1)
	v_lshlrev_b64 v[18:19], 3, v[18:19]
	s_waitcnt lgkmcnt(0)
	v_add_co_u32 v22, vcc_lo, s4, v18
	s_delay_alu instid0(VALU_DEP_2)
	v_add_co_ci_u32_e32 v23, vcc_lo, s5, v19, vcc_lo
	s_clause 0x1
	global_load_b128 v[18:21], v[22:23], off
	global_load_b128 v[22:25], v[22:23], off offset:16
	s_clause 0x4
	global_load_b128 v[26:29], v[69:70], off offset:48
	global_load_b128 v[30:33], v[69:70], off offset:64
	;; [unrolled: 1-line block ×5, first 2 shown]
	v_add_co_u32 v69, vcc_lo, 0x400, v69
	v_add_co_ci_u32_e32 v70, vcc_lo, 0, v70, vcc_lo
	v_add_co_u32 v65, vcc_lo, v65, 8
	v_add_co_ci_u32_e32 v66, vcc_lo, 0, v66, vcc_lo
	v_add_co_u32 v2, vcc_lo, v2, -4
	v_add_co_ci_u32_e32 v3, vcc_lo, -1, v3, vcc_lo
	v_add_co_u32 v4, vcc_lo, v4, 32
	v_add_co_ci_u32_e32 v5, vcc_lo, 0, v5, vcc_lo
	s_delay_alu instid0(VALU_DEP_3) | instskip(SKIP_3) | instid1(VALU_DEP_1)
	v_cmp_eq_u64_e32 vcc_lo, 0, v[2:3]
	s_or_b32 s6, vcc_lo, s6
	s_waitcnt vmcnt(6)
	v_fmac_f32_e32 v81, v11, v18
	v_dual_fmac_f32 v78, v15, v18 :: v_dual_fmac_f32 v81, v10, v19
	s_delay_alu instid0(VALU_DEP_1) | instskip(NEXT) | instid1(VALU_DEP_1)
	v_dual_fmac_f32 v85, v16, v18 :: v_dual_fmac_f32 v78, v14, v19
	v_dual_fmac_f32 v83, v10, v18 :: v_dual_fmac_f32 v78, v7, v20
	s_delay_alu instid0(VALU_DEP_1) | instskip(SKIP_2) | instid1(VALU_DEP_3)
	v_fma_f32 v11, -v11, v19, v83
	s_waitcnt vmcnt(4)
	v_dual_fmac_f32 v80, v13, v18 :: v_dual_fmac_f32 v81, v27, v20
	v_fmac_f32_e32 v78, v6, v21
	s_delay_alu instid0(VALU_DEP_3) | instskip(NEXT) | instid1(VALU_DEP_3)
	v_fmac_f32_e32 v11, v26, v20
	v_dual_fmac_f32 v79, v17, v18 :: v_dual_fmac_f32 v80, v12, v19
	s_delay_alu instid0(VALU_DEP_4) | instskip(NEXT) | instid1(VALU_DEP_2)
	v_fmac_f32_e32 v81, v26, v21
	v_dual_fmac_f32 v79, v16, v19 :: v_dual_fmac_f32 v84, v14, v18
	v_fma_f32 v14, -v17, v19, v85
	s_delay_alu instid0(VALU_DEP_2) | instskip(NEXT) | instid1(VALU_DEP_3)
	v_fmac_f32_e32 v79, v9, v20
	v_fma_f32 v15, -v15, v19, v84
	v_fmac_f32_e32 v82, v12, v18
	v_fmac_f32_e32 v80, v29, v20
	;; [unrolled: 1-line block ×5, first 2 shown]
	v_fma_f32 v10, -v13, v19, v82
	v_fma_f32 v8, -v27, v21, v11
	;; [unrolled: 1-line block ×3, first 2 shown]
	s_waitcnt vmcnt(3)
	v_fmac_f32_e32 v79, v33, v22
	v_fma_f32 v7, -v7, v21, v15
	v_fmac_f32_e32 v10, v28, v20
	v_fmac_f32_e32 v80, v28, v21
	s_delay_alu instid0(VALU_DEP_4) | instskip(NEXT) | instid1(VALU_DEP_4)
	v_dual_fmac_f32 v78, v31, v22 :: v_dual_fmac_f32 v79, v32, v23
	v_fmac_f32_e32 v7, v30, v22
	s_delay_alu instid0(VALU_DEP_4)
	v_fma_f32 v9, -v29, v21, v10
	s_waitcnt vmcnt(2)
	v_fmac_f32_e32 v8, v34, v22
	s_waitcnt vmcnt(1)
	v_dual_fmac_f32 v78, v30, v23 :: v_dual_fmac_f32 v79, v41, v24
	v_fma_f32 v7, -v31, v23, v7
	v_fmac_f32_e32 v80, v37, v22
	s_delay_alu instid0(VALU_DEP_3) | instskip(SKIP_1) | instid1(VALU_DEP_4)
	v_dual_fmac_f32 v9, v36, v22 :: v_dual_fmac_f32 v78, v39, v24
	v_fma_f32 v8, -v35, v23, v8
	v_fmac_f32_e32 v7, v38, v24
	s_delay_alu instid0(VALU_DEP_4)
	v_dual_fmac_f32 v81, v35, v22 :: v_dual_fmac_f32 v80, v36, v23
	v_fmac_f32_e32 v6, v32, v22
	v_fma_f32 v9, -v37, v23, v9
	s_waitcnt vmcnt(0)
	v_dual_fmac_f32 v8, v42, v24 :: v_dual_fmac_f32 v79, v40, v25
	v_fmac_f32_e32 v81, v34, v23
	v_fma_f32 v6, -v33, v23, v6
	v_fmac_f32_e32 v9, v44, v24
	v_fmac_f32_e32 v80, v45, v24
	s_delay_alu instid0(VALU_DEP_4) | instskip(NEXT) | instid1(VALU_DEP_4)
	v_dual_fmac_f32 v78, v38, v25 :: v_dual_fmac_f32 v81, v43, v24
	v_fmac_f32_e32 v6, v40, v24
	v_fma_f32 v84, -v39, v25, v7
	v_fma_f32 v83, -v43, v25, v8
	;; [unrolled: 1-line block ×3, first 2 shown]
	v_fmac_f32_e32 v81, v42, v25
	v_fma_f32 v85, -v41, v25, v6
	v_fmac_f32_e32 v80, v44, v25
	s_and_not1_b32 exec_lo, exec_lo, s6
	s_cbranch_execnz .LBB31_35
; %bb.36:
	s_or_b32 exec_lo, exec_lo, s6
.LBB31_37:
	s_delay_alu instid0(SALU_CYCLE_1) | instskip(NEXT) | instid1(SALU_CYCLE_1)
	s_or_b32 exec_lo, exec_lo, s2
	s_mov_b32 s2, exec_lo
	v_cmpx_lt_u64_e32 23, v[0:1]
	s_cbranch_execz .LBB31_41
; %bb.38:
	v_lshlrev_b64 v[0:1], 2, v[65:66]
	s_mov_b32 s6, 0
	s_delay_alu instid0(VALU_DEP_1) | instskip(NEXT) | instid1(VALU_DEP_2)
	v_add_co_u32 v0, vcc_lo, v0, s8
	v_add_co_ci_u32_e32 v1, vcc_lo, s9, v1, vcc_lo
	s_delay_alu instid0(VALU_DEP_2) | instskip(NEXT) | instid1(VALU_DEP_2)
	v_add_co_u32 v71, vcc_lo, v0, 64
	v_add_co_ci_u32_e32 v72, vcc_lo, 0, v1, vcc_lo
.LBB31_39:                              ; =>This Inner Loop Header: Depth=1
	global_load_b32 v86, v[71:72], off offset:-64
	s_clause 0xf
	global_load_b128 v[8:11], v[69:70], off offset:48
	global_load_b128 v[20:23], v[69:70], off offset:32
	;; [unrolled: 1-line block ×3, first 2 shown]
	global_load_b128 v[60:63], v[69:70], off
	global_load_b128 v[32:35], v[69:70], off offset:112
	global_load_b128 v[40:43], v[69:70], off offset:96
	;; [unrolled: 1-line block ×12, first 2 shown]
	s_clause 0x2
	global_load_b32 v143, v[71:72], off offset:-32
	global_load_b32 v144, v[71:72], off
	global_load_b32 v145, v[71:72], off offset:32
	s_clause 0xb
	global_load_b128 v[87:90], v[69:70], off offset:2096
	global_load_b128 v[91:94], v[69:70], off offset:2080
	;; [unrolled: 1-line block ×12, first 2 shown]
	s_waitcnt vmcnt(31)
	v_subrev_nc_u32_e32 v86, s12, v86
	s_delay_alu instid0(VALU_DEP_1) | instskip(NEXT) | instid1(VALU_DEP_1)
	v_lshlrev_b32_e32 v135, 2, v86
	v_ashrrev_i32_e32 v136, 31, v135
	s_delay_alu instid0(VALU_DEP_1) | instskip(SKIP_1) | instid1(VALU_DEP_1)
	v_lshlrev_b64 v[135:136], 3, v[135:136]
	s_waitcnt lgkmcnt(0)
	v_add_co_u32 v139, vcc_lo, s4, v135
	s_delay_alu instid0(VALU_DEP_2)
	v_add_co_ci_u32_e32 v140, vcc_lo, s5, v136, vcc_lo
	s_clause 0x1
	global_load_b128 v[135:138], v[139:140], off
	global_load_b128 v[139:142], v[139:140], off offset:16
	s_waitcnt vmcnt(1)
	v_fmac_f32_e32 v80, v59, v135
	s_delay_alu instid0(VALU_DEP_1) | instskip(NEXT) | instid1(VALU_DEP_1)
	v_dual_fmac_f32 v79, v63, v135 :: v_dual_fmac_f32 v80, v58, v136
	v_dual_fmac_f32 v84, v60, v135 :: v_dual_fmac_f32 v79, v62, v136
	v_fmac_f32_e32 v82, v58, v135
	s_delay_alu instid0(VALU_DEP_2) | instskip(NEXT) | instid1(VALU_DEP_3)
	v_fma_f32 v84, -v61, v136, v84
	v_fmac_f32_e32 v79, v23, v137
	v_fmac_f32_e32 v81, v57, v135
	s_delay_alu instid0(VALU_DEP_4) | instskip(SKIP_2) | instid1(VALU_DEP_4)
	v_fma_f32 v146, -v59, v136, v82
	v_subrev_nc_u32_e32 v82, s12, v143
	v_fmac_f32_e32 v84, v20, v137
	v_dual_fmac_f32 v78, v61, v135 :: v_dual_fmac_f32 v81, v56, v136
	s_delay_alu instid0(VALU_DEP_3) | instskip(NEXT) | instid1(VALU_DEP_2)
	v_dual_fmac_f32 v85, v62, v135 :: v_dual_lshlrev_b32 v82, 2, v82
	v_fmac_f32_e32 v78, v60, v136
	v_fmac_f32_e32 v83, v56, v135
	s_delay_alu instid0(VALU_DEP_3)
	v_fma_f32 v85, -v63, v136, v85
	v_subrev_nc_u32_e32 v135, s12, v145
	v_fma_f32 v145, -v21, v138, v84
	v_fmac_f32_e32 v78, v21, v137
	v_fma_f32 v86, -v57, v136, v83
	v_subrev_nc_u32_e32 v83, s12, v144
	v_fmac_f32_e32 v79, v22, v138
	s_delay_alu instid0(VALU_DEP_4) | instskip(NEXT) | instid1(VALU_DEP_3)
	v_dual_fmac_f32 v85, v22, v137 :: v_dual_fmac_f32 v78, v20, v138
	v_dual_fmac_f32 v81, v9, v137 :: v_dual_lshlrev_b32 v20, 2, v83
	v_ashrrev_i32_e32 v83, 31, v82
	v_lshlrev_b32_e32 v22, 2, v135
	s_delay_alu instid0(VALU_DEP_4) | instskip(NEXT) | instid1(VALU_DEP_4)
	v_fma_f32 v147, -v23, v138, v85
	v_fmac_f32_e32 v81, v8, v138
	v_ashrrev_i32_e32 v21, 31, v20
	v_lshlrev_b64 v[82:83], 3, v[82:83]
	v_ashrrev_i32_e32 v23, 31, v22
	s_waitcnt vmcnt(0)
	v_dual_fmac_f32 v86, v8, v137 :: v_dual_fmac_f32 v147, v54, v139
	v_lshlrev_b64 v[20:21], 3, v[20:21]
	v_dual_fmac_f32 v146, v10, v137 :: v_dual_fmac_f32 v145, v52, v139
	v_lshlrev_b64 v[22:23], 3, v[22:23]
	v_add_co_u32 v82, vcc_lo, s4, v82
	v_add_co_ci_u32_e32 v83, vcc_lo, s5, v83, vcc_lo
	v_add_co_u32 v135, vcc_lo, s4, v20
	v_fmac_f32_e32 v79, v55, v139
	v_fmac_f32_e32 v80, v11, v137
	v_add_co_ci_u32_e32 v136, vcc_lo, s5, v21, vcc_lo
	v_add_co_u32 v143, vcc_lo, s4, v22
	s_delay_alu instid0(VALU_DEP_4)
	v_fmac_f32_e32 v79, v54, v140
	s_clause 0x1
	global_load_b128 v[60:63], v[69:70], off offset:3136
	global_load_b128 v[56:59], v[69:70], off offset:3152
	v_add_co_ci_u32_e32 v144, vcc_lo, s5, v23, vcc_lo
	v_fma_f32 v86, -v9, v138, v86
	v_fma_f32 v137, -v11, v138, v146
	v_dual_fmac_f32 v80, v10, v138 :: v_dual_fmac_f32 v81, v49, v139
	s_clause 0x2
	global_load_b128 v[8:11], v[82:83], off
	global_load_b128 v[20:23], v[82:83], off offset:16
	global_load_b128 v[82:85], v[135:136], off
	v_fmac_f32_e32 v78, v53, v139
	v_fma_f32 v138, -v53, v140, v145
	v_fma_f32 v145, -v55, v140, v147
	v_fmac_f32_e32 v81, v48, v140
	v_fmac_f32_e32 v86, v48, v139
	;; [unrolled: 1-line block ×3, first 2 shown]
	global_load_b128 v[52:55], v[135:136], off offset:16
	v_dual_fmac_f32 v137, v50, v139 :: v_dual_fmac_f32 v138, v40, v141
	v_fmac_f32_e32 v79, v43, v141
	v_dual_fmac_f32 v80, v51, v139 :: v_dual_fmac_f32 v145, v42, v141
	v_fma_f32 v86, -v49, v140, v86
	s_delay_alu instid0(VALU_DEP_4) | instskip(NEXT) | instid1(VALU_DEP_4)
	v_fma_f32 v139, -v51, v140, v137
	v_fmac_f32_e32 v79, v42, v142
	s_delay_alu instid0(VALU_DEP_4)
	v_dual_fmac_f32 v80, v50, v140 :: v_dual_fmac_f32 v81, v33, v141
	global_load_b128 v[48:51], v[143:144], off
	v_fmac_f32_e32 v78, v41, v141
	v_fma_f32 v140, -v41, v142, v138
	v_fma_f32 v145, -v43, v142, v145
	v_fmac_f32_e32 v81, v32, v142
	v_fmac_f32_e32 v86, v32, v141
	;; [unrolled: 1-line block ×3, first 2 shown]
	global_load_b128 v[40:43], v[69:70], off offset:3168
	global_load_b128 v[135:138], v[143:144], off offset:16
	v_fmac_f32_e32 v139, v34, v141
	s_waitcnt vmcnt(6)
	v_dual_fmac_f32 v80, v35, v141 :: v_dual_fmac_f32 v81, v13, v8
	s_delay_alu instid0(VALU_DEP_1)
	v_dual_fmac_f32 v80, v34, v142 :: v_dual_fmac_f32 v79, v19, v8
	v_fmac_f32_e32 v140, v16, v8
	v_fma_f32 v139, -v35, v142, v139
	v_fmac_f32_e32 v145, v18, v8
	v_fma_f32 v86, -v33, v142, v86
	global_load_b128 v[32:35], v[69:70], off offset:3184
	v_dual_fmac_f32 v78, v17, v8 :: v_dual_fmac_f32 v79, v18, v9
	v_fmac_f32_e32 v139, v14, v8
	v_fmac_f32_e32 v86, v12, v8
	v_dual_fmac_f32 v80, v15, v8 :: v_dual_fmac_f32 v81, v12, v9
	v_fma_f32 v8, -v17, v9, v140
	v_fmac_f32_e32 v78, v16, v9
	v_fma_f32 v16, -v19, v9, v145
	v_fmac_f32_e32 v79, v7, v10
	;; [unrolled: 2-line block ×3, first 2 shown]
	v_dual_fmac_f32 v80, v14, v9 :: v_dual_fmac_f32 v81, v1, v10
	v_fmac_f32_e32 v78, v5, v10
	s_delay_alu instid0(VALU_DEP_4)
	v_fmac_f32_e32 v13, v0, v10
	v_fmac_f32_e32 v79, v6, v11
	v_fma_f32 v5, -v5, v11, v8
	v_dual_fmac_f32 v81, v0, v11 :: v_dual_fmac_f32 v16, v6, v10
	v_fma_f32 v12, -v15, v9, v139
	v_fmac_f32_e32 v78, v4, v11
	s_waitcnt vmcnt(6)
	v_fmac_f32_e32 v5, v44, v20
	v_fma_f32 v1, -v1, v11, v13
	v_fmac_f32_e32 v80, v3, v10
	v_fma_f32 v4, -v7, v11, v16
	v_dual_fmac_f32 v12, v2, v10 :: v_dual_fmac_f32 v79, v47, v20
	s_delay_alu instid0(VALU_DEP_3) | instskip(SKIP_1) | instid1(VALU_DEP_4)
	v_dual_fmac_f32 v1, v36, v20 :: v_dual_fmac_f32 v80, v2, v11
	v_fmac_f32_e32 v81, v37, v20
	v_fmac_f32_e32 v4, v46, v20
	s_delay_alu instid0(VALU_DEP_4) | instskip(SKIP_1) | instid1(VALU_DEP_4)
	v_fma_f32 v0, -v3, v11, v12
	v_dual_fmac_f32 v78, v45, v20 :: v_dual_fmac_f32 v79, v46, v21
	v_fmac_f32_e32 v81, v36, v21
	s_delay_alu instid0(VALU_DEP_4) | instskip(SKIP_1) | instid1(VALU_DEP_4)
	v_fma_f32 v3, -v47, v21, v4
	v_fmac_f32_e32 v80, v39, v20
	v_fmac_f32_e32 v78, v44, v21
	v_fma_f32 v1, -v37, v21, v1
	v_fmac_f32_e32 v81, v25, v22
	v_fmac_f32_e32 v3, v30, v22
	;; [unrolled: 1-line block ×6, first 2 shown]
	v_fma_f32 v3, -v31, v23, v3
	v_dual_fmac_f32 v0, v38, v20 :: v_dual_fmac_f32 v79, v31, v22
	v_fmac_f32_e32 v78, v28, v23
	v_fma_f32 v2, -v45, v21, v5
	s_waitcnt vmcnt(5)
	v_fmac_f32_e32 v3, v101, v82
	v_fma_f32 v1, -v25, v23, v1
	v_fmac_f32_e32 v79, v30, v23
	v_fma_f32 v0, -v39, v21, v0
	;; [unrolled: 2-line block ×3, first 2 shown]
	v_fmac_f32_e32 v80, v27, v22
	v_fmac_f32_e32 v1, v95, v82
	v_add_co_u32 v69, vcc_lo, 0x1000, v69
	s_delay_alu instid0(VALU_DEP_3) | instskip(SKIP_1) | instid1(VALU_DEP_4)
	v_dual_fmac_f32 v3, v93, v84 :: v_dual_fmac_f32 v80, v26, v23
	v_fma_f32 v2, -v29, v23, v2
	v_fma_f32 v1, -v96, v83, v1
	v_add_co_ci_u32_e32 v70, vcc_lo, 0, v70, vcc_lo
	s_delay_alu instid0(VALU_DEP_4) | instskip(SKIP_1) | instid1(VALU_DEP_4)
	v_fmac_f32_e32 v80, v98, v82
	v_fmac_f32_e32 v81, v96, v82
	;; [unrolled: 1-line block ×3, first 2 shown]
	v_fma_f32 v3, -v94, v85, v3
	v_add_co_u32 v65, vcc_lo, v65, 32
	v_fmac_f32_e32 v80, v97, v83
	v_dual_fmac_f32 v78, v100, v82 :: v_dual_fmac_f32 v81, v95, v83
	v_fmac_f32_e32 v79, v102, v82
	v_fma_f32 v1, -v88, v85, v1
	s_waitcnt vmcnt(4)
	s_delay_alu instid0(VALU_DEP_3) | instskip(NEXT) | instid1(VALU_DEP_3)
	v_dual_fmac_f32 v3, v117, v52 :: v_dual_fmac_f32 v78, v99, v83
	v_dual_fmac_f32 v0, v26, v22 :: v_dual_fmac_f32 v79, v101, v83
	;; [unrolled: 1-line block ×3, first 2 shown]
	s_delay_alu instid0(VALU_DEP_3) | instskip(NEXT) | instid1(VALU_DEP_3)
	v_fmac_f32_e32 v78, v92, v84
	v_fma_f32 v0, -v27, v23, v0
	s_delay_alu instid0(VALU_DEP_4) | instskip(NEXT) | instid1(VALU_DEP_4)
	v_fmac_f32_e32 v79, v94, v84
	v_fma_f32 v2, -v100, v83, v2
	v_fmac_f32_e32 v81, v87, v85
	s_delay_alu instid0(VALU_DEP_4) | instskip(NEXT) | instid1(VALU_DEP_3)
	v_dual_fmac_f32 v1, v111, v52 :: v_dual_fmac_f32 v0, v97, v82
	v_dual_fmac_f32 v79, v93, v85 :: v_dual_fmac_f32 v2, v91, v84
	v_fmac_f32_e32 v78, v91, v85
	v_fma_f32 v3, -v118, v53, v3
	s_delay_alu instid0(VALU_DEP_4) | instskip(NEXT) | instid1(VALU_DEP_4)
	v_fma_f32 v0, -v98, v83, v0
	v_fmac_f32_e32 v79, v118, v52
	v_fmac_f32_e32 v80, v90, v84
	v_fma_f32 v2, -v92, v85, v2
	v_fma_f32 v1, -v112, v53, v1
	v_fmac_f32_e32 v3, v109, v54
	v_fmac_f32_e32 v79, v117, v53
	v_fmac_f32_e32 v80, v89, v85
	v_fmac_f32_e32 v2, v115, v52
	v_dual_fmac_f32 v78, v116, v52 :: v_dual_fmac_f32 v1, v103, v54
	s_delay_alu instid0(VALU_DEP_4) | instskip(NEXT) | instid1(VALU_DEP_4)
	v_fmac_f32_e32 v79, v110, v54
	v_fmac_f32_e32 v80, v114, v52
	;; [unrolled: 1-line block ×3, first 2 shown]
	v_fma_f32 v2, -v116, v53, v2
	s_delay_alu instid0(VALU_DEP_4) | instskip(NEXT) | instid1(VALU_DEP_4)
	v_dual_fmac_f32 v78, v115, v53 :: v_dual_fmac_f32 v79, v109, v55
	v_fmac_f32_e32 v80, v113, v53
	s_delay_alu instid0(VALU_DEP_4) | instskip(NEXT) | instid1(VALU_DEP_4)
	v_dual_fmac_f32 v0, v89, v84 :: v_dual_fmac_f32 v81, v111, v53
	v_fmac_f32_e32 v2, v107, v54
	v_fma_f32 v3, -v110, v55, v3
	s_delay_alu instid0(VALU_DEP_4) | instskip(NEXT) | instid1(VALU_DEP_4)
	v_fmac_f32_e32 v80, v106, v54
	v_fma_f32 v0, -v90, v85, v0
	v_fmac_f32_e32 v81, v104, v54
	v_fmac_f32_e32 v78, v108, v54
	v_fma_f32 v2, -v108, v55, v2
	s_waitcnt vmcnt(3)
	v_fmac_f32_e32 v79, v134, v48
	v_fmac_f32_e32 v0, v113, v52
	v_fma_f32 v1, -v104, v55, v1
	v_fmac_f32_e32 v81, v103, v55
	v_fmac_f32_e32 v78, v107, v55
	v_dual_fmac_f32 v2, v131, v48 :: v_dual_fmac_f32 v79, v133, v49
	v_fma_f32 v0, -v114, v53, v0
	v_fmac_f32_e32 v3, v133, v48
	v_dual_fmac_f32 v80, v105, v55 :: v_dual_fmac_f32 v1, v127, v48
	s_delay_alu instid0(VALU_DEP_3) | instskip(SKIP_3) | instid1(VALU_DEP_4)
	v_dual_fmac_f32 v81, v128, v48 :: v_dual_fmac_f32 v0, v105, v54
	v_fmac_f32_e32 v78, v132, v48
	v_fma_f32 v2, -v132, v49, v2
	v_fma_f32 v3, -v134, v49, v3
	v_fmac_f32_e32 v81, v127, v49
	v_fma_f32 v0, -v106, v55, v0
	v_fmac_f32_e32 v80, v130, v48
	v_fmac_f32_e32 v79, v126, v50
	v_dual_fmac_f32 v3, v125, v50 :: v_dual_fmac_f32 v78, v131, v49
	s_delay_alu instid0(VALU_DEP_4) | instskip(SKIP_3) | instid1(VALU_DEP_4)
	v_dual_fmac_f32 v81, v120, v50 :: v_dual_fmac_f32 v0, v129, v48
	v_fma_f32 v1, -v128, v49, v1
	v_fmac_f32_e32 v80, v129, v49
	v_dual_fmac_f32 v2, v123, v50 :: v_dual_fmac_f32 v79, v125, v51
	v_dual_fmac_f32 v78, v124, v50 :: v_dual_fmac_f32 v81, v119, v51
	s_delay_alu instid0(VALU_DEP_4) | instskip(SKIP_1) | instid1(VALU_DEP_3)
	v_fmac_f32_e32 v1, v119, v50
	s_waitcnt vmcnt(1)
	v_dual_fmac_f32 v80, v122, v50 :: v_dual_fmac_f32 v79, v63, v135
	s_delay_alu instid0(VALU_DEP_3) | instskip(SKIP_3) | instid1(VALU_DEP_4)
	v_fmac_f32_e32 v78, v123, v51
	v_fma_f32 v0, -v130, v49, v0
	v_fma_f32 v3, -v126, v51, v3
	;; [unrolled: 1-line block ×3, first 2 shown]
	v_dual_fmac_f32 v79, v62, v136 :: v_dual_fmac_f32 v78, v61, v135
	s_delay_alu instid0(VALU_DEP_3) | instskip(SKIP_1) | instid1(VALU_DEP_3)
	v_dual_fmac_f32 v0, v121, v50 :: v_dual_fmac_f32 v3, v62, v135
	v_fma_f32 v2, -v124, v51, v2
	v_fmac_f32_e32 v79, v43, v137
	s_delay_alu instid0(VALU_DEP_4) | instskip(SKIP_3) | instid1(VALU_DEP_4)
	v_dual_fmac_f32 v81, v57, v135 :: v_dual_fmac_f32 v78, v60, v136
	v_fmac_f32_e32 v80, v121, v51
	v_fma_f32 v0, -v122, v51, v0
	v_fma_f32 v3, -v63, v136, v3
	v_fmac_f32_e32 v81, v56, v136
	v_fmac_f32_e32 v2, v60, v135
	;; [unrolled: 1-line block ×3, first 2 shown]
	v_add_co_ci_u32_e32 v66, vcc_lo, 0, v66, vcc_lo
	v_fmac_f32_e32 v3, v42, v137
	s_delay_alu instid0(VALU_DEP_4) | instskip(SKIP_2) | instid1(VALU_DEP_3)
	v_fma_f32 v2, -v61, v136, v2
	v_add_co_u32 v71, vcc_lo, 0x80, v71
	v_add_co_ci_u32_e32 v72, vcc_lo, 0, v72, vcc_lo
	v_dual_fmac_f32 v2, v40, v137 :: v_dual_fmac_f32 v79, v42, v138
	v_cmp_ge_i64_e32 vcc_lo, v[65:66], v[67:68]
	v_fma_f32 v85, -v43, v138, v3
	s_delay_alu instid0(VALU_DEP_3) | instskip(SKIP_4) | instid1(VALU_DEP_2)
	v_fma_f32 v84, -v41, v138, v2
	s_or_b32 s6, vcc_lo, s6
	s_waitcnt vmcnt(0)
	v_fmac_f32_e32 v81, v33, v137
	v_dual_fmac_f32 v1, v56, v135 :: v_dual_fmac_f32 v80, v58, v136
	v_dual_fmac_f32 v78, v41, v137 :: v_dual_fmac_f32 v81, v32, v138
	s_delay_alu instid0(VALU_DEP_2) | instskip(SKIP_1) | instid1(VALU_DEP_4)
	v_fma_f32 v1, -v57, v136, v1
	v_fmac_f32_e32 v0, v58, v135
	v_fmac_f32_e32 v80, v35, v137
	s_delay_alu instid0(VALU_DEP_4) | instskip(NEXT) | instid1(VALU_DEP_4)
	v_fmac_f32_e32 v78, v40, v138
	v_fmac_f32_e32 v1, v32, v137
	s_delay_alu instid0(VALU_DEP_4) | instskip(NEXT) | instid1(VALU_DEP_4)
	v_fma_f32 v0, -v59, v136, v0
	v_fmac_f32_e32 v80, v34, v138
	s_delay_alu instid0(VALU_DEP_3) | instskip(NEXT) | instid1(VALU_DEP_3)
	v_fma_f32 v83, -v33, v138, v1
	v_fmac_f32_e32 v0, v34, v137
	s_delay_alu instid0(VALU_DEP_1)
	v_fma_f32 v82, -v35, v138, v0
	s_and_not1_b32 exec_lo, exec_lo, s6
	s_cbranch_execnz .LBB31_39
; %bb.40:
	s_or_b32 exec_lo, exec_lo, s6
.LBB31_41:
	s_delay_alu instid0(SALU_CYCLE_1)
	s_or_b32 exec_lo, exec_lo, s2
.LBB31_42:
	s_delay_alu instid0(SALU_CYCLE_1)
	s_or_b32 exec_lo, exec_lo, s3
.LBB31_43:
	v_mbcnt_lo_u32_b32 v0, -1, 0
	s_delay_alu instid0(VALU_DEP_1) | instskip(SKIP_2) | instid1(VALU_DEP_3)
	v_xor_b32_e32 v1, 4, v0
	v_xor_b32_e32 v9, 2, v0
	;; [unrolled: 1-line block ×3, first 2 shown]
	v_cmp_gt_i32_e32 vcc_lo, 32, v1
	v_cndmask_b32_e32 v1, v0, v1, vcc_lo
	s_delay_alu instid0(VALU_DEP_4) | instskip(NEXT) | instid1(VALU_DEP_2)
	v_cmp_gt_i32_e32 vcc_lo, 32, v9
	v_lshlrev_b32_e32 v1, 2, v1
	ds_bpermute_b32 v2, v1, v84
	s_waitcnt lgkmcnt(0)
	v_add_f32_e32 v2, v84, v2
	ds_bpermute_b32 v4, v1, v85
	ds_bpermute_b32 v6, v1, v83
	;; [unrolled: 1-line block ×7, first 2 shown]
	v_cndmask_b32_e32 v9, v0, v9, vcc_lo
	v_cmp_gt_i32_e32 vcc_lo, 32, v17
	v_cndmask_b32_e32 v0, v0, v17, vcc_lo
	v_cmp_eq_u32_e32 vcc_lo, 7, v77
	s_waitcnt lgkmcnt(6)
	v_add_f32_e32 v4, v85, v4
	s_waitcnt lgkmcnt(5)
	v_dual_add_f32 v6, v83, v6 :: v_dual_lshlrev_b32 v9, 2, v9
	s_waitcnt lgkmcnt(4)
	v_add_f32_e32 v3, v78, v3
	s_waitcnt lgkmcnt(1)
	v_dual_add_f32 v7, v81, v7 :: v_dual_add_f32 v8, v82, v8
	s_waitcnt lgkmcnt(0)
	v_add_f32_e32 v10, v80, v1
	ds_bpermute_b32 v1, v9, v2
	ds_bpermute_b32 v12, v9, v4
	v_add_f32_e32 v5, v79, v5
	ds_bpermute_b32 v11, v9, v3
	ds_bpermute_b32 v14, v9, v6
	ds_bpermute_b32 v15, v9, v7
	ds_bpermute_b32 v16, v9, v8
	s_waitcnt lgkmcnt(5)
	v_dual_add_f32 v0, v2, v1 :: v_dual_lshlrev_b32 v17, 2, v0
	s_waitcnt lgkmcnt(4)
	v_add_f32_e32 v2, v4, v12
	ds_bpermute_b32 v13, v9, v5
	ds_bpermute_b32 v9, v9, v10
	s_waitcnt lgkmcnt(4)
	v_dual_add_f32 v1, v3, v11 :: v_dual_add_f32 v4, v6, v14
	s_waitcnt lgkmcnt(2)
	v_add_f32_e32 v6, v8, v16
	ds_bpermute_b32 v8, v17, v0
	ds_bpermute_b32 v12, v17, v4
	;; [unrolled: 1-line block ×3, first 2 shown]
	s_waitcnt lgkmcnt(4)
	v_add_f32_e32 v3, v5, v13
	v_add_f32_e32 v5, v7, v15
	s_waitcnt lgkmcnt(3)
	v_add_f32_e32 v7, v10, v9
	ds_bpermute_b32 v9, v17, v1
	ds_bpermute_b32 v10, v17, v2
	;; [unrolled: 1-line block ×5, first 2 shown]
	s_and_b32 exec_lo, exec_lo, vcc_lo
	s_cbranch_execz .LBB31_13
; %bb.44:
	s_load_b64 s[2:3], s[0:1], 0x50
	s_waitcnt lgkmcnt(0)
	v_add_f32_e32 v8, v0, v8
	v_dual_add_f32 v0, v1, v9 :: v_dual_add_f32 v1, v3, v11
	v_dual_add_f32 v9, v2, v10 :: v_dual_add_f32 v2, v5, v13
	v_dual_add_f32 v3, v7, v15 :: v_dual_add_f32 v10, v4, v12
	v_add_f32_e32 v11, v6, v14
	s_delay_alu instid0(VALU_DEP_4)
	v_mul_f32_e64 v4, v0, -v76
	v_mul_f32_e32 v5, v0, v75
	v_mul_f32_e64 v6, v1, -v76
	v_mul_f32_e32 v7, v1, v75
	;; [unrolled: 2-line block ×3, first 2 shown]
	v_mul_f32_e64 v2, v3, -v76
	v_fmac_f32_e32 v6, v75, v9
	v_mul_f32_e32 v3, v3, v75
	v_cmp_eq_f32_e32 vcc_lo, 0, v73
	v_cmp_eq_f32_e64 s0, 0, v74
	v_fmac_f32_e32 v4, v75, v8
	v_dual_fmac_f32 v5, v76, v8 :: v_dual_fmac_f32 v0, v75, v10
	v_dual_fmac_f32 v7, v76, v9 :: v_dual_lshlrev_b32 v8, 2, v64
	v_dual_fmac_f32 v2, v75, v11 :: v_dual_fmac_f32 v1, v76, v10
	v_fmac_f32_e32 v3, v76, v11
	s_and_b32 s0, vcc_lo, s0
	s_delay_alu instid0(SALU_CYCLE_1) | instskip(NEXT) | instid1(SALU_CYCLE_1)
	s_and_saveexec_b32 s1, s0
	s_xor_b32 s0, exec_lo, s1
; %bb.45:
	v_ashrrev_i32_e32 v9, 31, v8
                                        ; implicit-def: $vgpr73
                                        ; implicit-def: $vgpr74
	s_delay_alu instid0(VALU_DEP_1) | instskip(NEXT) | instid1(VALU_DEP_1)
	v_lshlrev_b64 v[8:9], 3, v[8:9]
	v_add_co_u32 v8, vcc_lo, s2, v8
	s_delay_alu instid0(VALU_DEP_2)
	v_add_co_ci_u32_e32 v9, vcc_lo, s3, v9, vcc_lo
	s_clause 0x1
	global_store_b128 v[8:9], v[4:7], off
	global_store_b128 v[8:9], v[0:3], off offset:16
                                        ; implicit-def: $vgpr4
                                        ; implicit-def: $vgpr8
                                        ; implicit-def: $vgpr0
; %bb.46:
	s_and_not1_saveexec_b32 s0, s0
	s_cbranch_execz .LBB31_13
; %bb.47:
	v_ashrrev_i32_e32 v9, 31, v8
	s_delay_alu instid0(VALU_DEP_1) | instskip(NEXT) | instid1(VALU_DEP_1)
	v_lshlrev_b64 v[8:9], 3, v[8:9]
	v_add_co_u32 v16, vcc_lo, s2, v8
	s_delay_alu instid0(VALU_DEP_2)
	v_add_co_ci_u32_e32 v17, vcc_lo, s3, v9, vcc_lo
	s_clause 0x1
	global_load_b128 v[8:11], v[16:17], off
	global_load_b128 v[12:15], v[16:17], off offset:16
	s_waitcnt vmcnt(1)
	v_dual_fmac_f32 v4, v73, v8 :: v_dual_fmac_f32 v7, v74, v10
	v_dual_fmac_f32 v5, v74, v8 :: v_dual_fmac_f32 v6, v73, v10
	s_waitcnt vmcnt(0)
	v_dual_fmac_f32 v0, v73, v12 :: v_dual_fmac_f32 v3, v74, v14
	v_dual_fmac_f32 v1, v74, v12 :: v_dual_fmac_f32 v2, v73, v14
	v_fma_f32 v4, -v74, v9, v4
	v_fmac_f32_e32 v5, v73, v9
	v_fma_f32 v6, -v74, v11, v6
	v_fmac_f32_e32 v7, v73, v11
	;; [unrolled: 2-line block ×4, first 2 shown]
	s_clause 0x1
	global_store_b128 v[16:17], v[4:7], off
	global_store_b128 v[16:17], v[0:3], off offset:16
	s_nop 0
	s_sendmsg sendmsg(MSG_DEALLOC_VGPRS)
	s_endpgm
	.section	.rodata,"a",@progbits
	.p2align	6, 0x0
	.amdhsa_kernel _ZN9rocsparseL18bsrxmvn_4x4_kernelILj128ELj8E21rocsparse_complex_numIfEliS2_S2_S2_EEvT3_20rocsparse_direction_NS_24const_host_device_scalarIT1_EES3_PKS3_PKT2_SC_S9_PKT4_PKT5_S7_PT6_21rocsparse_index_base_b
		.amdhsa_group_segment_fixed_size 0
		.amdhsa_private_segment_fixed_size 0
		.amdhsa_kernarg_size 96
		.amdhsa_user_sgpr_count 15
		.amdhsa_user_sgpr_dispatch_ptr 0
		.amdhsa_user_sgpr_queue_ptr 0
		.amdhsa_user_sgpr_kernarg_segment_ptr 1
		.amdhsa_user_sgpr_dispatch_id 0
		.amdhsa_user_sgpr_private_segment_size 0
		.amdhsa_wavefront_size32 1
		.amdhsa_uses_dynamic_stack 0
		.amdhsa_enable_private_segment 0
		.amdhsa_system_sgpr_workgroup_id_x 1
		.amdhsa_system_sgpr_workgroup_id_y 0
		.amdhsa_system_sgpr_workgroup_id_z 0
		.amdhsa_system_sgpr_workgroup_info 0
		.amdhsa_system_vgpr_workitem_id 0
		.amdhsa_next_free_vgpr 182
		.amdhsa_next_free_sgpr 16
		.amdhsa_reserve_vcc 1
		.amdhsa_float_round_mode_32 0
		.amdhsa_float_round_mode_16_64 0
		.amdhsa_float_denorm_mode_32 3
		.amdhsa_float_denorm_mode_16_64 3
		.amdhsa_dx10_clamp 1
		.amdhsa_ieee_mode 1
		.amdhsa_fp16_overflow 0
		.amdhsa_workgroup_processor_mode 1
		.amdhsa_memory_ordered 1
		.amdhsa_forward_progress 0
		.amdhsa_shared_vgpr_count 0
		.amdhsa_exception_fp_ieee_invalid_op 0
		.amdhsa_exception_fp_denorm_src 0
		.amdhsa_exception_fp_ieee_div_zero 0
		.amdhsa_exception_fp_ieee_overflow 0
		.amdhsa_exception_fp_ieee_underflow 0
		.amdhsa_exception_fp_ieee_inexact 0
		.amdhsa_exception_int_div_zero 0
	.end_amdhsa_kernel
	.section	.text._ZN9rocsparseL18bsrxmvn_4x4_kernelILj128ELj8E21rocsparse_complex_numIfEliS2_S2_S2_EEvT3_20rocsparse_direction_NS_24const_host_device_scalarIT1_EES3_PKS3_PKT2_SC_S9_PKT4_PKT5_S7_PT6_21rocsparse_index_base_b,"axG",@progbits,_ZN9rocsparseL18bsrxmvn_4x4_kernelILj128ELj8E21rocsparse_complex_numIfEliS2_S2_S2_EEvT3_20rocsparse_direction_NS_24const_host_device_scalarIT1_EES3_PKS3_PKT2_SC_S9_PKT4_PKT5_S7_PT6_21rocsparse_index_base_b,comdat
.Lfunc_end31:
	.size	_ZN9rocsparseL18bsrxmvn_4x4_kernelILj128ELj8E21rocsparse_complex_numIfEliS2_S2_S2_EEvT3_20rocsparse_direction_NS_24const_host_device_scalarIT1_EES3_PKS3_PKT2_SC_S9_PKT4_PKT5_S7_PT6_21rocsparse_index_base_b, .Lfunc_end31-_ZN9rocsparseL18bsrxmvn_4x4_kernelILj128ELj8E21rocsparse_complex_numIfEliS2_S2_S2_EEvT3_20rocsparse_direction_NS_24const_host_device_scalarIT1_EES3_PKS3_PKT2_SC_S9_PKT4_PKT5_S7_PT6_21rocsparse_index_base_b
                                        ; -- End function
	.section	.AMDGPU.csdata,"",@progbits
; Kernel info:
; codeLenInByte = 7500
; NumSgprs: 18
; NumVgprs: 182
; ScratchSize: 0
; MemoryBound: 0
; FloatMode: 240
; IeeeMode: 1
; LDSByteSize: 0 bytes/workgroup (compile time only)
; SGPRBlocks: 2
; VGPRBlocks: 22
; NumSGPRsForWavesPerEU: 18
; NumVGPRsForWavesPerEU: 182
; Occupancy: 8
; WaveLimiterHint : 1
; COMPUTE_PGM_RSRC2:SCRATCH_EN: 0
; COMPUTE_PGM_RSRC2:USER_SGPR: 15
; COMPUTE_PGM_RSRC2:TRAP_HANDLER: 0
; COMPUTE_PGM_RSRC2:TGID_X_EN: 1
; COMPUTE_PGM_RSRC2:TGID_Y_EN: 0
; COMPUTE_PGM_RSRC2:TGID_Z_EN: 0
; COMPUTE_PGM_RSRC2:TIDIG_COMP_CNT: 0
	.section	.text._ZN9rocsparseL18bsrxmvn_4x4_kernelILj128ELj16E21rocsparse_complex_numIfEliS2_S2_S2_EEvT3_20rocsparse_direction_NS_24const_host_device_scalarIT1_EES3_PKS3_PKT2_SC_S9_PKT4_PKT5_S7_PT6_21rocsparse_index_base_b,"axG",@progbits,_ZN9rocsparseL18bsrxmvn_4x4_kernelILj128ELj16E21rocsparse_complex_numIfEliS2_S2_S2_EEvT3_20rocsparse_direction_NS_24const_host_device_scalarIT1_EES3_PKS3_PKT2_SC_S9_PKT4_PKT5_S7_PT6_21rocsparse_index_base_b,comdat
	.globl	_ZN9rocsparseL18bsrxmvn_4x4_kernelILj128ELj16E21rocsparse_complex_numIfEliS2_S2_S2_EEvT3_20rocsparse_direction_NS_24const_host_device_scalarIT1_EES3_PKS3_PKT2_SC_S9_PKT4_PKT5_S7_PT6_21rocsparse_index_base_b ; -- Begin function _ZN9rocsparseL18bsrxmvn_4x4_kernelILj128ELj16E21rocsparse_complex_numIfEliS2_S2_S2_EEvT3_20rocsparse_direction_NS_24const_host_device_scalarIT1_EES3_PKS3_PKT2_SC_S9_PKT4_PKT5_S7_PT6_21rocsparse_index_base_b
	.p2align	8
	.type	_ZN9rocsparseL18bsrxmvn_4x4_kernelILj128ELj16E21rocsparse_complex_numIfEliS2_S2_S2_EEvT3_20rocsparse_direction_NS_24const_host_device_scalarIT1_EES3_PKS3_PKT2_SC_S9_PKT4_PKT5_S7_PT6_21rocsparse_index_base_b,@function
_ZN9rocsparseL18bsrxmvn_4x4_kernelILj128ELj16E21rocsparse_complex_numIfEliS2_S2_S2_EEvT3_20rocsparse_direction_NS_24const_host_device_scalarIT1_EES3_PKS3_PKT2_SC_S9_PKT4_PKT5_S7_PT6_21rocsparse_index_base_b: ; @_ZN9rocsparseL18bsrxmvn_4x4_kernelILj128ELj16E21rocsparse_complex_numIfEliS2_S2_S2_EEvT3_20rocsparse_direction_NS_24const_host_device_scalarIT1_EES3_PKS3_PKT2_SC_S9_PKT4_PKT5_S7_PT6_21rocsparse_index_base_b
; %bb.0:
	s_clause 0x2
	s_load_b64 s[12:13], s[0:1], 0x58
	s_load_b64 s[4:5], s[0:1], 0x8
	;; [unrolled: 1-line block ×3, first 2 shown]
	s_waitcnt lgkmcnt(0)
	s_bitcmp1_b32 s13, 0
	v_mov_b32_e32 v97, s4
	s_cselect_b32 s6, -1, 0
	s_delay_alu instid0(SALU_CYCLE_1)
	s_and_b32 vcc_lo, exec_lo, s6
	s_xor_b32 s6, s6, -1
	s_cbranch_vccz .LBB32_14
; %bb.1:
	v_cndmask_b32_e64 v1, 0, 1, s6
	v_mov_b32_e32 v98, s5
	s_and_not1_b32 vcc_lo, exec_lo, s6
	s_cbranch_vccz .LBB32_15
.LBB32_2:
	s_delay_alu instid0(VALU_DEP_2)
	v_cmp_ne_u32_e32 vcc_lo, 1, v1
	v_mov_b32_e32 v95, s2
	s_cbranch_vccz .LBB32_16
.LBB32_3:
	v_cmp_ne_u32_e32 vcc_lo, 1, v1
	v_mov_b32_e32 v96, s3
	s_cbranch_vccnz .LBB32_5
.LBB32_4:
	v_dual_mov_b32 v1, s2 :: v_dual_mov_b32 v2, s3
	flat_load_b32 v96, v[1:2] offset:4
.LBB32_5:
	s_waitcnt vmcnt(0) lgkmcnt(0)
	v_cmp_eq_f32_e32 vcc_lo, 0, v97
	v_cmp_eq_f32_e64 s2, 0, v98
	s_delay_alu instid0(VALU_DEP_1)
	s_and_b32 s4, vcc_lo, s2
	s_mov_b32 s2, -1
	s_and_saveexec_b32 s3, s4
; %bb.6:
	v_cmp_neq_f32_e32 vcc_lo, 1.0, v95
	v_cmp_neq_f32_e64 s2, 0, v96
	s_delay_alu instid0(VALU_DEP_1) | instskip(NEXT) | instid1(SALU_CYCLE_1)
	s_or_b32 s2, vcc_lo, s2
	s_or_not1_b32 s2, s2, exec_lo
; %bb.7:
	s_or_b32 exec_lo, exec_lo, s3
	s_and_saveexec_b32 s3, s2
	s_cbranch_execz .LBB32_13
; %bb.8:
	s_clause 0x1
	s_load_b64 s[4:5], s[0:1], 0x18
	s_load_b64 s[2:3], s[0:1], 0x0
	v_lshrrev_b32_e32 v1, 4, v0
	s_delay_alu instid0(VALU_DEP_1)
	v_lshl_or_b32 v80, s15, 3, v1
	s_waitcnt lgkmcnt(0)
	s_cmp_lg_u64 s[4:5], 0
	s_cbranch_scc0 .LBB32_17
; %bb.9:
	s_load_b32 s6, s[0:1], 0x10
	s_mov_b32 s7, 0
                                        ; implicit-def: $vgpr1
	s_waitcnt lgkmcnt(0)
	v_cmp_gt_i32_e32 vcc_lo, s6, v80
	s_mov_b32 s6, 0
	s_and_saveexec_b32 s8, vcc_lo
	s_delay_alu instid0(SALU_CYCLE_1)
	s_xor_b32 s8, exec_lo, s8
	s_cbranch_execz .LBB32_11
; %bb.10:
	v_ashrrev_i32_e32 v81, 31, v80
	s_mov_b32 s6, exec_lo
	s_delay_alu instid0(VALU_DEP_1) | instskip(NEXT) | instid1(VALU_DEP_1)
	v_lshlrev_b64 v[1:2], 2, v[80:81]
	v_add_co_u32 v1, vcc_lo, s4, v1
	s_delay_alu instid0(VALU_DEP_2)
	v_add_co_ci_u32_e32 v2, vcc_lo, s5, v2, vcc_lo
	global_load_b32 v1, v[1:2], off
	s_waitcnt vmcnt(0)
	v_subrev_nc_u32_e32 v1, s12, v1
.LBB32_11:
	s_or_b32 exec_lo, exec_lo, s8
	s_delay_alu instid0(SALU_CYCLE_1)
	s_and_b32 vcc_lo, exec_lo, s7
	s_cbranch_vccz .LBB32_18
.LBB32_12:
	v_cmp_gt_i32_e32 vcc_lo, s2, v80
	s_and_not1_b32 s2, s6, exec_lo
	s_and_b32 s4, vcc_lo, exec_lo
	s_delay_alu instid0(SALU_CYCLE_1) | instskip(NEXT) | instid1(SALU_CYCLE_1)
	s_or_b32 s6, s2, s4
	s_and_b32 exec_lo, exec_lo, s6
	s_cbranch_execnz .LBB32_19
.LBB32_13:
	s_nop 0
	s_sendmsg sendmsg(MSG_DEALLOC_VGPRS)
	s_endpgm
.LBB32_14:
	v_dual_mov_b32 v1, s4 :: v_dual_mov_b32 v2, s5
	flat_load_b32 v97, v[1:2]
	v_cndmask_b32_e64 v1, 0, 1, s6
	v_mov_b32_e32 v98, s5
	s_and_not1_b32 vcc_lo, exec_lo, s6
	s_cbranch_vccnz .LBB32_2
.LBB32_15:
	v_dual_mov_b32 v2, s4 :: v_dual_mov_b32 v3, s5
	flat_load_b32 v98, v[2:3] offset:4
	v_cmp_ne_u32_e32 vcc_lo, 1, v1
	v_mov_b32_e32 v95, s2
	s_cbranch_vccnz .LBB32_3
.LBB32_16:
	v_dual_mov_b32 v2, s2 :: v_dual_mov_b32 v3, s3
	flat_load_b32 v95, v[2:3]
	v_cmp_ne_u32_e32 vcc_lo, 1, v1
	v_mov_b32_e32 v96, s3
	s_cbranch_vccz .LBB32_4
	s_branch .LBB32_5
.LBB32_17:
	s_mov_b32 s6, 0
                                        ; implicit-def: $vgpr1
	s_cbranch_execnz .LBB32_12
.LBB32_18:
	s_delay_alu instid0(VALU_DEP_1)
	v_mov_b32_e32 v80, v1
	s_and_b32 exec_lo, exec_lo, s6
	s_cbranch_execz .LBB32_13
.LBB32_19:
	s_load_b256 s[4:11], s[0:1], 0x20
	s_delay_alu instid0(VALU_DEP_1) | instskip(SKIP_1) | instid1(VALU_DEP_2)
	v_ashrrev_i32_e32 v81, 31, v80
	v_dual_mov_b32 v100, 0 :: v_dual_and_b32 v99, 15, v0
	v_lshlrev_b64 v[1:2], 3, v[80:81]
	s_waitcnt lgkmcnt(0)
	s_delay_alu instid0(VALU_DEP_1) | instskip(NEXT) | instid1(VALU_DEP_2)
	v_add_co_u32 v3, vcc_lo, s4, v1
	v_add_co_ci_u32_e32 v4, vcc_lo, s5, v2, vcc_lo
	v_add_co_u32 v1, vcc_lo, s6, v1
	v_add_co_ci_u32_e32 v2, vcc_lo, s7, v2, vcc_lo
	s_delay_alu instid0(VALU_DEP_4)
	v_add_co_u32 v5, vcc_lo, v3, 8
	global_load_b64 v[87:88], v[3:4], off
	v_add_co_ci_u32_e32 v6, vcc_lo, 0, v4, vcc_lo
	s_cmp_eq_u64 s[6:7], 0
	s_load_b64 s[4:5], s[0:1], 0x40
	s_cselect_b32 vcc_lo, -1, 0
	s_cmp_eq_u32 s3, 1
	v_dual_cndmask_b32 v2, v2, v6 :: v_dual_cndmask_b32 v1, v1, v5
	s_mov_b32 s3, 0
	global_load_b64 v[1:2], v[1:2], off
	s_waitcnt vmcnt(1)
	v_sub_co_u32 v0, vcc_lo, v87, s12
	v_subrev_co_ci_u32_e32 v3, vcc_lo, 0, v88, vcc_lo
	s_delay_alu instid0(VALU_DEP_2) | instskip(NEXT) | instid1(VALU_DEP_2)
	v_add_co_u32 v81, vcc_lo, v0, v99
	v_add_co_ci_u32_e32 v82, vcc_lo, 0, v3, vcc_lo
	s_waitcnt vmcnt(0)
	v_sub_co_u32 v83, vcc_lo, v1, s12
	s_delay_alu instid0(VALU_DEP_2) | instskip(SKIP_1) | instid1(VALU_DEP_2)
	v_lshlrev_b64 v[0:1], 7, v[81:82]
	v_subrev_co_ci_u32_e32 v84, vcc_lo, 0, v2, vcc_lo
	v_add_co_u32 v85, vcc_lo, s10, v0
	s_delay_alu instid0(VALU_DEP_2) | instskip(NEXT) | instid1(VALU_DEP_4)
	v_cmp_lt_i64_e64 s2, v[81:82], v[83:84]
	v_add_co_ci_u32_e32 v86, vcc_lo, s11, v1, vcc_lo
	s_cbranch_scc1 .LBB32_31
; %bb.20:
	v_dual_mov_b32 v106, 0 :: v_dual_mov_b32 v105, 0
	v_dual_mov_b32 v104, 0 :: v_dual_mov_b32 v103, 0
	;; [unrolled: 1-line block ×3, first 2 shown]
	v_mov_b32_e32 v101, 0
	s_and_saveexec_b32 s6, s2
	s_cbranch_execz .LBB32_30
; %bb.21:
	v_or_b32_e32 v0, 16, v99
	v_not_b32_e32 v3, v87
	v_not_b32_e32 v2, v88
	v_mov_b32_e32 v90, v86
	v_mov_b32_e32 v92, v82
	v_sub_co_u32 v0, s7, v0, s12
	s_delay_alu instid0(VALU_DEP_1) | instskip(SKIP_1) | instid1(VALU_DEP_3)
	v_sub_co_ci_u32_e64 v1, null, 0, 0, s7
	v_sub_co_u32 v4, s7, s12, v99
	v_add_co_u32 v0, vcc_lo, v0, v87
	s_delay_alu instid0(VALU_DEP_3) | instskip(SKIP_2) | instid1(VALU_DEP_3)
	v_add_co_ci_u32_e32 v1, vcc_lo, v1, v88, vcc_lo
	v_sub_co_ci_u32_e64 v5, null, 0, 0, s7
	v_dual_mov_b32 v107, 0 :: v_dual_mov_b32 v102, 0
	v_cmp_gt_i64_e32 vcc_lo, v[0:1], v[83:84]
	v_dual_mov_b32 v105, 0 :: v_dual_mov_b32 v104, 0
	v_dual_mov_b32 v106, 0 :: v_dual_mov_b32 v89, v85
	;; [unrolled: 1-line block ×3, first 2 shown]
	v_dual_cndmask_b32 v1, v84, v1 :: v_dual_cndmask_b32 v0, v83, v0
	v_add_co_u32 v3, vcc_lo, v4, v3
	v_add_co_ci_u32_e32 v2, vcc_lo, v5, v2, vcc_lo
	s_mov_b32 s7, exec_lo
	s_delay_alu instid0(VALU_DEP_2) | instskip(NEXT) | instid1(VALU_DEP_2)
	v_add_co_u32 v0, vcc_lo, v3, v0
	v_add_co_ci_u32_e32 v1, vcc_lo, v2, v1, vcc_lo
	s_delay_alu instid0(VALU_DEP_2) | instskip(NEXT) | instid1(VALU_DEP_1)
	v_lshrrev_b32_e32 v2, 4, v0
	v_dual_mov_b32 v101, 0 :: v_dual_add_nc_u32 v2, 1, v2
	s_delay_alu instid0(VALU_DEP_1) | instskip(NEXT) | instid1(VALU_DEP_1)
	v_dual_mov_b32 v103, 0 :: v_dual_and_b32 v2, 3, v2
	v_cmpx_ne_u32_e32 0, v2
	s_cbranch_execz .LBB32_25
; %bb.22:
	v_lshlrev_b64 v[4:5], 2, v[81:82]
	v_dual_mov_b32 v3, 0 :: v_dual_lshlrev_b32 v2, 2, v2
	v_dual_mov_b32 v92, v82 :: v_dual_mov_b32 v91, v81
	v_dual_mov_b32 v90, v86 :: v_dual_mov_b32 v89, v85
	s_delay_alu instid0(VALU_DEP_4)
	v_add_co_u32 v4, vcc_lo, s8, v4
	v_add_co_ci_u32_e32 v5, vcc_lo, s9, v5, vcc_lo
	v_mov_b32_e32 v100, v3
	v_mov_b32_e32 v106, v3
	;; [unrolled: 1-line block ×8, first 2 shown]
	s_mov_b32 s10, 0
.LBB32_23:                              ; =>This Inner Loop Header: Depth=1
	global_load_b32 v38, v[4:5], off
	s_clause 0x7
	global_load_b128 v[6:9], v[89:90], off offset:48
	global_load_b128 v[10:13], v[89:90], off offset:32
	;; [unrolled: 1-line block ×3, first 2 shown]
	global_load_b128 v[18:21], v[89:90], off
	global_load_b128 v[22:25], v[89:90], off offset:112
	global_load_b128 v[26:29], v[89:90], off offset:96
	;; [unrolled: 1-line block ×4, first 2 shown]
	s_waitcnt vmcnt(8)
	v_subrev_nc_u32_e32 v38, s12, v38
	s_delay_alu instid0(VALU_DEP_1) | instskip(NEXT) | instid1(VALU_DEP_1)
	v_lshlrev_b32_e32 v38, 2, v38
	v_ashrrev_i32_e32 v39, 31, v38
	s_delay_alu instid0(VALU_DEP_1) | instskip(SKIP_1) | instid1(VALU_DEP_1)
	v_lshlrev_b64 v[38:39], 3, v[38:39]
	s_waitcnt lgkmcnt(0)
	v_add_co_u32 v42, vcc_lo, s4, v38
	s_delay_alu instid0(VALU_DEP_2)
	v_add_co_ci_u32_e32 v43, vcc_lo, s5, v39, vcc_lo
	v_add_co_u32 v89, vcc_lo, 0x800, v89
	v_add_co_ci_u32_e32 v90, vcc_lo, 0, v90, vcc_lo
	s_clause 0x1
	global_load_b128 v[38:41], v[42:43], off
	global_load_b128 v[42:45], v[42:43], off offset:16
	v_add_co_u32 v91, vcc_lo, v91, 16
	v_add_co_ci_u32_e32 v92, vcc_lo, 0, v92, vcc_lo
	v_add_co_u32 v2, vcc_lo, v2, -4
	v_add_co_ci_u32_e32 v3, vcc_lo, -1, v3, vcc_lo
	v_add_co_u32 v4, vcc_lo, v4, 64
	v_add_co_ci_u32_e32 v5, vcc_lo, 0, v5, vcc_lo
	s_delay_alu instid0(VALU_DEP_3)
	v_cmp_eq_u64_e32 vcc_lo, 0, v[2:3]
	s_or_b32 s10, vcc_lo, s10
	s_waitcnt vmcnt(1)
	v_fmac_f32_e32 v102, v27, v38
	v_fmac_f32_e32 v103, v35, v38
	;; [unrolled: 1-line block ×4, first 2 shown]
	s_delay_alu instid0(VALU_DEP_4) | instskip(NEXT) | instid1(VALU_DEP_4)
	v_fmac_f32_e32 v102, v26, v39
	v_dual_fmac_f32 v100, v19, v38 :: v_dual_fmac_f32 v103, v34, v39
	v_fmac_f32_e32 v101, v11, v38
	v_fma_f32 v19, -v19, v39, v106
	s_delay_alu instid0(VALU_DEP_3) | instskip(SKIP_1) | instid1(VALU_DEP_4)
	v_fmac_f32_e32 v100, v18, v39
	v_fmac_f32_e32 v107, v10, v38
	;; [unrolled: 1-line block ×3, first 2 shown]
	v_fma_f32 v10, -v35, v39, v105
	v_fmac_f32_e32 v19, v20, v40
	v_fmac_f32_e32 v100, v21, v40
	v_fma_f32 v11, -v11, v39, v107
	v_dual_fmac_f32 v104, v26, v38 :: v_dual_fmac_f32 v101, v13, v40
	v_fmac_f32_e32 v10, v36, v40
	s_delay_alu instid0(VALU_DEP_4) | instskip(NEXT) | instid1(VALU_DEP_4)
	v_dual_fmac_f32 v103, v37, v40 :: v_dual_fmac_f32 v100, v20, v41
	v_fmac_f32_e32 v11, v12, v40
	s_delay_alu instid0(VALU_DEP_4) | instskip(SKIP_2) | instid1(VALU_DEP_4)
	v_fma_f32 v18, -v27, v39, v104
	v_dual_fmac_f32 v102, v29, v40 :: v_dual_fmac_f32 v101, v12, v41
	v_fma_f32 v19, -v21, v41, v19
	v_fma_f32 v11, -v13, v41, v11
	s_delay_alu instid0(VALU_DEP_4)
	v_fmac_f32_e32 v18, v28, v40
	v_fma_f32 v10, -v37, v41, v10
	s_waitcnt vmcnt(0)
	v_dual_fmac_f32 v103, v36, v41 :: v_dual_fmac_f32 v100, v15, v42
	v_dual_fmac_f32 v102, v28, v41 :: v_dual_fmac_f32 v11, v6, v42
	v_fmac_f32_e32 v19, v14, v42
	v_fma_f32 v12, -v29, v41, v18
	s_delay_alu instid0(VALU_DEP_4) | instskip(NEXT) | instid1(VALU_DEP_4)
	v_dual_fmac_f32 v101, v7, v42 :: v_dual_fmac_f32 v100, v14, v43
	v_fmac_f32_e32 v102, v23, v42
	s_delay_alu instid0(VALU_DEP_4)
	v_fma_f32 v13, -v15, v43, v19
	v_fmac_f32_e32 v10, v30, v42
	v_fma_f32 v7, -v7, v43, v11
	v_fmac_f32_e32 v12, v22, v42
	v_fmac_f32_e32 v101, v6, v43
	v_dual_fmac_f32 v103, v31, v42 :: v_dual_fmac_f32 v102, v22, v43
	v_fmac_f32_e32 v13, v16, v44
	v_fma_f32 v6, -v31, v43, v10
	s_delay_alu instid0(VALU_DEP_3) | instskip(SKIP_2) | instid1(VALU_DEP_3)
	v_dual_fmac_f32 v100, v17, v44 :: v_dual_fmac_f32 v103, v30, v43
	v_fmac_f32_e32 v7, v8, v44
	v_fma_f32 v10, -v23, v43, v12
	v_dual_fmac_f32 v101, v9, v44 :: v_dual_fmac_f32 v100, v16, v45
	v_fmac_f32_e32 v6, v32, v44
	v_fmac_f32_e32 v102, v25, v44
	s_delay_alu instid0(VALU_DEP_4) | instskip(NEXT) | instid1(VALU_DEP_4)
	v_fmac_f32_e32 v10, v24, v44
	v_fmac_f32_e32 v101, v8, v45
	;; [unrolled: 1-line block ×3, first 2 shown]
	v_fma_f32 v106, -v17, v45, v13
	v_fmac_f32_e32 v102, v24, v45
	v_fma_f32 v107, -v9, v45, v7
	v_fma_f32 v105, -v33, v45, v6
	v_fmac_f32_e32 v103, v32, v45
	v_fma_f32 v104, -v25, v45, v10
	s_and_not1_b32 exec_lo, exec_lo, s10
	s_cbranch_execnz .LBB32_23
; %bb.24:
	s_or_b32 exec_lo, exec_lo, s10
.LBB32_25:
	s_delay_alu instid0(SALU_CYCLE_1) | instskip(NEXT) | instid1(SALU_CYCLE_1)
	s_or_b32 exec_lo, exec_lo, s7
	s_mov_b32 s7, exec_lo
	v_cmpx_lt_u64_e32 47, v[0:1]
	s_cbranch_execz .LBB32_29
; %bb.26:
	v_lshlrev_b64 v[0:1], 2, v[91:92]
	s_mov_b32 s10, 0
	s_delay_alu instid0(VALU_DEP_1) | instskip(NEXT) | instid1(VALU_DEP_2)
	v_add_co_u32 v0, vcc_lo, v0, s8
	v_add_co_ci_u32_e32 v1, vcc_lo, s9, v1, vcc_lo
	s_delay_alu instid0(VALU_DEP_2) | instskip(NEXT) | instid1(VALU_DEP_2)
	v_add_co_u32 v93, vcc_lo, 0x80, v0
	v_add_co_ci_u32_e32 v94, vcc_lo, 0, v1, vcc_lo
.LBB32_27:                              ; =>This Inner Loop Header: Depth=1
	s_clause 0x3
	global_load_b32 v108, v[93:94], off offset:-128
	global_load_b32 v153, v[93:94], off offset:-64
	global_load_b32 v154, v[93:94], off
	global_load_b32 v155, v[93:94], off offset:64
	s_clause 0xb
	global_load_b128 v[109:112], v[89:90], off offset:48
	global_load_b128 v[113:116], v[89:90], off offset:32
	;; [unrolled: 1-line block ×3, first 2 shown]
	global_load_b128 v[121:124], v[89:90], off
	global_load_b128 v[125:128], v[89:90], off offset:112
	global_load_b128 v[129:132], v[89:90], off offset:96
	global_load_b128 v[133:136], v[89:90], off offset:80
	global_load_b128 v[137:140], v[89:90], off offset:64
	global_load_b128 v[36:39], v[89:90], off offset:2096
	global_load_b128 v[64:67], v[89:90], off offset:2080
	global_load_b128 v[48:51], v[89:90], off offset:2064
	global_load_b128 v[72:75], v[89:90], off offset:2048
	v_add_co_u32 v173, vcc_lo, 0x1000, v89
	v_add_co_ci_u32_e32 v174, vcc_lo, 0, v90, vcc_lo
	s_clause 0x12
	global_load_b128 v[44:47], v[89:90], off offset:2160
	global_load_b128 v[68:71], v[89:90], off offset:2144
	;; [unrolled: 1-line block ×6, first 2 shown]
	global_load_b128 v[28:31], v[173:174], off
	global_load_b128 v[8:11], v[173:174], off offset:16
	global_load_b128 v[16:19], v[173:174], off offset:112
	;; [unrolled: 1-line block ×12, first 2 shown]
	s_waitcnt vmcnt(34)
	v_subrev_nc_u32_e32 v108, s12, v108
	s_waitcnt vmcnt(33)
	v_subrev_nc_u32_e32 v156, s12, v153
	;; [unrolled: 2-line block ×4, first 2 shown]
	v_lshlrev_b32_e32 v153, 2, v108
	v_lshlrev_b32_e32 v155, 2, v156
	;; [unrolled: 1-line block ×3, first 2 shown]
	s_delay_alu instid0(VALU_DEP_4) | instskip(NEXT) | instid1(VALU_DEP_4)
	v_lshlrev_b32_e32 v159, 2, v158
	v_ashrrev_i32_e32 v154, 31, v153
	s_delay_alu instid0(VALU_DEP_4) | instskip(NEXT) | instid1(VALU_DEP_4)
	v_ashrrev_i32_e32 v156, 31, v155
	v_ashrrev_i32_e32 v158, 31, v157
	s_delay_alu instid0(VALU_DEP_4) | instskip(NEXT) | instid1(VALU_DEP_4)
	v_ashrrev_i32_e32 v160, 31, v159
	v_lshlrev_b64 v[153:154], 3, v[153:154]
	s_delay_alu instid0(VALU_DEP_4) | instskip(NEXT) | instid1(VALU_DEP_4)
	v_lshlrev_b64 v[155:156], 3, v[155:156]
	v_lshlrev_b64 v[157:158], 3, v[157:158]
	s_delay_alu instid0(VALU_DEP_4) | instskip(SKIP_1) | instid1(VALU_DEP_4)
	v_lshlrev_b64 v[159:160], 3, v[159:160]
	s_waitcnt lgkmcnt(0)
	v_add_co_u32 v161, vcc_lo, s4, v153
	v_add_co_ci_u32_e32 v162, vcc_lo, s5, v154, vcc_lo
	v_add_co_u32 v165, vcc_lo, s4, v155
	v_add_co_ci_u32_e32 v166, vcc_lo, s5, v156, vcc_lo
	;; [unrolled: 2-line block ×4, first 2 shown]
	s_clause 0x3
	global_load_b128 v[153:156], v[161:162], off
	global_load_b128 v[157:160], v[161:162], off offset:16
	global_load_b128 v[161:164], v[165:166], off
	global_load_b128 v[165:168], v[165:166], off offset:16
	v_add_co_u32 v91, vcc_lo, v91, 64
	v_add_co_ci_u32_e32 v92, vcc_lo, 0, v92, vcc_lo
	v_add_co_u32 v93, vcc_lo, 0x100, v93
	v_add_co_ci_u32_e32 v94, vcc_lo, 0, v94, vcc_lo
	;; [unrolled: 2-line block ×3, first 2 shown]
	v_cmp_ge_i64_e32 vcc_lo, v[91:92], v[83:84]
	s_or_b32 s10, vcc_lo, s10
	s_waitcnt vmcnt(3)
	v_fmac_f32_e32 v106, v121, v153
	v_fmac_f32_e32 v100, v122, v153
	;; [unrolled: 1-line block ×5, first 2 shown]
	v_fma_f32 v106, -v122, v154, v106
	v_fmac_f32_e32 v100, v121, v154
	v_fmac_f32_e32 v102, v130, v153
	;; [unrolled: 1-line block ×3, first 2 shown]
	v_fma_f32 v104, -v130, v154, v104
	v_fmac_f32_e32 v106, v123, v155
	v_dual_fmac_f32 v100, v124, v155 :: v_dual_fmac_f32 v105, v137, v153
	v_fmac_f32_e32 v102, v129, v154
	s_delay_alu instid0(VALU_DEP_4) | instskip(NEXT) | instid1(VALU_DEP_4)
	v_fmac_f32_e32 v104, v131, v155
	v_fma_f32 v177, -v124, v156, v106
	s_delay_alu instid0(VALU_DEP_4)
	v_fmac_f32_e32 v100, v123, v156
	s_clause 0x1
	global_load_b128 v[121:124], v[169:170], off
	global_load_b128 v[169:172], v[169:170], off offset:16
	v_fma_f32 v106, -v114, v154, v107
	v_fmac_f32_e32 v101, v113, v154
	v_fma_f32 v105, -v138, v154, v105
	v_dual_fmac_f32 v103, v137, v154 :: v_dual_fmac_f32 v102, v132, v155
	s_delay_alu instid0(VALU_DEP_4) | instskip(NEXT) | instid1(VALU_DEP_4)
	v_fmac_f32_e32 v106, v115, v155
	v_fmac_f32_e32 v101, v116, v155
	s_waitcnt vmcnt(4)
	v_dual_fmac_f32 v105, v139, v155 :: v_dual_fmac_f32 v100, v118, v157
	v_dual_fmac_f32 v103, v140, v155 :: v_dual_fmac_f32 v102, v131, v156
	v_fma_f32 v178, -v116, v156, v106
	v_fmac_f32_e32 v101, v115, v156
	global_load_b128 v[113:116], v[175:176], off
	v_fma_f32 v179, -v140, v156, v105
	v_dual_fmac_f32 v103, v139, v156 :: v_dual_fmac_f32 v178, v109, v157
	global_load_b128 v[137:140], v[173:174], off offset:2128
	global_load_b128 v[105:108], v[175:176], off offset:16
	v_fmac_f32_e32 v177, v117, v157
	v_dual_fmac_f32 v101, v110, v157 :: v_dual_fmac_f32 v100, v117, v158
	v_fma_f32 v104, -v132, v156, v104
	v_fmac_f32_e32 v179, v133, v157
	s_delay_alu instid0(VALU_DEP_3)
	v_dual_fmac_f32 v102, v126, v157 :: v_dual_fmac_f32 v101, v109, v158
	v_fmac_f32_e32 v103, v134, v157
	v_fma_f32 v118, -v118, v158, v177
	v_fmac_f32_e32 v104, v125, v157
	v_fma_f32 v110, -v110, v158, v178
	v_dual_fmac_f32 v101, v112, v159 :: v_dual_fmac_f32 v102, v125, v158
	s_delay_alu instid0(VALU_DEP_4) | instskip(NEXT) | instid1(VALU_DEP_3)
	v_dual_fmac_f32 v103, v133, v158 :: v_dual_fmac_f32 v118, v119, v159
	v_fmac_f32_e32 v110, v111, v159
	v_fmac_f32_e32 v100, v120, v159
	v_fma_f32 v109, -v134, v158, v179
	v_fma_f32 v104, -v126, v158, v104
	v_fmac_f32_e32 v103, v136, v159
	v_dual_fmac_f32 v102, v128, v159 :: v_dual_fmac_f32 v101, v111, v160
	v_fma_f32 v117, -v120, v160, v118
	v_fmac_f32_e32 v100, v119, v160
	v_fmac_f32_e32 v109, v135, v159
	;; [unrolled: 1-line block ×3, first 2 shown]
	v_fma_f32 v110, -v112, v160, v110
	s_waitcnt vmcnt(6)
	v_fmac_f32_e32 v117, v72, v161
	v_fmac_f32_e32 v103, v135, v160
	v_dual_fmac_f32 v102, v127, v160 :: v_dual_fmac_f32 v101, v65, v161
	v_fmac_f32_e32 v100, v73, v161
	v_fma_f32 v109, -v136, v160, v109
	v_fma_f32 v104, -v128, v160, v104
	v_fmac_f32_e32 v110, v64, v161
	s_delay_alu instid0(VALU_DEP_4) | instskip(NEXT) | instid1(VALU_DEP_4)
	v_dual_fmac_f32 v103, v77, v161 :: v_dual_fmac_f32 v100, v72, v162
	v_fmac_f32_e32 v109, v76, v161
	v_dual_fmac_f32 v102, v69, v161 :: v_dual_fmac_f32 v101, v64, v162
	v_fma_f32 v73, -v73, v162, v117
	v_fmac_f32_e32 v104, v68, v161
	v_fma_f32 v65, -v65, v162, v110
	s_delay_alu instid0(VALU_DEP_4) | instskip(SKIP_4) | instid1(VALU_DEP_4)
	v_fmac_f32_e32 v102, v68, v162
	v_fmac_f32_e32 v100, v75, v163
	v_fma_f32 v64, -v77, v162, v109
	v_fmac_f32_e32 v103, v76, v162
	v_fmac_f32_e32 v73, v74, v163
	v_dual_fmac_f32 v101, v67, v163 :: v_dual_fmac_f32 v100, v74, v164
	v_fma_f32 v69, -v69, v162, v104
	v_fmac_f32_e32 v65, v66, v163
	v_fmac_f32_e32 v64, v78, v163
	s_delay_alu instid0(VALU_DEP_4)
	v_dual_fmac_f32 v102, v71, v163 :: v_dual_fmac_f32 v101, v66, v164
	v_fmac_f32_e32 v103, v79, v163
	v_fma_f32 v68, -v75, v164, v73
	v_fmac_f32_e32 v69, v70, v163
	v_fma_f32 v65, -v67, v164, v65
	v_fma_f32 v64, -v79, v164, v64
	v_fmac_f32_e32 v102, v70, v164
	s_waitcnt vmcnt(5)
	v_dual_fmac_f32 v68, v48, v165 :: v_dual_fmac_f32 v103, v78, v164
	v_fmac_f32_e32 v100, v49, v165
	v_fmac_f32_e32 v101, v37, v165
	v_fma_f32 v66, -v71, v164, v69
	s_delay_alu instid0(VALU_DEP_4)
	v_fma_f32 v49, -v49, v166, v68
	v_fmac_f32_e32 v64, v56, v165
	v_fmac_f32_e32 v100, v48, v166
	;; [unrolled: 1-line block ×3, first 2 shown]
	v_dual_fmac_f32 v102, v45, v165 :: v_dual_fmac_f32 v101, v36, v166
	v_fmac_f32_e32 v103, v57, v165
	v_fmac_f32_e32 v49, v50, v167
	v_fma_f32 v36, -v57, v166, v64
	s_delay_alu instid0(VALU_DEP_4) | instskip(SKIP_4) | instid1(VALU_DEP_4)
	v_fmac_f32_e32 v102, v44, v166
	v_fmac_f32_e32 v100, v51, v167
	v_fma_f32 v37, -v37, v166, v65
	v_fmac_f32_e32 v66, v44, v165
	v_dual_fmac_f32 v103, v56, v166 :: v_dual_fmac_f32 v36, v58, v167
	v_dual_fmac_f32 v101, v39, v167 :: v_dual_fmac_f32 v100, v50, v168
	s_delay_alu instid0(VALU_DEP_4) | instskip(NEXT) | instid1(VALU_DEP_4)
	v_fmac_f32_e32 v37, v38, v167
	v_fma_f32 v45, -v45, v166, v66
	s_delay_alu instid0(VALU_DEP_3) | instskip(SKIP_2) | instid1(VALU_DEP_4)
	v_dual_fmac_f32 v102, v47, v167 :: v_dual_fmac_f32 v101, v38, v168
	v_fmac_f32_e32 v103, v59, v167
	v_fma_f32 v44, -v51, v168, v49
	v_fmac_f32_e32 v45, v46, v167
	v_fma_f32 v37, -v39, v168, v37
	v_fma_f32 v36, -v59, v168, v36
	v_fmac_f32_e32 v102, v46, v168
	s_waitcnt vmcnt(4)
	v_dual_fmac_f32 v103, v58, v168 :: v_dual_fmac_f32 v100, v29, v121
	v_fmac_f32_e32 v44, v28, v121
	v_fmac_f32_e32 v101, v21, v121
	v_fma_f32 v38, -v47, v168, v45
	s_delay_alu instid0(VALU_DEP_4) | instskip(SKIP_1) | instid1(VALU_DEP_4)
	v_fmac_f32_e32 v100, v28, v122
	v_fmac_f32_e32 v37, v20, v121
	v_dual_fmac_f32 v102, v53, v121 :: v_dual_fmac_f32 v101, v20, v122
	v_fmac_f32_e32 v103, v61, v121
	v_fma_f32 v29, -v29, v122, v44
	v_fmac_f32_e32 v36, v60, v121
	s_delay_alu instid0(VALU_DEP_4)
	v_fmac_f32_e32 v102, v52, v122
	v_fmac_f32_e32 v100, v31, v123
	v_fma_f32 v21, -v21, v122, v37
	v_dual_fmac_f32 v29, v30, v123 :: v_dual_fmac_f32 v38, v52, v121
	v_fma_f32 v20, -v61, v122, v36
	v_fmac_f32_e32 v103, v60, v122
	v_dual_fmac_f32 v101, v23, v123 :: v_dual_fmac_f32 v100, v30, v124
	v_fmac_f32_e32 v21, v22, v123
	v_fma_f32 v28, -v53, v122, v38
	v_fmac_f32_e32 v20, v62, v123
	s_delay_alu instid0(VALU_DEP_4)
	v_dual_fmac_f32 v102, v55, v123 :: v_dual_fmac_f32 v101, v22, v124
	v_fmac_f32_e32 v103, v63, v123
	v_fma_f32 v29, -v31, v124, v29
	v_fmac_f32_e32 v28, v54, v123
	v_fma_f32 v21, -v23, v124, v21
	v_fma_f32 v20, -v63, v124, v20
	s_waitcnt vmcnt(3)
	v_dual_fmac_f32 v102, v54, v124 :: v_dual_fmac_f32 v29, v8, v169
	v_dual_fmac_f32 v103, v62, v124 :: v_dual_fmac_f32 v100, v9, v169
	v_fmac_f32_e32 v101, v5, v169
	v_fma_f32 v22, -v55, v124, v28
	s_delay_alu instid0(VALU_DEP_4)
	v_fma_f32 v9, -v9, v170, v29
	v_fmac_f32_e32 v20, v32, v169
	v_fmac_f32_e32 v100, v8, v170
	;; [unrolled: 1-line block ×3, first 2 shown]
	v_dual_fmac_f32 v102, v17, v169 :: v_dual_fmac_f32 v101, v4, v170
	v_fmac_f32_e32 v103, v33, v169
	v_fmac_f32_e32 v9, v10, v171
	v_fma_f32 v4, -v33, v170, v20
	s_delay_alu instid0(VALU_DEP_4) | instskip(SKIP_4) | instid1(VALU_DEP_4)
	v_fmac_f32_e32 v102, v16, v170
	v_fmac_f32_e32 v100, v11, v171
	v_fma_f32 v5, -v5, v170, v21
	v_fmac_f32_e32 v22, v16, v169
	v_dual_fmac_f32 v103, v32, v170 :: v_dual_fmac_f32 v4, v34, v171
	v_dual_fmac_f32 v101, v7, v171 :: v_dual_fmac_f32 v100, v10, v172
	s_delay_alu instid0(VALU_DEP_4) | instskip(NEXT) | instid1(VALU_DEP_4)
	v_fmac_f32_e32 v5, v6, v171
	v_fma_f32 v8, -v17, v170, v22
	s_delay_alu instid0(VALU_DEP_3) | instskip(SKIP_2) | instid1(VALU_DEP_4)
	v_dual_fmac_f32 v102, v19, v171 :: v_dual_fmac_f32 v101, v6, v172
	v_fmac_f32_e32 v103, v35, v171
	v_fma_f32 v9, -v11, v172, v9
	v_fmac_f32_e32 v8, v18, v171
	s_delay_alu instid0(VALU_DEP_4)
	v_fmac_f32_e32 v102, v18, v172
	s_waitcnt vmcnt(2)
	v_dual_fmac_f32 v100, v41, v113 :: v_dual_fmac_f32 v103, v34, v172
	v_fma_f32 v5, -v7, v172, v5
	v_fma_f32 v4, -v35, v172, v4
	v_fmac_f32_e32 v9, v40, v113
	v_fma_f32 v6, -v19, v172, v8
	v_dual_fmac_f32 v101, v25, v113 :: v_dual_fmac_f32 v100, v40, v114
	v_fmac_f32_e32 v103, v150, v113
	v_fmac_f32_e32 v4, v149, v113
	v_fma_f32 v7, -v41, v114, v9
	s_delay_alu instid0(VALU_DEP_4) | instskip(SKIP_4) | instid1(VALU_DEP_3)
	v_dual_fmac_f32 v101, v24, v114 :: v_dual_fmac_f32 v6, v145, v113
	v_fmac_f32_e32 v100, v43, v115
	v_dual_fmac_f32 v102, v146, v113 :: v_dual_fmac_f32 v103, v149, v114
	v_fmac_f32_e32 v5, v24, v113
	v_fma_f32 v4, -v150, v114, v4
	v_dual_fmac_f32 v7, v42, v115 :: v_dual_fmac_f32 v102, v145, v114
	v_fma_f32 v6, -v146, v114, v6
	s_delay_alu instid0(VALU_DEP_4) | instskip(SKIP_4) | instid1(VALU_DEP_4)
	v_fma_f32 v5, -v25, v114, v5
	v_dual_fmac_f32 v101, v27, v115 :: v_dual_fmac_f32 v100, v42, v116
	v_fmac_f32_e32 v103, v152, v115
	v_fmac_f32_e32 v4, v151, v115
	v_fma_f32 v7, -v43, v116, v7
	v_dual_fmac_f32 v101, v26, v116 :: v_dual_fmac_f32 v6, v147, v115
	s_waitcnt vmcnt(0)
	v_fmac_f32_e32 v100, v13, v105
	v_dual_fmac_f32 v102, v148, v115 :: v_dual_fmac_f32 v103, v151, v116
	v_fmac_f32_e32 v5, v26, v115
	v_fma_f32 v4, -v152, v116, v4
	s_delay_alu instid0(VALU_DEP_3) | instskip(SKIP_1) | instid1(VALU_DEP_4)
	v_dual_fmac_f32 v7, v12, v105 :: v_dual_fmac_f32 v102, v147, v116
	v_fma_f32 v6, -v148, v116, v6
	v_fma_f32 v5, -v27, v116, v5
	v_dual_fmac_f32 v101, v1, v105 :: v_dual_fmac_f32 v100, v12, v106
	v_fmac_f32_e32 v103, v138, v105
	v_fmac_f32_e32 v4, v137, v105
	v_fma_f32 v7, -v13, v106, v7
	s_delay_alu instid0(VALU_DEP_4) | instskip(SKIP_4) | instid1(VALU_DEP_3)
	v_dual_fmac_f32 v101, v0, v106 :: v_dual_fmac_f32 v6, v141, v105
	v_fmac_f32_e32 v100, v15, v107
	v_dual_fmac_f32 v102, v142, v105 :: v_dual_fmac_f32 v103, v137, v106
	v_fmac_f32_e32 v5, v0, v105
	v_fma_f32 v0, -v138, v106, v4
	v_dual_fmac_f32 v7, v14, v107 :: v_dual_fmac_f32 v102, v141, v106
	v_fma_f32 v4, -v142, v106, v6
	s_delay_alu instid0(VALU_DEP_4) | instskip(SKIP_4) | instid1(VALU_DEP_4)
	v_fma_f32 v1, -v1, v106, v5
	v_fmac_f32_e32 v103, v140, v107
	v_dual_fmac_f32 v101, v3, v107 :: v_dual_fmac_f32 v100, v14, v108
	v_fmac_f32_e32 v0, v139, v107
	v_fmac_f32_e32 v4, v143, v107
	v_dual_fmac_f32 v102, v144, v107 :: v_dual_fmac_f32 v103, v139, v108
	v_fmac_f32_e32 v1, v2, v107
	v_fma_f32 v106, -v15, v108, v7
	v_fmac_f32_e32 v101, v2, v108
	s_delay_alu instid0(VALU_DEP_4)
	v_fmac_f32_e32 v102, v143, v108
	v_fma_f32 v105, -v140, v108, v0
	v_fma_f32 v107, -v3, v108, v1
	;; [unrolled: 1-line block ×3, first 2 shown]
	s_and_not1_b32 exec_lo, exec_lo, s10
	s_cbranch_execnz .LBB32_27
; %bb.28:
	s_or_b32 exec_lo, exec_lo, s10
.LBB32_29:
	s_delay_alu instid0(SALU_CYCLE_1)
	s_or_b32 exec_lo, exec_lo, s7
.LBB32_30:
	s_delay_alu instid0(SALU_CYCLE_1) | instskip(NEXT) | instid1(SALU_CYCLE_1)
	s_or_b32 exec_lo, exec_lo, s6
	s_and_not1_b32 vcc_lo, exec_lo, s3
	s_cbranch_vccz .LBB32_32
	s_branch .LBB32_43
.LBB32_31:
                                        ; implicit-def: $vgpr100
                                        ; implicit-def: $vgpr106
                                        ; implicit-def: $vgpr104
                                        ; implicit-def: $vgpr102
                                        ; implicit-def: $vgpr105
                                        ; implicit-def: $vgpr103
                                        ; implicit-def: $vgpr107
                                        ; implicit-def: $vgpr101
.LBB32_32:
	v_dual_mov_b32 v100, 0 :: v_dual_mov_b32 v105, 0
	v_dual_mov_b32 v106, 0 :: v_dual_mov_b32 v103, 0
	;; [unrolled: 1-line block ×4, first 2 shown]
	s_and_saveexec_b32 s3, s2
	s_cbranch_execz .LBB32_42
; %bb.33:
	v_or_b32_e32 v0, 16, v99
	v_not_b32_e32 v3, v87
	v_not_b32_e32 v2, v88
	v_dual_mov_b32 v103, 0 :: v_dual_mov_b32 v102, 0
	s_delay_alu instid0(VALU_DEP_4) | instskip(NEXT) | instid1(VALU_DEP_1)
	v_sub_co_u32 v0, s2, v0, s12
	v_sub_co_ci_u32_e64 v1, null, 0, 0, s2
	v_sub_co_u32 v4, s2, s12, v99
	s_delay_alu instid0(VALU_DEP_3) | instskip(NEXT) | instid1(VALU_DEP_3)
	v_add_co_u32 v0, vcc_lo, v0, v87
	v_add_co_ci_u32_e32 v1, vcc_lo, v1, v88, vcc_lo
	v_sub_co_ci_u32_e64 v5, null, 0, 0, s2
	v_dual_mov_b32 v105, 0 :: v_dual_mov_b32 v104, 0
	s_delay_alu instid0(VALU_DEP_3)
	v_cmp_gt_i64_e32 vcc_lo, v[0:1], v[83:84]
	v_mov_b32_e32 v106, 0
	v_mov_b32_e32 v100, 0
	s_mov_b32 s2, exec_lo
	v_mov_b32_e32 v101, 0
	v_dual_cndmask_b32 v1, v84, v1 :: v_dual_cndmask_b32 v0, v83, v0
	v_add_co_u32 v3, vcc_lo, v4, v3
	v_add_co_ci_u32_e32 v2, vcc_lo, v5, v2, vcc_lo
	s_delay_alu instid0(VALU_DEP_2) | instskip(NEXT) | instid1(VALU_DEP_2)
	v_add_co_u32 v0, vcc_lo, v3, v0
	v_add_co_ci_u32_e32 v1, vcc_lo, v2, v1, vcc_lo
	s_delay_alu instid0(VALU_DEP_2) | instskip(NEXT) | instid1(VALU_DEP_1)
	v_lshrrev_b32_e32 v2, 4, v0
	v_dual_mov_b32 v107, 0 :: v_dual_add_nc_u32 v2, 1, v2
	s_delay_alu instid0(VALU_DEP_1) | instskip(NEXT) | instid1(VALU_DEP_1)
	v_and_b32_e32 v2, 3, v2
	v_cmpx_ne_u32_e32 0, v2
	s_cbranch_execz .LBB32_37
; %bb.34:
	v_lshlrev_b64 v[4:5], 2, v[81:82]
	v_dual_mov_b32 v3, 0 :: v_dual_lshlrev_b32 v2, 2, v2
	s_mov_b32 s6, 0
	s_delay_alu instid0(VALU_DEP_1) | instskip(NEXT) | instid1(VALU_DEP_3)
	v_mov_b32_e32 v100, v3
	v_add_co_u32 v4, vcc_lo, s8, v4
	s_delay_alu instid0(VALU_DEP_4)
	v_add_co_ci_u32_e32 v5, vcc_lo, s9, v5, vcc_lo
	v_mov_b32_e32 v106, v3
	v_mov_b32_e32 v104, v3
	;; [unrolled: 1-line block ×7, first 2 shown]
.LBB32_35:                              ; =>This Inner Loop Header: Depth=1
	global_load_b32 v18, v[4:5], off
	s_clause 0x2
	global_load_b128 v[6:9], v[85:86], off offset:32
	global_load_b128 v[10:13], v[85:86], off offset:16
	global_load_b128 v[14:17], v[85:86], off
	s_waitcnt vmcnt(3)
	v_subrev_nc_u32_e32 v18, s12, v18
	s_delay_alu instid0(VALU_DEP_1) | instskip(NEXT) | instid1(VALU_DEP_1)
	v_lshlrev_b32_e32 v18, 2, v18
	v_ashrrev_i32_e32 v19, 31, v18
	s_delay_alu instid0(VALU_DEP_1) | instskip(SKIP_1) | instid1(VALU_DEP_1)
	v_lshlrev_b64 v[18:19], 3, v[18:19]
	s_waitcnt lgkmcnt(0)
	v_add_co_u32 v22, vcc_lo, s4, v18
	s_delay_alu instid0(VALU_DEP_2)
	v_add_co_ci_u32_e32 v23, vcc_lo, s5, v19, vcc_lo
	s_clause 0x1
	global_load_b128 v[18:21], v[22:23], off
	global_load_b128 v[22:25], v[22:23], off offset:16
	s_clause 0x4
	global_load_b128 v[26:29], v[85:86], off offset:48
	global_load_b128 v[30:33], v[85:86], off offset:64
	;; [unrolled: 1-line block ×5, first 2 shown]
	v_add_co_u32 v85, vcc_lo, 0x800, v85
	v_add_co_ci_u32_e32 v86, vcc_lo, 0, v86, vcc_lo
	v_add_co_u32 v81, vcc_lo, v81, 16
	v_add_co_ci_u32_e32 v82, vcc_lo, 0, v82, vcc_lo
	v_add_co_u32 v2, vcc_lo, v2, -4
	v_add_co_ci_u32_e32 v3, vcc_lo, -1, v3, vcc_lo
	v_add_co_u32 v4, vcc_lo, v4, 64
	v_add_co_ci_u32_e32 v5, vcc_lo, 0, v5, vcc_lo
	s_delay_alu instid0(VALU_DEP_3) | instskip(SKIP_3) | instid1(VALU_DEP_1)
	v_cmp_eq_u64_e32 vcc_lo, 0, v[2:3]
	s_or_b32 s6, vcc_lo, s6
	s_waitcnt vmcnt(6)
	v_fmac_f32_e32 v103, v11, v18
	v_dual_fmac_f32 v100, v15, v18 :: v_dual_fmac_f32 v103, v10, v19
	s_delay_alu instid0(VALU_DEP_1) | instskip(NEXT) | instid1(VALU_DEP_1)
	v_dual_fmac_f32 v107, v16, v18 :: v_dual_fmac_f32 v100, v14, v19
	v_dual_fmac_f32 v105, v10, v18 :: v_dual_fmac_f32 v100, v7, v20
	s_delay_alu instid0(VALU_DEP_1) | instskip(SKIP_2) | instid1(VALU_DEP_3)
	v_fma_f32 v11, -v11, v19, v105
	s_waitcnt vmcnt(4)
	v_dual_fmac_f32 v102, v13, v18 :: v_dual_fmac_f32 v103, v27, v20
	v_fmac_f32_e32 v100, v6, v21
	s_delay_alu instid0(VALU_DEP_3) | instskip(NEXT) | instid1(VALU_DEP_3)
	v_fmac_f32_e32 v11, v26, v20
	v_dual_fmac_f32 v101, v17, v18 :: v_dual_fmac_f32 v102, v12, v19
	s_delay_alu instid0(VALU_DEP_4) | instskip(NEXT) | instid1(VALU_DEP_2)
	v_fmac_f32_e32 v103, v26, v21
	v_dual_fmac_f32 v101, v16, v19 :: v_dual_fmac_f32 v106, v14, v18
	v_fma_f32 v14, -v17, v19, v107
	s_delay_alu instid0(VALU_DEP_2) | instskip(NEXT) | instid1(VALU_DEP_3)
	v_fmac_f32_e32 v101, v9, v20
	v_fma_f32 v15, -v15, v19, v106
	v_fmac_f32_e32 v104, v12, v18
	v_fmac_f32_e32 v102, v29, v20
	v_fmac_f32_e32 v14, v8, v20
	v_fmac_f32_e32 v101, v8, v21
	v_fmac_f32_e32 v15, v6, v20
	v_fma_f32 v10, -v13, v19, v104
	v_fma_f32 v8, -v27, v21, v11
	;; [unrolled: 1-line block ×3, first 2 shown]
	s_waitcnt vmcnt(3)
	v_fmac_f32_e32 v101, v33, v22
	v_fma_f32 v7, -v7, v21, v15
	v_fmac_f32_e32 v10, v28, v20
	v_fmac_f32_e32 v102, v28, v21
	s_delay_alu instid0(VALU_DEP_4) | instskip(NEXT) | instid1(VALU_DEP_4)
	v_dual_fmac_f32 v100, v31, v22 :: v_dual_fmac_f32 v101, v32, v23
	v_fmac_f32_e32 v7, v30, v22
	s_delay_alu instid0(VALU_DEP_4)
	v_fma_f32 v9, -v29, v21, v10
	s_waitcnt vmcnt(2)
	v_fmac_f32_e32 v8, v34, v22
	s_waitcnt vmcnt(1)
	v_dual_fmac_f32 v100, v30, v23 :: v_dual_fmac_f32 v101, v41, v24
	v_fma_f32 v7, -v31, v23, v7
	v_fmac_f32_e32 v102, v37, v22
	s_delay_alu instid0(VALU_DEP_3) | instskip(SKIP_1) | instid1(VALU_DEP_4)
	v_dual_fmac_f32 v9, v36, v22 :: v_dual_fmac_f32 v100, v39, v24
	v_fma_f32 v8, -v35, v23, v8
	v_fmac_f32_e32 v7, v38, v24
	s_delay_alu instid0(VALU_DEP_4)
	v_dual_fmac_f32 v103, v35, v22 :: v_dual_fmac_f32 v102, v36, v23
	v_fmac_f32_e32 v6, v32, v22
	v_fma_f32 v9, -v37, v23, v9
	s_waitcnt vmcnt(0)
	v_dual_fmac_f32 v8, v42, v24 :: v_dual_fmac_f32 v101, v40, v25
	v_fmac_f32_e32 v103, v34, v23
	v_fma_f32 v6, -v33, v23, v6
	v_fmac_f32_e32 v9, v44, v24
	v_fmac_f32_e32 v102, v45, v24
	s_delay_alu instid0(VALU_DEP_4) | instskip(NEXT) | instid1(VALU_DEP_4)
	v_dual_fmac_f32 v100, v38, v25 :: v_dual_fmac_f32 v103, v43, v24
	v_fmac_f32_e32 v6, v40, v24
	v_fma_f32 v106, -v39, v25, v7
	v_fma_f32 v105, -v43, v25, v8
	;; [unrolled: 1-line block ×3, first 2 shown]
	v_fmac_f32_e32 v103, v42, v25
	v_fma_f32 v107, -v41, v25, v6
	v_fmac_f32_e32 v102, v44, v25
	s_and_not1_b32 exec_lo, exec_lo, s6
	s_cbranch_execnz .LBB32_35
; %bb.36:
	s_or_b32 exec_lo, exec_lo, s6
.LBB32_37:
	s_delay_alu instid0(SALU_CYCLE_1) | instskip(NEXT) | instid1(SALU_CYCLE_1)
	s_or_b32 exec_lo, exec_lo, s2
	s_mov_b32 s2, exec_lo
	v_cmpx_lt_u64_e32 47, v[0:1]
	s_cbranch_execz .LBB32_41
; %bb.38:
	v_lshlrev_b64 v[0:1], 2, v[81:82]
	s_mov_b32 s6, 0
	s_delay_alu instid0(VALU_DEP_1) | instskip(NEXT) | instid1(VALU_DEP_2)
	v_add_co_u32 v0, vcc_lo, v0, s8
	v_add_co_ci_u32_e32 v1, vcc_lo, s9, v1, vcc_lo
	s_delay_alu instid0(VALU_DEP_2) | instskip(NEXT) | instid1(VALU_DEP_2)
	v_add_co_u32 v0, vcc_lo, 0x80, v0
	v_add_co_ci_u32_e32 v1, vcc_lo, 0, v1, vcc_lo
.LBB32_39:                              ; =>This Inner Loop Header: Depth=1
	s_clause 0x3
	global_load_b32 v2, v[0:1], off offset:-128
	global_load_b32 v79, v[0:1], off offset:-64
	global_load_b32 v132, v[0:1], off
	global_load_b32 v133, v[0:1], off offset:64
	s_clause 0xb
	global_load_b128 v[3:6], v[85:86], off offset:48
	global_load_b128 v[7:10], v[85:86], off offset:32
	;; [unrolled: 1-line block ×3, first 2 shown]
	global_load_b128 v[15:18], v[85:86], off
	global_load_b128 v[19:22], v[85:86], off offset:112
	global_load_b128 v[23:26], v[85:86], off offset:96
	;; [unrolled: 1-line block ×8, first 2 shown]
	v_add_co_u32 v140, vcc_lo, 0x1000, v85
	v_add_co_ci_u32_e32 v141, vcc_lo, 0, v86, vcc_lo
	s_clause 0xe
	global_load_b128 v[51:54], v[85:86], off offset:2160
	global_load_b128 v[55:58], v[85:86], off offset:2144
	;; [unrolled: 1-line block ×6, first 2 shown]
	global_load_b128 v[75:78], v[140:141], off
	global_load_b128 v[87:90], v[140:141], off offset:16
	global_load_b128 v[91:94], v[140:141], off offset:112
	;; [unrolled: 1-line block ×8, first 2 shown]
	s_waitcnt vmcnt(30)
	v_subrev_nc_u32_e32 v2, s12, v2
	s_waitcnt vmcnt(29)
	v_subrev_nc_u32_e32 v79, s12, v79
	;; [unrolled: 2-line block ×4, first 2 shown]
	v_lshlrev_b32_e32 v132, 2, v2
	v_lshlrev_b32_e32 v134, 2, v79
	v_lshlrev_b32_e32 v136, 2, v135
	s_delay_alu instid0(VALU_DEP_4) | instskip(NEXT) | instid1(VALU_DEP_4)
	v_lshlrev_b32_e32 v138, 2, v133
	v_ashrrev_i32_e32 v133, 31, v132
	s_delay_alu instid0(VALU_DEP_4) | instskip(NEXT) | instid1(VALU_DEP_4)
	v_ashrrev_i32_e32 v135, 31, v134
	v_ashrrev_i32_e32 v137, 31, v136
	s_delay_alu instid0(VALU_DEP_4) | instskip(NEXT) | instid1(VALU_DEP_4)
	v_ashrrev_i32_e32 v139, 31, v138
	v_lshlrev_b64 v[132:133], 3, v[132:133]
	s_delay_alu instid0(VALU_DEP_4) | instskip(NEXT) | instid1(VALU_DEP_4)
	v_lshlrev_b64 v[134:135], 3, v[134:135]
	v_lshlrev_b64 v[136:137], 3, v[136:137]
	s_delay_alu instid0(VALU_DEP_4) | instskip(SKIP_1) | instid1(VALU_DEP_4)
	v_lshlrev_b64 v[138:139], 3, v[138:139]
	s_waitcnt lgkmcnt(0)
	v_add_co_u32 v142, vcc_lo, s4, v132
	v_add_co_ci_u32_e32 v143, vcc_lo, s5, v133, vcc_lo
	v_add_co_u32 v144, vcc_lo, s4, v134
	v_add_co_ci_u32_e32 v145, vcc_lo, s5, v135, vcc_lo
	;; [unrolled: 2-line block ×4, first 2 shown]
	s_clause 0x1
	global_load_b128 v[132:135], v[142:143], off
	global_load_b128 v[136:139], v[142:143], off offset:16
	v_add_co_u32 v81, vcc_lo, v81, 64
	v_add_co_ci_u32_e32 v82, vcc_lo, 0, v82, vcc_lo
	v_add_co_u32 v0, vcc_lo, 0x100, v0
	v_add_co_ci_u32_e32 v1, vcc_lo, 0, v1, vcc_lo
	;; [unrolled: 2-line block ×3, first 2 shown]
	v_cmp_ge_i64_e32 vcc_lo, v[81:82], v[83:84]
	s_or_b32 s6, vcc_lo, s6
	s_waitcnt vmcnt(1)
	v_fmac_f32_e32 v105, v11, v132
	v_fmac_f32_e32 v107, v17, v132
	;; [unrolled: 1-line block ×5, first 2 shown]
	v_fma_f32 v105, -v12, v133, v105
	v_fma_f32 v79, -v18, v133, v107
	v_fmac_f32_e32 v102, v13, v133
	v_fmac_f32_e32 v106, v15, v132
	v_dual_fmac_f32 v100, v16, v132 :: v_dual_fmac_f32 v103, v11, v133
	v_dual_fmac_f32 v104, v13, v132 :: v_dual_fmac_f32 v105, v3, v134
	v_fmac_f32_e32 v101, v17, v133
	s_delay_alu instid0(VALU_DEP_3) | instskip(SKIP_1) | instid1(VALU_DEP_4)
	v_dual_fmac_f32 v100, v15, v133 :: v_dual_fmac_f32 v79, v9, v134
	v_fma_f32 v2, -v16, v133, v106
	v_fma_f32 v104, -v14, v133, v104
	s_delay_alu instid0(VALU_DEP_4)
	v_fmac_f32_e32 v101, v10, v134
	v_fmac_f32_e32 v102, v6, v134
	;; [unrolled: 1-line block ×3, first 2 shown]
	v_fma_f32 v79, -v10, v135, v79
	v_fmac_f32_e32 v2, v7, v134
	s_clause 0x1
	global_load_b128 v[15:18], v[140:141], off offset:2048
	global_load_b128 v[11:14], v[140:141], off offset:2112
	v_fmac_f32_e32 v102, v5, v135
	v_dual_fmac_f32 v100, v8, v134 :: v_dual_fmac_f32 v103, v3, v135
	v_fmac_f32_e32 v104, v5, v134
	v_fmac_f32_e32 v101, v9, v135
	v_fma_f32 v142, -v4, v135, v105
	s_waitcnt vmcnt(2)
	v_dual_fmac_f32 v100, v7, v135 :: v_dual_fmac_f32 v79, v33, v136
	v_fma_f32 v132, -v8, v135, v2
	v_fmac_f32_e32 v101, v34, v136
	global_load_b128 v[7:10], v[140:141], off offset:2128
	v_fmac_f32_e32 v103, v28, v136
	v_fma_f32 v6, -v6, v135, v104
	s_clause 0x1
	global_load_b128 v[2:5], v[144:145], off
	global_load_b128 v[104:107], v[144:145], off offset:16
	v_fmac_f32_e32 v100, v32, v136
	v_fma_f32 v79, -v34, v137, v79
	v_fmac_f32_e32 v103, v27, v137
	v_dual_fmac_f32 v132, v31, v136 :: v_dual_fmac_f32 v101, v33, v137
	s_delay_alu instid0(VALU_DEP_3) | instskip(NEXT) | instid1(VALU_DEP_3)
	v_dual_fmac_f32 v100, v31, v137 :: v_dual_fmac_f32 v79, v25, v138
	v_dual_fmac_f32 v102, v30, v136 :: v_dual_fmac_f32 v103, v20, v138
	s_delay_alu instid0(VALU_DEP_3)
	v_fma_f32 v143, -v32, v137, v132
	s_clause 0x1
	global_load_b128 v[31:34], v[146:147], off
	global_load_b128 v[132:135], v[146:147], off offset:16
	v_dual_fmac_f32 v6, v29, v136 :: v_dual_fmac_f32 v101, v26, v138
	v_fmac_f32_e32 v142, v27, v136
	v_dual_fmac_f32 v102, v29, v137 :: v_dual_fmac_f32 v103, v19, v139
	v_fmac_f32_e32 v143, v23, v138
	s_delay_alu instid0(VALU_DEP_4)
	v_fma_f32 v6, -v30, v137, v6
	v_fmac_f32_e32 v101, v25, v139
	v_fma_f32 v136, -v28, v137, v142
	global_load_b128 v[27:30], v[148:149], off
	v_fma_f32 v142, -v24, v139, v143
	v_fma_f32 v79, -v26, v139, v79
	s_waitcnt vmcnt(4)
	v_fmac_f32_e32 v103, v44, v2
	v_fmac_f32_e32 v6, v21, v138
	;; [unrolled: 1-line block ×5, first 2 shown]
	v_dual_fmac_f32 v103, v43, v3 :: v_dual_fmac_f32 v102, v22, v138
	s_delay_alu instid0(VALU_DEP_4) | instskip(NEXT) | instid1(VALU_DEP_4)
	v_fmac_f32_e32 v101, v49, v3
	v_fmac_f32_e32 v100, v23, v139
	global_load_b128 v[23:26], v[148:149], off offset:16
	v_dual_fmac_f32 v103, v36, v4 :: v_dual_fmac_f32 v102, v21, v139
	v_dual_fmac_f32 v142, v47, v2 :: v_dual_fmac_f32 v101, v42, v4
	v_fmac_f32_e32 v100, v48, v2
	v_fma_f32 v6, -v22, v139, v6
	s_delay_alu instid0(VALU_DEP_4) | instskip(NEXT) | instid1(VALU_DEP_3)
	v_dual_fmac_f32 v103, v35, v5 :: v_dual_fmac_f32 v102, v46, v2
	v_dual_fmac_f32 v101, v41, v5 :: v_dual_fmac_f32 v100, v47, v3
	v_fma_f32 v47, -v50, v3, v79
	v_fmac_f32_e32 v136, v19, v138
	s_waitcnt vmcnt(4)
	v_dual_fmac_f32 v6, v45, v2 :: v_dual_fmac_f32 v103, v60, v104
	v_fmac_f32_e32 v100, v40, v4
	v_fmac_f32_e32 v47, v41, v4
	v_fma_f32 v143, -v20, v139, v136
	s_clause 0x1
	global_load_b128 v[19:22], v[140:141], off offset:2144
	global_load_b128 v[136:139], v[140:141], off offset:2160
	v_fmac_f32_e32 v103, v59, v105
	v_fma_f32 v6, -v46, v3, v6
	v_dual_fmac_f32 v100, v39, v5 :: v_dual_fmac_f32 v101, v66, v104
	v_dual_fmac_f32 v143, v43, v2 :: v_dual_fmac_f32 v102, v45, v3
	v_fma_f32 v2, -v48, v3, v142
	v_fmac_f32_e32 v103, v52, v106
	s_delay_alu instid0(VALU_DEP_4) | instskip(NEXT) | instid1(VALU_DEP_4)
	v_fmac_f32_e32 v101, v65, v105
	v_fma_f32 v44, -v44, v3, v143
	v_fmac_f32_e32 v6, v37, v4
	v_fmac_f32_e32 v2, v39, v4
	v_fma_f32 v3, -v42, v5, v47
	v_fmac_f32_e32 v101, v58, v106
	v_fmac_f32_e32 v102, v38, v4
	v_fma_f32 v6, -v38, v5, v6
	v_fma_f32 v2, -v40, v5, v2
	v_fmac_f32_e32 v3, v65, v104
	v_dual_fmac_f32 v100, v64, v104 :: v_dual_fmac_f32 v101, v57, v107
	s_delay_alu instid0(VALU_DEP_4) | instskip(SKIP_1) | instid1(VALU_DEP_4)
	v_fmac_f32_e32 v6, v61, v104
	v_dual_fmac_f32 v102, v37, v5 :: v_dual_fmac_f32 v103, v51, v107
	v_fma_f32 v3, -v66, v105, v3
	s_waitcnt vmcnt(5)
	v_dual_fmac_f32 v44, v35, v4 :: v_dual_fmac_f32 v101, v78, v31
	s_delay_alu instid0(VALU_DEP_3) | instskip(NEXT) | instid1(VALU_DEP_3)
	v_dual_fmac_f32 v102, v62, v104 :: v_dual_fmac_f32 v103, v88, v31
	v_fmac_f32_e32 v3, v57, v106
	s_delay_alu instid0(VALU_DEP_3) | instskip(SKIP_4) | instid1(VALU_DEP_4)
	v_fma_f32 v4, -v36, v5, v44
	v_fma_f32 v5, -v62, v105, v6
	v_fmac_f32_e32 v2, v63, v104
	v_fmac_f32_e32 v100, v63, v105
	v_dual_fmac_f32 v102, v61, v105 :: v_dual_fmac_f32 v103, v87, v32
	v_fmac_f32_e32 v5, v53, v106
	s_delay_alu instid0(VALU_DEP_4) | instskip(NEXT) | instid1(VALU_DEP_4)
	v_fma_f32 v2, -v64, v105, v2
	v_dual_fmac_f32 v100, v56, v106 :: v_dual_fmac_f32 v101, v77, v32
	v_fma_f32 v3, -v58, v107, v3
	s_delay_alu instid0(VALU_DEP_4) | instskip(NEXT) | instid1(VALU_DEP_4)
	v_fma_f32 v5, -v54, v107, v5
	v_fmac_f32_e32 v2, v55, v106
	v_fmac_f32_e32 v4, v59, v104
	v_dual_fmac_f32 v102, v54, v106 :: v_dual_fmac_f32 v103, v68, v33
	s_delay_alu instid0(VALU_DEP_4) | instskip(NEXT) | instid1(VALU_DEP_4)
	v_fmac_f32_e32 v5, v89, v31
	v_fma_f32 v2, -v56, v107, v2
	v_dual_fmac_f32 v100, v55, v107 :: v_dual_fmac_f32 v101, v74, v33
	v_fmac_f32_e32 v3, v77, v31
	v_fma_f32 v4, -v60, v105, v4
	v_fma_f32 v5, -v90, v32, v5
	v_fmac_f32_e32 v2, v75, v31
	v_dual_fmac_f32 v102, v53, v107 :: v_dual_fmac_f32 v103, v67, v34
	v_dual_fmac_f32 v100, v76, v31 :: v_dual_fmac_f32 v101, v73, v34
	v_fma_f32 v3, -v78, v32, v3
	v_dual_fmac_f32 v4, v51, v106 :: v_dual_fmac_f32 v5, v69, v33
	v_fma_f32 v2, -v76, v32, v2
	s_waitcnt vmcnt(4)
	v_dual_fmac_f32 v102, v90, v31 :: v_dual_fmac_f32 v101, v119, v132
	v_dual_fmac_f32 v100, v75, v32 :: v_dual_fmac_f32 v3, v73, v33
	v_fma_f32 v4, -v52, v107, v4
	v_dual_fmac_f32 v2, v71, v33 :: v_dual_fmac_f32 v103, v113, v132
	v_fma_f32 v5, -v70, v34, v5
	v_fmac_f32_e32 v102, v89, v32
	v_fma_f32 v3, -v74, v34, v3
	v_fmac_f32_e32 v4, v87, v31
	;; [unrolled: 2-line block ×3, first 2 shown]
	v_fmac_f32_e32 v101, v118, v133
	v_dual_fmac_f32 v3, v118, v132 :: v_dual_fmac_f32 v100, v72, v33
	v_fma_f32 v4, -v88, v32, v4
	v_fmac_f32_e32 v103, v112, v133
	s_delay_alu instid0(VALU_DEP_4) | instskip(NEXT) | instid1(VALU_DEP_4)
	v_dual_fmac_f32 v102, v70, v33 :: v_dual_fmac_f32 v101, v111, v134
	v_fmac_f32_e32 v100, v71, v34
	v_fma_f32 v5, -v115, v133, v5
	v_fmac_f32_e32 v2, v116, v132
	v_fma_f32 v3, -v119, v133, v3
	v_dual_fmac_f32 v4, v67, v33 :: v_dual_fmac_f32 v103, v92, v134
	v_fmac_f32_e32 v102, v69, v34
	v_fmac_f32_e32 v5, v93, v134
	v_fma_f32 v2, -v117, v133, v2
	v_fmac_f32_e32 v101, v110, v135
	v_dual_fmac_f32 v103, v91, v135 :: v_dual_fmac_f32 v100, v117, v132
	v_dual_fmac_f32 v102, v115, v132 :: v_dual_fmac_f32 v3, v110, v134
	s_waitcnt vmcnt(3)
	s_delay_alu instid0(VALU_DEP_3)
	v_fmac_f32_e32 v101, v18, v27
	v_fma_f32 v4, -v68, v34, v4
	v_fma_f32 v5, -v94, v135, v5
	v_fmac_f32_e32 v2, v108, v134
	v_dual_fmac_f32 v100, v116, v133 :: v_dual_fmac_f32 v103, v129, v27
	v_dual_fmac_f32 v102, v114, v133 :: v_dual_fmac_f32 v101, v17, v28
	v_fma_f32 v3, -v111, v135, v3
	v_dual_fmac_f32 v4, v112, v132 :: v_dual_fmac_f32 v5, v130, v27
	v_fma_f32 v2, -v109, v135, v2
	v_dual_fmac_f32 v100, v109, v134 :: v_dual_fmac_f32 v103, v128, v28
	v_dual_fmac_f32 v102, v94, v134 :: v_dual_fmac_f32 v101, v127, v29
	s_delay_alu instid0(VALU_DEP_3)
	v_fmac_f32_e32 v2, v15, v27
	v_fmac_f32_e32 v3, v17, v27
	v_fma_f32 v4, -v113, v133, v4
	v_dual_fmac_f32 v100, v108, v135 :: v_dual_fmac_f32 v103, v121, v29
	v_fma_f32 v5, -v131, v28, v5
	v_fmac_f32_e32 v102, v93, v135
	v_fma_f32 v3, -v18, v28, v3
	v_fmac_f32_e32 v4, v91, v134
	v_fmac_f32_e32 v101, v126, v30
	v_fma_f32 v2, -v16, v28, v2
	v_fmac_f32_e32 v5, v122, v29
	v_fmac_f32_e32 v3, v126, v29
	v_fma_f32 v4, -v92, v135, v4
	v_dual_fmac_f32 v102, v131, v27 :: v_dual_fmac_f32 v103, v120, v30
	v_fmac_f32_e32 v2, v124, v29
	s_delay_alu instid0(VALU_DEP_4)
	v_fma_f32 v3, -v127, v30, v3
	v_fma_f32 v5, -v123, v30, v5
	s_waitcnt vmcnt(2)
	v_dual_fmac_f32 v102, v130, v28 :: v_dual_fmac_f32 v103, v8, v23
	v_fmac_f32_e32 v101, v14, v23
	v_fmac_f32_e32 v100, v16, v27
	;; [unrolled: 1-line block ×3, first 2 shown]
	v_fma_f32 v2, -v125, v30, v2
	v_fmac_f32_e32 v103, v7, v24
	v_fmac_f32_e32 v101, v13, v24
	v_dual_fmac_f32 v100, v15, v28 :: v_dual_fmac_f32 v3, v13, v23
	v_fma_f32 v4, -v129, v28, v4
	v_fmac_f32_e32 v2, v11, v23
	v_fmac_f32_e32 v5, v9, v23
	s_delay_alu instid0(VALU_DEP_4) | instskip(NEXT) | instid1(VALU_DEP_4)
	v_fma_f32 v3, -v14, v24, v3
	v_fmac_f32_e32 v4, v120, v29
	s_delay_alu instid0(VALU_DEP_3)
	v_fma_f32 v5, -v10, v24, v5
	s_waitcnt vmcnt(1)
	v_fmac_f32_e32 v101, v22, v25
	v_fmac_f32_e32 v102, v123, v29
	s_waitcnt vmcnt(0)
	v_fmac_f32_e32 v103, v137, v25
	v_fmac_f32_e32 v100, v125, v29
	v_fma_f32 v4, -v121, v30, v4
	v_fmac_f32_e32 v101, v21, v26
	v_fmac_f32_e32 v102, v122, v30
	;; [unrolled: 1-line block ×3, first 2 shown]
	v_dual_fmac_f32 v100, v124, v30 :: v_dual_fmac_f32 v3, v21, v25
	v_fmac_f32_e32 v4, v7, v23
	s_delay_alu instid0(VALU_DEP_4) | instskip(SKIP_1) | instid1(VALU_DEP_4)
	v_fmac_f32_e32 v102, v10, v23
	v_fma_f32 v2, -v12, v24, v2
	v_dual_fmac_f32 v100, v12, v23 :: v_dual_fmac_f32 v5, v138, v25
	s_delay_alu instid0(VALU_DEP_4) | instskip(NEXT) | instid1(VALU_DEP_4)
	v_fma_f32 v4, -v8, v24, v4
	v_fmac_f32_e32 v102, v9, v24
	s_delay_alu instid0(VALU_DEP_4) | instskip(NEXT) | instid1(VALU_DEP_4)
	v_fmac_f32_e32 v2, v19, v25
	v_fmac_f32_e32 v100, v11, v24
	v_fma_f32 v107, -v22, v26, v3
	v_fmac_f32_e32 v4, v136, v25
	v_fmac_f32_e32 v102, v139, v25
	v_fma_f32 v106, -v20, v26, v2
	v_fmac_f32_e32 v100, v20, v25
	v_fma_f32 v104, -v139, v26, v5
	v_fma_f32 v105, -v137, v26, v4
	v_fmac_f32_e32 v102, v138, v26
	s_delay_alu instid0(VALU_DEP_4)
	v_fmac_f32_e32 v100, v19, v26
	s_and_not1_b32 exec_lo, exec_lo, s6
	s_cbranch_execnz .LBB32_39
; %bb.40:
	s_or_b32 exec_lo, exec_lo, s6
.LBB32_41:
	s_delay_alu instid0(SALU_CYCLE_1)
	s_or_b32 exec_lo, exec_lo, s2
.LBB32_42:
	s_delay_alu instid0(SALU_CYCLE_1)
	s_or_b32 exec_lo, exec_lo, s3
.LBB32_43:
	v_mbcnt_lo_u32_b32 v0, -1, 0
	s_delay_alu instid0(VALU_DEP_1) | instskip(SKIP_2) | instid1(VALU_DEP_3)
	v_xor_b32_e32 v1, 8, v0
	v_xor_b32_e32 v9, 4, v0
	;; [unrolled: 1-line block ×3, first 2 shown]
	v_cmp_gt_i32_e32 vcc_lo, 32, v1
	v_cndmask_b32_e32 v1, v0, v1, vcc_lo
	s_delay_alu instid0(VALU_DEP_4) | instskip(NEXT) | instid1(VALU_DEP_2)
	v_cmp_gt_i32_e32 vcc_lo, 32, v9
	v_lshlrev_b32_e32 v1, 2, v1
	ds_bpermute_b32 v4, v1, v107
	s_waitcnt lgkmcnt(0)
	v_add_f32_e32 v4, v107, v4
	ds_bpermute_b32 v2, v1, v106
	ds_bpermute_b32 v6, v1, v105
	;; [unrolled: 1-line block ×3, first 2 shown]
	v_cndmask_b32_e32 v9, v0, v9, vcc_lo
	ds_bpermute_b32 v3, v1, v100
	ds_bpermute_b32 v5, v1, v101
	;; [unrolled: 1-line block ×4, first 2 shown]
	v_cmp_gt_i32_e32 vcc_lo, 32, v17
	s_waitcnt lgkmcnt(6)
	v_dual_cndmask_b32 v17, v0, v17 :: v_dual_add_f32 v2, v106, v2
	s_waitcnt lgkmcnt(5)
	v_dual_add_f32 v6, v105, v6 :: v_dual_lshlrev_b32 v9, 2, v9
	s_waitcnt lgkmcnt(4)
	v_add_f32_e32 v8, v104, v8
	ds_bpermute_b32 v10, v9, v2
	ds_bpermute_b32 v12, v9, v4
	;; [unrolled: 1-line block ×4, first 2 shown]
	s_waitcnt lgkmcnt(7)
	v_add_f32_e32 v3, v100, v3
	s_waitcnt lgkmcnt(6)
	v_add_f32_e32 v5, v101, v5
	;; [unrolled: 2-line block ×5, first 2 shown]
	ds_bpermute_b32 v11, v9, v3
	s_waitcnt lgkmcnt(3)
	v_add_f32_e32 v4, v4, v12
	s_waitcnt lgkmcnt(1)
	v_add_f32_e32 v8, v8, v16
	ds_bpermute_b32 v13, v9, v5
	v_add_f32_e32 v6, v6, v14
	ds_bpermute_b32 v15, v9, v7
	ds_bpermute_b32 v9, v9, v1
	v_lshlrev_b32_e32 v17, 2, v17
	s_waitcnt lgkmcnt(3)
	v_add_f32_e32 v3, v3, v11
	ds_bpermute_b32 v11, v17, v4
	ds_bpermute_b32 v10, v17, v3
	s_waitcnt lgkmcnt(2)
	v_add_f32_e32 v9, v1, v9
	ds_bpermute_b32 v1, v17, v2
	v_add_f32_e32 v7, v7, v15
	ds_bpermute_b32 v15, v17, v8
	;; [unrolled: 2-line block ×3, first 2 shown]
	ds_bpermute_b32 v16, v17, v9
	ds_bpermute_b32 v14, v17, v7
	;; [unrolled: 1-line block ×3, first 2 shown]
	v_xor_b32_e32 v17, 1, v0
	s_delay_alu instid0(VALU_DEP_1) | instskip(SKIP_3) | instid1(VALU_DEP_2)
	v_cmp_gt_i32_e32 vcc_lo, 32, v17
	v_cndmask_b32_e32 v0, v0, v17, vcc_lo
	v_cmp_eq_u32_e32 vcc_lo, 15, v99
	s_waitcnt lgkmcnt(5)
	v_dual_add_f32 v0, v2, v1 :: v_dual_lshlrev_b32 v17, 2, v0
	v_dual_add_f32 v1, v3, v10 :: v_dual_add_f32 v2, v4, v11
	s_waitcnt lgkmcnt(3)
	v_add_f32_e32 v4, v6, v13
	s_waitcnt lgkmcnt(0)
	v_dual_add_f32 v6, v8, v15 :: v_dual_add_f32 v3, v5, v12
	v_add_f32_e32 v5, v7, v14
	v_add_f32_e32 v7, v9, v16
	ds_bpermute_b32 v8, v17, v0
	ds_bpermute_b32 v9, v17, v1
	;; [unrolled: 1-line block ×8, first 2 shown]
	s_and_b32 exec_lo, exec_lo, vcc_lo
	s_cbranch_execz .LBB32_13
; %bb.44:
	s_load_b64 s[2:3], s[0:1], 0x50
	s_waitcnt lgkmcnt(0)
	v_add_f32_e32 v8, v0, v8
	v_dual_add_f32 v0, v1, v9 :: v_dual_add_f32 v1, v3, v11
	v_dual_add_f32 v9, v2, v10 :: v_dual_add_f32 v2, v5, v13
	;; [unrolled: 1-line block ×3, first 2 shown]
	v_add_f32_e32 v11, v6, v14
	s_delay_alu instid0(VALU_DEP_4)
	v_mul_f32_e64 v4, v0, -v98
	v_mul_f32_e32 v5, v0, v97
	v_mul_f32_e64 v6, v1, -v98
	v_mul_f32_e32 v7, v1, v97
	v_mul_f32_e64 v0, v2, -v98
	v_mul_f32_e32 v1, v2, v97
	v_mul_f32_e64 v2, v3, -v98
	v_mul_f32_e32 v3, v3, v97
	v_cmp_eq_f32_e32 vcc_lo, 0, v95
	v_cmp_eq_f32_e64 s0, 0, v96
	v_fmac_f32_e32 v4, v97, v8
	v_dual_fmac_f32 v2, v97, v11 :: v_dual_fmac_f32 v5, v98, v8
	v_fmac_f32_e32 v6, v97, v9
	v_dual_fmac_f32 v7, v98, v9 :: v_dual_lshlrev_b32 v8, 2, v80
	v_fmac_f32_e32 v0, v97, v10
	v_fmac_f32_e32 v1, v98, v10
	v_fmac_f32_e32 v3, v98, v11
	s_and_b32 s0, vcc_lo, s0
	s_delay_alu instid0(SALU_CYCLE_1) | instskip(NEXT) | instid1(SALU_CYCLE_1)
	s_and_saveexec_b32 s1, s0
	s_xor_b32 s0, exec_lo, s1
; %bb.45:
	v_ashrrev_i32_e32 v9, 31, v8
                                        ; implicit-def: $vgpr95
                                        ; implicit-def: $vgpr96
	s_delay_alu instid0(VALU_DEP_1) | instskip(NEXT) | instid1(VALU_DEP_1)
	v_lshlrev_b64 v[8:9], 3, v[8:9]
	v_add_co_u32 v8, vcc_lo, s2, v8
	s_delay_alu instid0(VALU_DEP_2)
	v_add_co_ci_u32_e32 v9, vcc_lo, s3, v9, vcc_lo
	s_clause 0x1
	global_store_b128 v[8:9], v[4:7], off
	global_store_b128 v[8:9], v[0:3], off offset:16
                                        ; implicit-def: $vgpr4
                                        ; implicit-def: $vgpr8
                                        ; implicit-def: $vgpr0
; %bb.46:
	s_and_not1_saveexec_b32 s0, s0
	s_cbranch_execz .LBB32_13
; %bb.47:
	v_ashrrev_i32_e32 v9, 31, v8
	s_delay_alu instid0(VALU_DEP_1) | instskip(NEXT) | instid1(VALU_DEP_1)
	v_lshlrev_b64 v[8:9], 3, v[8:9]
	v_add_co_u32 v16, vcc_lo, s2, v8
	s_delay_alu instid0(VALU_DEP_2)
	v_add_co_ci_u32_e32 v17, vcc_lo, s3, v9, vcc_lo
	s_clause 0x1
	global_load_b128 v[8:11], v[16:17], off
	global_load_b128 v[12:15], v[16:17], off offset:16
	s_waitcnt vmcnt(1)
	v_dual_fmac_f32 v4, v95, v8 :: v_dual_fmac_f32 v7, v96, v10
	v_dual_fmac_f32 v5, v96, v8 :: v_dual_fmac_f32 v6, v95, v10
	s_waitcnt vmcnt(0)
	v_dual_fmac_f32 v0, v95, v12 :: v_dual_fmac_f32 v3, v96, v14
	v_dual_fmac_f32 v1, v96, v12 :: v_dual_fmac_f32 v2, v95, v14
	v_fma_f32 v4, -v96, v9, v4
	v_fmac_f32_e32 v5, v95, v9
	v_fma_f32 v6, -v96, v11, v6
	v_fmac_f32_e32 v7, v95, v11
	;; [unrolled: 2-line block ×4, first 2 shown]
	s_clause 0x1
	global_store_b128 v[16:17], v[4:7], off
	global_store_b128 v[16:17], v[0:3], off offset:16
	s_nop 0
	s_sendmsg sendmsg(MSG_DEALLOC_VGPRS)
	s_endpgm
	.section	.rodata,"a",@progbits
	.p2align	6, 0x0
	.amdhsa_kernel _ZN9rocsparseL18bsrxmvn_4x4_kernelILj128ELj16E21rocsparse_complex_numIfEliS2_S2_S2_EEvT3_20rocsparse_direction_NS_24const_host_device_scalarIT1_EES3_PKS3_PKT2_SC_S9_PKT4_PKT5_S7_PT6_21rocsparse_index_base_b
		.amdhsa_group_segment_fixed_size 0
		.amdhsa_private_segment_fixed_size 0
		.amdhsa_kernarg_size 96
		.amdhsa_user_sgpr_count 15
		.amdhsa_user_sgpr_dispatch_ptr 0
		.amdhsa_user_sgpr_queue_ptr 0
		.amdhsa_user_sgpr_kernarg_segment_ptr 1
		.amdhsa_user_sgpr_dispatch_id 0
		.amdhsa_user_sgpr_private_segment_size 0
		.amdhsa_wavefront_size32 1
		.amdhsa_uses_dynamic_stack 0
		.amdhsa_enable_private_segment 0
		.amdhsa_system_sgpr_workgroup_id_x 1
		.amdhsa_system_sgpr_workgroup_id_y 0
		.amdhsa_system_sgpr_workgroup_id_z 0
		.amdhsa_system_sgpr_workgroup_info 0
		.amdhsa_system_vgpr_workitem_id 0
		.amdhsa_next_free_vgpr 180
		.amdhsa_next_free_sgpr 16
		.amdhsa_reserve_vcc 1
		.amdhsa_float_round_mode_32 0
		.amdhsa_float_round_mode_16_64 0
		.amdhsa_float_denorm_mode_32 3
		.amdhsa_float_denorm_mode_16_64 3
		.amdhsa_dx10_clamp 1
		.amdhsa_ieee_mode 1
		.amdhsa_fp16_overflow 0
		.amdhsa_workgroup_processor_mode 1
		.amdhsa_memory_ordered 1
		.amdhsa_forward_progress 0
		.amdhsa_shared_vgpr_count 0
		.amdhsa_exception_fp_ieee_invalid_op 0
		.amdhsa_exception_fp_denorm_src 0
		.amdhsa_exception_fp_ieee_div_zero 0
		.amdhsa_exception_fp_ieee_overflow 0
		.amdhsa_exception_fp_ieee_underflow 0
		.amdhsa_exception_fp_ieee_inexact 0
		.amdhsa_exception_int_div_zero 0
	.end_amdhsa_kernel
	.section	.text._ZN9rocsparseL18bsrxmvn_4x4_kernelILj128ELj16E21rocsparse_complex_numIfEliS2_S2_S2_EEvT3_20rocsparse_direction_NS_24const_host_device_scalarIT1_EES3_PKS3_PKT2_SC_S9_PKT4_PKT5_S7_PT6_21rocsparse_index_base_b,"axG",@progbits,_ZN9rocsparseL18bsrxmvn_4x4_kernelILj128ELj16E21rocsparse_complex_numIfEliS2_S2_S2_EEvT3_20rocsparse_direction_NS_24const_host_device_scalarIT1_EES3_PKS3_PKT2_SC_S9_PKT4_PKT5_S7_PT6_21rocsparse_index_base_b,comdat
.Lfunc_end32:
	.size	_ZN9rocsparseL18bsrxmvn_4x4_kernelILj128ELj16E21rocsparse_complex_numIfEliS2_S2_S2_EEvT3_20rocsparse_direction_NS_24const_host_device_scalarIT1_EES3_PKS3_PKT2_SC_S9_PKT4_PKT5_S7_PT6_21rocsparse_index_base_b, .Lfunc_end32-_ZN9rocsparseL18bsrxmvn_4x4_kernelILj128ELj16E21rocsparse_complex_numIfEliS2_S2_S2_EEvT3_20rocsparse_direction_NS_24const_host_device_scalarIT1_EES3_PKS3_PKT2_SC_S9_PKT4_PKT5_S7_PT6_21rocsparse_index_base_b
                                        ; -- End function
	.section	.AMDGPU.csdata,"",@progbits
; Kernel info:
; codeLenInByte = 7680
; NumSgprs: 18
; NumVgprs: 180
; ScratchSize: 0
; MemoryBound: 0
; FloatMode: 240
; IeeeMode: 1
; LDSByteSize: 0 bytes/workgroup (compile time only)
; SGPRBlocks: 2
; VGPRBlocks: 22
; NumSGPRsForWavesPerEU: 18
; NumVGPRsForWavesPerEU: 180
; Occupancy: 8
; WaveLimiterHint : 1
; COMPUTE_PGM_RSRC2:SCRATCH_EN: 0
; COMPUTE_PGM_RSRC2:USER_SGPR: 15
; COMPUTE_PGM_RSRC2:TRAP_HANDLER: 0
; COMPUTE_PGM_RSRC2:TGID_X_EN: 1
; COMPUTE_PGM_RSRC2:TGID_Y_EN: 0
; COMPUTE_PGM_RSRC2:TGID_Z_EN: 0
; COMPUTE_PGM_RSRC2:TIDIG_COMP_CNT: 0
	.section	.text._ZN9rocsparseL18bsrxmvn_4x4_kernelILj128ELj32E21rocsparse_complex_numIfEliS2_S2_S2_EEvT3_20rocsparse_direction_NS_24const_host_device_scalarIT1_EES3_PKS3_PKT2_SC_S9_PKT4_PKT5_S7_PT6_21rocsparse_index_base_b,"axG",@progbits,_ZN9rocsparseL18bsrxmvn_4x4_kernelILj128ELj32E21rocsparse_complex_numIfEliS2_S2_S2_EEvT3_20rocsparse_direction_NS_24const_host_device_scalarIT1_EES3_PKS3_PKT2_SC_S9_PKT4_PKT5_S7_PT6_21rocsparse_index_base_b,comdat
	.globl	_ZN9rocsparseL18bsrxmvn_4x4_kernelILj128ELj32E21rocsparse_complex_numIfEliS2_S2_S2_EEvT3_20rocsparse_direction_NS_24const_host_device_scalarIT1_EES3_PKS3_PKT2_SC_S9_PKT4_PKT5_S7_PT6_21rocsparse_index_base_b ; -- Begin function _ZN9rocsparseL18bsrxmvn_4x4_kernelILj128ELj32E21rocsparse_complex_numIfEliS2_S2_S2_EEvT3_20rocsparse_direction_NS_24const_host_device_scalarIT1_EES3_PKS3_PKT2_SC_S9_PKT4_PKT5_S7_PT6_21rocsparse_index_base_b
	.p2align	8
	.type	_ZN9rocsparseL18bsrxmvn_4x4_kernelILj128ELj32E21rocsparse_complex_numIfEliS2_S2_S2_EEvT3_20rocsparse_direction_NS_24const_host_device_scalarIT1_EES3_PKS3_PKT2_SC_S9_PKT4_PKT5_S7_PT6_21rocsparse_index_base_b,@function
_ZN9rocsparseL18bsrxmvn_4x4_kernelILj128ELj32E21rocsparse_complex_numIfEliS2_S2_S2_EEvT3_20rocsparse_direction_NS_24const_host_device_scalarIT1_EES3_PKS3_PKT2_SC_S9_PKT4_PKT5_S7_PT6_21rocsparse_index_base_b: ; @_ZN9rocsparseL18bsrxmvn_4x4_kernelILj128ELj32E21rocsparse_complex_numIfEliS2_S2_S2_EEvT3_20rocsparse_direction_NS_24const_host_device_scalarIT1_EES3_PKS3_PKT2_SC_S9_PKT4_PKT5_S7_PT6_21rocsparse_index_base_b
; %bb.0:
	s_clause 0x2
	s_load_b64 s[12:13], s[0:1], 0x58
	s_load_b64 s[4:5], s[0:1], 0x8
	;; [unrolled: 1-line block ×3, first 2 shown]
	s_waitcnt lgkmcnt(0)
	s_bitcmp1_b32 s13, 0
	v_mov_b32_e32 v65, s4
	s_cselect_b32 s6, -1, 0
	s_delay_alu instid0(SALU_CYCLE_1)
	s_and_b32 vcc_lo, exec_lo, s6
	s_xor_b32 s6, s6, -1
	s_cbranch_vccz .LBB33_14
; %bb.1:
	v_cndmask_b32_e64 v1, 0, 1, s6
	v_mov_b32_e32 v66, s5
	s_and_not1_b32 vcc_lo, exec_lo, s6
	s_cbranch_vccz .LBB33_15
.LBB33_2:
	s_delay_alu instid0(VALU_DEP_2)
	v_cmp_ne_u32_e32 vcc_lo, 1, v1
	v_mov_b32_e32 v63, s2
	s_cbranch_vccz .LBB33_16
.LBB33_3:
	v_cmp_ne_u32_e32 vcc_lo, 1, v1
	v_mov_b32_e32 v64, s3
	s_cbranch_vccnz .LBB33_5
.LBB33_4:
	v_dual_mov_b32 v1, s2 :: v_dual_mov_b32 v2, s3
	flat_load_b32 v64, v[1:2] offset:4
.LBB33_5:
	s_waitcnt vmcnt(0) lgkmcnt(0)
	v_cmp_eq_f32_e32 vcc_lo, 0, v65
	v_cmp_eq_f32_e64 s2, 0, v66
	s_delay_alu instid0(VALU_DEP_1)
	s_and_b32 s4, vcc_lo, s2
	s_mov_b32 s2, -1
	s_and_saveexec_b32 s3, s4
; %bb.6:
	v_cmp_neq_f32_e32 vcc_lo, 1.0, v63
	v_cmp_neq_f32_e64 s2, 0, v64
	s_delay_alu instid0(VALU_DEP_1) | instskip(NEXT) | instid1(SALU_CYCLE_1)
	s_or_b32 s2, vcc_lo, s2
	s_or_not1_b32 s2, s2, exec_lo
; %bb.7:
	s_or_b32 exec_lo, exec_lo, s3
	s_and_saveexec_b32 s3, s2
	s_cbranch_execz .LBB33_13
; %bb.8:
	s_clause 0x1
	s_load_b64 s[4:5], s[0:1], 0x18
	s_load_b64 s[2:3], s[0:1], 0x0
	v_lshrrev_b32_e32 v1, 5, v0
	s_delay_alu instid0(VALU_DEP_1)
	v_lshl_or_b32 v48, s15, 2, v1
	s_waitcnt lgkmcnt(0)
	s_cmp_lg_u64 s[4:5], 0
	s_cbranch_scc0 .LBB33_17
; %bb.9:
	s_load_b32 s6, s[0:1], 0x10
	s_mov_b32 s7, 0
                                        ; implicit-def: $vgpr1
	s_waitcnt lgkmcnt(0)
	v_cmp_gt_i32_e32 vcc_lo, s6, v48
	s_mov_b32 s6, 0
	s_and_saveexec_b32 s8, vcc_lo
	s_delay_alu instid0(SALU_CYCLE_1)
	s_xor_b32 s8, exec_lo, s8
	s_cbranch_execz .LBB33_11
; %bb.10:
	v_ashrrev_i32_e32 v49, 31, v48
	s_mov_b32 s6, exec_lo
	s_delay_alu instid0(VALU_DEP_1) | instskip(NEXT) | instid1(VALU_DEP_1)
	v_lshlrev_b64 v[1:2], 2, v[48:49]
	v_add_co_u32 v1, vcc_lo, s4, v1
	s_delay_alu instid0(VALU_DEP_2)
	v_add_co_ci_u32_e32 v2, vcc_lo, s5, v2, vcc_lo
	global_load_b32 v1, v[1:2], off
	s_waitcnt vmcnt(0)
	v_subrev_nc_u32_e32 v1, s12, v1
.LBB33_11:
	s_or_b32 exec_lo, exec_lo, s8
	s_delay_alu instid0(SALU_CYCLE_1)
	s_and_b32 vcc_lo, exec_lo, s7
	s_cbranch_vccz .LBB33_18
.LBB33_12:
	v_cmp_gt_i32_e32 vcc_lo, s2, v48
	s_and_not1_b32 s2, s6, exec_lo
	s_and_b32 s4, vcc_lo, exec_lo
	s_delay_alu instid0(SALU_CYCLE_1) | instskip(NEXT) | instid1(SALU_CYCLE_1)
	s_or_b32 s6, s2, s4
	s_and_b32 exec_lo, exec_lo, s6
	s_cbranch_execnz .LBB33_19
.LBB33_13:
	s_nop 0
	s_sendmsg sendmsg(MSG_DEALLOC_VGPRS)
	s_endpgm
.LBB33_14:
	v_dual_mov_b32 v1, s4 :: v_dual_mov_b32 v2, s5
	flat_load_b32 v65, v[1:2]
	v_cndmask_b32_e64 v1, 0, 1, s6
	v_mov_b32_e32 v66, s5
	s_and_not1_b32 vcc_lo, exec_lo, s6
	s_cbranch_vccnz .LBB33_2
.LBB33_15:
	v_dual_mov_b32 v2, s4 :: v_dual_mov_b32 v3, s5
	flat_load_b32 v66, v[2:3] offset:4
	v_cmp_ne_u32_e32 vcc_lo, 1, v1
	v_mov_b32_e32 v63, s2
	s_cbranch_vccnz .LBB33_3
.LBB33_16:
	v_dual_mov_b32 v2, s2 :: v_dual_mov_b32 v3, s3
	flat_load_b32 v63, v[2:3]
	v_cmp_ne_u32_e32 vcc_lo, 1, v1
	v_mov_b32_e32 v64, s3
	s_cbranch_vccz .LBB33_4
	s_branch .LBB33_5
.LBB33_17:
	s_mov_b32 s6, 0
                                        ; implicit-def: $vgpr1
	s_cbranch_execnz .LBB33_12
.LBB33_18:
	s_delay_alu instid0(VALU_DEP_1)
	v_mov_b32_e32 v48, v1
	s_and_b32 exec_lo, exec_lo, s6
	s_cbranch_execz .LBB33_13
.LBB33_19:
	s_load_b256 s[4:11], s[0:1], 0x20
	s_delay_alu instid0(VALU_DEP_1) | instskip(SKIP_1) | instid1(VALU_DEP_2)
	v_ashrrev_i32_e32 v49, 31, v48
	v_dual_mov_b32 v68, 0 :: v_dual_and_b32 v67, 31, v0
	v_lshlrev_b64 v[1:2], 3, v[48:49]
	s_waitcnt lgkmcnt(0)
	s_delay_alu instid0(VALU_DEP_1) | instskip(NEXT) | instid1(VALU_DEP_2)
	v_add_co_u32 v3, vcc_lo, s4, v1
	v_add_co_ci_u32_e32 v4, vcc_lo, s5, v2, vcc_lo
	v_add_co_u32 v1, vcc_lo, s6, v1
	v_add_co_ci_u32_e32 v2, vcc_lo, s7, v2, vcc_lo
	s_delay_alu instid0(VALU_DEP_4)
	v_add_co_u32 v5, vcc_lo, v3, 8
	global_load_b64 v[55:56], v[3:4], off
	v_add_co_ci_u32_e32 v6, vcc_lo, 0, v4, vcc_lo
	s_cmp_eq_u64 s[6:7], 0
	s_load_b64 s[4:5], s[0:1], 0x40
	s_cselect_b32 vcc_lo, -1, 0
	s_cmp_eq_u32 s3, 1
	v_dual_cndmask_b32 v2, v2, v6 :: v_dual_cndmask_b32 v1, v1, v5
	s_mov_b32 s3, 0
	global_load_b64 v[1:2], v[1:2], off
	s_waitcnt vmcnt(1)
	v_sub_co_u32 v0, vcc_lo, v55, s12
	v_subrev_co_ci_u32_e32 v3, vcc_lo, 0, v56, vcc_lo
	s_delay_alu instid0(VALU_DEP_2) | instskip(NEXT) | instid1(VALU_DEP_2)
	v_add_co_u32 v49, vcc_lo, v0, v67
	v_add_co_ci_u32_e32 v50, vcc_lo, 0, v3, vcc_lo
	s_waitcnt vmcnt(0)
	v_sub_co_u32 v51, vcc_lo, v1, s12
	s_delay_alu instid0(VALU_DEP_2) | instskip(SKIP_1) | instid1(VALU_DEP_2)
	v_lshlrev_b64 v[0:1], 7, v[49:50]
	v_subrev_co_ci_u32_e32 v52, vcc_lo, 0, v2, vcc_lo
	v_add_co_u32 v53, vcc_lo, s10, v0
	s_delay_alu instid0(VALU_DEP_2) | instskip(NEXT) | instid1(VALU_DEP_4)
	v_cmp_lt_i64_e64 s2, v[49:50], v[51:52]
	v_add_co_ci_u32_e32 v54, vcc_lo, s11, v1, vcc_lo
	s_cbranch_scc1 .LBB33_31
; %bb.20:
	v_dual_mov_b32 v74, 0 :: v_dual_mov_b32 v73, 0
	v_dual_mov_b32 v72, 0 :: v_dual_mov_b32 v71, 0
	;; [unrolled: 1-line block ×3, first 2 shown]
	v_mov_b32_e32 v69, 0
	s_and_saveexec_b32 s6, s2
	s_cbranch_execz .LBB33_30
; %bb.21:
	v_or_b32_e32 v0, 32, v67
	v_not_b32_e32 v3, v55
	v_not_b32_e32 v2, v56
	v_mov_b32_e32 v58, v54
	v_mov_b32_e32 v60, v50
	v_sub_co_u32 v0, s7, v0, s12
	s_delay_alu instid0(VALU_DEP_1) | instskip(SKIP_1) | instid1(VALU_DEP_3)
	v_sub_co_ci_u32_e64 v1, null, 0, 0, s7
	v_sub_co_u32 v4, s7, s12, v67
	v_add_co_u32 v0, vcc_lo, v0, v55
	s_delay_alu instid0(VALU_DEP_3) | instskip(SKIP_2) | instid1(VALU_DEP_3)
	v_add_co_ci_u32_e32 v1, vcc_lo, v1, v56, vcc_lo
	v_sub_co_ci_u32_e64 v5, null, 0, 0, s7
	v_dual_mov_b32 v75, 0 :: v_dual_mov_b32 v70, 0
	v_cmp_gt_i64_e32 vcc_lo, v[0:1], v[51:52]
	v_dual_mov_b32 v73, 0 :: v_dual_mov_b32 v72, 0
	v_dual_mov_b32 v74, 0 :: v_dual_mov_b32 v57, v53
	;; [unrolled: 1-line block ×3, first 2 shown]
	v_dual_cndmask_b32 v1, v52, v1 :: v_dual_cndmask_b32 v0, v51, v0
	v_add_co_u32 v3, vcc_lo, v4, v3
	v_add_co_ci_u32_e32 v2, vcc_lo, v5, v2, vcc_lo
	s_mov_b32 s7, exec_lo
	s_delay_alu instid0(VALU_DEP_2) | instskip(NEXT) | instid1(VALU_DEP_2)
	v_add_co_u32 v0, vcc_lo, v3, v0
	v_add_co_ci_u32_e32 v1, vcc_lo, v2, v1, vcc_lo
	s_delay_alu instid0(VALU_DEP_2) | instskip(NEXT) | instid1(VALU_DEP_1)
	v_lshrrev_b32_e32 v2, 5, v0
	v_dual_mov_b32 v69, 0 :: v_dual_add_nc_u32 v2, 1, v2
	s_delay_alu instid0(VALU_DEP_1) | instskip(NEXT) | instid1(VALU_DEP_1)
	v_dual_mov_b32 v71, 0 :: v_dual_and_b32 v2, 3, v2
	v_cmpx_ne_u32_e32 0, v2
	s_cbranch_execz .LBB33_25
; %bb.22:
	v_lshlrev_b64 v[4:5], 2, v[49:50]
	v_dual_mov_b32 v3, 0 :: v_dual_lshlrev_b32 v2, 2, v2
	v_dual_mov_b32 v60, v50 :: v_dual_mov_b32 v59, v49
	v_dual_mov_b32 v58, v54 :: v_dual_mov_b32 v57, v53
	s_delay_alu instid0(VALU_DEP_4)
	v_add_co_u32 v4, vcc_lo, s8, v4
	v_add_co_ci_u32_e32 v5, vcc_lo, s9, v5, vcc_lo
	v_mov_b32_e32 v68, v3
	v_mov_b32_e32 v74, v3
	;; [unrolled: 1-line block ×8, first 2 shown]
	s_mov_b32 s10, 0
.LBB33_23:                              ; =>This Inner Loop Header: Depth=1
	global_load_b32 v38, v[4:5], off
	s_clause 0x7
	global_load_b128 v[6:9], v[57:58], off offset:48
	global_load_b128 v[10:13], v[57:58], off offset:32
	;; [unrolled: 1-line block ×3, first 2 shown]
	global_load_b128 v[18:21], v[57:58], off
	global_load_b128 v[22:25], v[57:58], off offset:112
	global_load_b128 v[26:29], v[57:58], off offset:96
	;; [unrolled: 1-line block ×4, first 2 shown]
	s_waitcnt vmcnt(8)
	v_subrev_nc_u32_e32 v38, s12, v38
	s_delay_alu instid0(VALU_DEP_1) | instskip(NEXT) | instid1(VALU_DEP_1)
	v_lshlrev_b32_e32 v38, 2, v38
	v_ashrrev_i32_e32 v39, 31, v38
	s_delay_alu instid0(VALU_DEP_1) | instskip(SKIP_1) | instid1(VALU_DEP_1)
	v_lshlrev_b64 v[38:39], 3, v[38:39]
	s_waitcnt lgkmcnt(0)
	v_add_co_u32 v42, vcc_lo, s4, v38
	s_delay_alu instid0(VALU_DEP_2)
	v_add_co_ci_u32_e32 v43, vcc_lo, s5, v39, vcc_lo
	v_add_co_u32 v57, vcc_lo, 0x1000, v57
	v_add_co_ci_u32_e32 v58, vcc_lo, 0, v58, vcc_lo
	s_clause 0x1
	global_load_b128 v[38:41], v[42:43], off
	global_load_b128 v[42:45], v[42:43], off offset:16
	v_add_co_u32 v59, vcc_lo, v59, 32
	v_add_co_ci_u32_e32 v60, vcc_lo, 0, v60, vcc_lo
	v_add_co_u32 v2, vcc_lo, v2, -4
	v_add_co_ci_u32_e32 v3, vcc_lo, -1, v3, vcc_lo
	v_add_co_u32 v4, vcc_lo, 0x80, v4
	v_add_co_ci_u32_e32 v5, vcc_lo, 0, v5, vcc_lo
	s_delay_alu instid0(VALU_DEP_3)
	v_cmp_eq_u64_e32 vcc_lo, 0, v[2:3]
	s_or_b32 s10, vcc_lo, s10
	s_waitcnt vmcnt(1)
	v_fmac_f32_e32 v70, v27, v38
	v_fmac_f32_e32 v71, v35, v38
	;; [unrolled: 1-line block ×4, first 2 shown]
	s_delay_alu instid0(VALU_DEP_4) | instskip(NEXT) | instid1(VALU_DEP_4)
	v_fmac_f32_e32 v70, v26, v39
	v_dual_fmac_f32 v68, v19, v38 :: v_dual_fmac_f32 v71, v34, v39
	v_fmac_f32_e32 v69, v11, v38
	v_fma_f32 v19, -v19, v39, v74
	s_delay_alu instid0(VALU_DEP_3) | instskip(SKIP_1) | instid1(VALU_DEP_4)
	v_fmac_f32_e32 v68, v18, v39
	v_fmac_f32_e32 v75, v10, v38
	;; [unrolled: 1-line block ×3, first 2 shown]
	v_fma_f32 v10, -v35, v39, v73
	v_fmac_f32_e32 v19, v20, v40
	v_fmac_f32_e32 v68, v21, v40
	v_fma_f32 v11, -v11, v39, v75
	v_dual_fmac_f32 v72, v26, v38 :: v_dual_fmac_f32 v69, v13, v40
	v_fmac_f32_e32 v10, v36, v40
	s_delay_alu instid0(VALU_DEP_4) | instskip(NEXT) | instid1(VALU_DEP_4)
	v_dual_fmac_f32 v71, v37, v40 :: v_dual_fmac_f32 v68, v20, v41
	v_fmac_f32_e32 v11, v12, v40
	s_delay_alu instid0(VALU_DEP_4) | instskip(SKIP_2) | instid1(VALU_DEP_4)
	v_fma_f32 v18, -v27, v39, v72
	v_dual_fmac_f32 v70, v29, v40 :: v_dual_fmac_f32 v69, v12, v41
	v_fma_f32 v19, -v21, v41, v19
	v_fma_f32 v11, -v13, v41, v11
	s_delay_alu instid0(VALU_DEP_4)
	v_fmac_f32_e32 v18, v28, v40
	v_fma_f32 v10, -v37, v41, v10
	s_waitcnt vmcnt(0)
	v_dual_fmac_f32 v71, v36, v41 :: v_dual_fmac_f32 v68, v15, v42
	v_dual_fmac_f32 v70, v28, v41 :: v_dual_fmac_f32 v11, v6, v42
	v_fmac_f32_e32 v19, v14, v42
	v_fma_f32 v12, -v29, v41, v18
	s_delay_alu instid0(VALU_DEP_4) | instskip(NEXT) | instid1(VALU_DEP_4)
	v_dual_fmac_f32 v69, v7, v42 :: v_dual_fmac_f32 v68, v14, v43
	v_fmac_f32_e32 v70, v23, v42
	s_delay_alu instid0(VALU_DEP_4)
	v_fma_f32 v13, -v15, v43, v19
	v_fmac_f32_e32 v10, v30, v42
	v_fma_f32 v7, -v7, v43, v11
	v_fmac_f32_e32 v12, v22, v42
	v_fmac_f32_e32 v69, v6, v43
	v_dual_fmac_f32 v71, v31, v42 :: v_dual_fmac_f32 v70, v22, v43
	v_fmac_f32_e32 v13, v16, v44
	v_fma_f32 v6, -v31, v43, v10
	s_delay_alu instid0(VALU_DEP_3) | instskip(SKIP_2) | instid1(VALU_DEP_3)
	v_dual_fmac_f32 v68, v17, v44 :: v_dual_fmac_f32 v71, v30, v43
	v_fmac_f32_e32 v7, v8, v44
	v_fma_f32 v10, -v23, v43, v12
	v_dual_fmac_f32 v69, v9, v44 :: v_dual_fmac_f32 v68, v16, v45
	v_fmac_f32_e32 v6, v32, v44
	v_fmac_f32_e32 v70, v25, v44
	s_delay_alu instid0(VALU_DEP_4) | instskip(NEXT) | instid1(VALU_DEP_4)
	v_fmac_f32_e32 v10, v24, v44
	v_fmac_f32_e32 v69, v8, v45
	;; [unrolled: 1-line block ×3, first 2 shown]
	v_fma_f32 v74, -v17, v45, v13
	v_fmac_f32_e32 v70, v24, v45
	v_fma_f32 v75, -v9, v45, v7
	v_fma_f32 v73, -v33, v45, v6
	v_fmac_f32_e32 v71, v32, v45
	v_fma_f32 v72, -v25, v45, v10
	s_and_not1_b32 exec_lo, exec_lo, s10
	s_cbranch_execnz .LBB33_23
; %bb.24:
	s_or_b32 exec_lo, exec_lo, s10
.LBB33_25:
	s_delay_alu instid0(SALU_CYCLE_1) | instskip(NEXT) | instid1(SALU_CYCLE_1)
	s_or_b32 exec_lo, exec_lo, s7
	s_mov_b32 s7, exec_lo
	v_cmpx_lt_u64_e32 0x5f, v[0:1]
	s_cbranch_execz .LBB33_29
; %bb.26:
	v_lshlrev_b64 v[0:1], 2, v[59:60]
	s_mov_b32 s10, 0
	s_delay_alu instid0(VALU_DEP_1) | instskip(NEXT) | instid1(VALU_DEP_2)
	v_add_co_u32 v0, vcc_lo, v0, s8
	v_add_co_ci_u32_e32 v1, vcc_lo, s9, v1, vcc_lo
	s_delay_alu instid0(VALU_DEP_2) | instskip(NEXT) | instid1(VALU_DEP_2)
	v_add_co_u32 v61, vcc_lo, 0x100, v0
	v_add_co_ci_u32_e32 v62, vcc_lo, 0, v1, vcc_lo
.LBB33_27:                              ; =>This Inner Loop Header: Depth=1
	s_clause 0x3
	global_load_b32 v76, v[61:62], off offset:-256
	global_load_b32 v153, v[61:62], off offset:-128
	global_load_b32 v154, v[61:62], off
	global_load_b32 v155, v[61:62], off offset:128
	s_clause 0x7
	global_load_b128 v[77:80], v[57:58], off offset:48
	global_load_b128 v[81:84], v[57:58], off offset:32
	;; [unrolled: 1-line block ×3, first 2 shown]
	global_load_b128 v[89:92], v[57:58], off
	global_load_b128 v[93:96], v[57:58], off offset:112
	global_load_b128 v[97:100], v[57:58], off offset:96
	global_load_b128 v[101:104], v[57:58], off offset:80
	global_load_b128 v[105:108], v[57:58], off offset:64
	v_add_co_u32 v0, vcc_lo, 0x1000, v57
	v_add_co_ci_u32_e32 v1, vcc_lo, 0, v58, vcc_lo
	v_add_co_u32 v2, vcc_lo, v57, 0x2000
	v_add_co_ci_u32_e32 v3, vcc_lo, 0, v58, vcc_lo
	;; [unrolled: 2-line block ×4, first 2 shown]
	s_clause 0x16
	global_load_b128 v[109:112], v[0:1], off offset:32
	global_load_b128 v[113:116], v[0:1], off offset:16
	;; [unrolled: 1-line block ×7, first 2 shown]
	global_load_b128 v[129:132], v[2:3], off offset:-4096
	global_load_b128 v[24:27], v[2:3], off
	global_load_b128 v[20:23], v[4:5], off offset:32
	global_load_b128 v[8:11], v[4:5], off offset:16
	;; [unrolled: 1-line block ×7, first 2 shown]
	global_load_b128 v[12:15], v[173:174], off
	global_load_b128 v[4:7], v[173:174], off offset:48
	global_load_b128 v[32:35], v[173:174], off offset:32
	;; [unrolled: 1-line block ×6, first 2 shown]
	s_waitcnt vmcnt(34)
	v_subrev_nc_u32_e32 v76, s12, v76
	s_waitcnt vmcnt(33)
	v_subrev_nc_u32_e32 v156, s12, v153
	;; [unrolled: 2-line block ×4, first 2 shown]
	v_lshlrev_b32_e32 v153, 2, v76
	v_lshlrev_b32_e32 v155, 2, v156
	;; [unrolled: 1-line block ×3, first 2 shown]
	s_delay_alu instid0(VALU_DEP_4) | instskip(NEXT) | instid1(VALU_DEP_4)
	v_lshlrev_b32_e32 v159, 2, v158
	v_ashrrev_i32_e32 v154, 31, v153
	s_delay_alu instid0(VALU_DEP_4) | instskip(NEXT) | instid1(VALU_DEP_4)
	v_ashrrev_i32_e32 v156, 31, v155
	v_ashrrev_i32_e32 v158, 31, v157
	s_delay_alu instid0(VALU_DEP_4) | instskip(NEXT) | instid1(VALU_DEP_4)
	v_ashrrev_i32_e32 v160, 31, v159
	v_lshlrev_b64 v[153:154], 3, v[153:154]
	s_delay_alu instid0(VALU_DEP_4) | instskip(NEXT) | instid1(VALU_DEP_4)
	v_lshlrev_b64 v[155:156], 3, v[155:156]
	v_lshlrev_b64 v[157:158], 3, v[157:158]
	s_delay_alu instid0(VALU_DEP_4) | instskip(SKIP_1) | instid1(VALU_DEP_4)
	v_lshlrev_b64 v[159:160], 3, v[159:160]
	s_waitcnt lgkmcnt(0)
	v_add_co_u32 v161, vcc_lo, s4, v153
	v_add_co_ci_u32_e32 v162, vcc_lo, s5, v154, vcc_lo
	v_add_co_u32 v165, vcc_lo, s4, v155
	v_add_co_ci_u32_e32 v166, vcc_lo, s5, v156, vcc_lo
	;; [unrolled: 2-line block ×4, first 2 shown]
	s_clause 0x3
	global_load_b128 v[153:156], v[161:162], off
	global_load_b128 v[157:160], v[161:162], off offset:16
	global_load_b128 v[161:164], v[165:166], off
	global_load_b128 v[165:168], v[165:166], off offset:16
	v_add_co_u32 v59, vcc_lo, 0x80, v59
	v_add_co_ci_u32_e32 v60, vcc_lo, 0, v60, vcc_lo
	v_add_co_u32 v61, vcc_lo, 0x200, v61
	v_add_co_ci_u32_e32 v62, vcc_lo, 0, v62, vcc_lo
	;; [unrolled: 2-line block ×3, first 2 shown]
	v_cmp_ge_i64_e32 vcc_lo, v[59:60], v[51:52]
	s_or_b32 s10, vcc_lo, s10
	s_waitcnt vmcnt(3)
	v_fmac_f32_e32 v74, v89, v153
	v_fmac_f32_e32 v68, v90, v153
	;; [unrolled: 1-line block ×5, first 2 shown]
	v_fma_f32 v74, -v90, v154, v74
	v_fmac_f32_e32 v68, v89, v154
	v_fmac_f32_e32 v70, v98, v153
	;; [unrolled: 1-line block ×3, first 2 shown]
	v_fma_f32 v72, -v98, v154, v72
	v_fmac_f32_e32 v74, v91, v155
	v_dual_fmac_f32 v68, v92, v155 :: v_dual_fmac_f32 v73, v105, v153
	v_fmac_f32_e32 v70, v97, v154
	s_delay_alu instid0(VALU_DEP_4) | instskip(NEXT) | instid1(VALU_DEP_4)
	v_fmac_f32_e32 v72, v99, v155
	v_fma_f32 v177, -v92, v156, v74
	s_delay_alu instid0(VALU_DEP_4)
	v_fmac_f32_e32 v68, v91, v156
	s_clause 0x1
	global_load_b128 v[89:92], v[169:170], off
	global_load_b128 v[169:172], v[169:170], off offset:16
	v_fma_f32 v74, -v82, v154, v75
	v_fmac_f32_e32 v69, v81, v154
	v_fma_f32 v73, -v106, v154, v73
	v_dual_fmac_f32 v71, v105, v154 :: v_dual_fmac_f32 v70, v100, v155
	s_delay_alu instid0(VALU_DEP_4) | instskip(NEXT) | instid1(VALU_DEP_4)
	v_fmac_f32_e32 v74, v83, v155
	v_fmac_f32_e32 v69, v84, v155
	s_waitcnt vmcnt(4)
	v_dual_fmac_f32 v73, v107, v155 :: v_dual_fmac_f32 v68, v86, v157
	v_dual_fmac_f32 v71, v108, v155 :: v_dual_fmac_f32 v70, v99, v156
	v_fma_f32 v178, -v84, v156, v74
	v_fmac_f32_e32 v69, v83, v156
	global_load_b128 v[81:84], v[175:176], off
	v_fma_f32 v179, -v108, v156, v73
	v_dual_fmac_f32 v71, v107, v156 :: v_dual_fmac_f32 v178, v77, v157
	global_load_b128 v[73:76], v[173:174], off offset:16
	global_load_b128 v[105:108], v[175:176], off offset:16
	v_fma_f32 v72, -v100, v156, v72
	v_fmac_f32_e32 v177, v85, v157
	v_dual_fmac_f32 v69, v78, v157 :: v_dual_fmac_f32 v68, v85, v158
	v_fmac_f32_e32 v70, v94, v157
	v_fmac_f32_e32 v179, v101, v157
	s_delay_alu instid0(VALU_DEP_4) | instskip(NEXT) | instid1(VALU_DEP_4)
	v_fma_f32 v86, -v86, v158, v177
	v_dual_fmac_f32 v69, v77, v158 :: v_dual_fmac_f32 v68, v88, v159
	v_fmac_f32_e32 v72, v93, v157
	v_dual_fmac_f32 v71, v102, v157 :: v_dual_fmac_f32 v70, v93, v158
	s_delay_alu instid0(VALU_DEP_4) | instskip(NEXT) | instid1(VALU_DEP_4)
	v_fmac_f32_e32 v86, v87, v159
	v_fmac_f32_e32 v69, v80, v159
	s_delay_alu instid0(VALU_DEP_4)
	v_fma_f32 v72, -v94, v158, v72
	v_fma_f32 v78, -v78, v158, v178
	;; [unrolled: 1-line block ×3, first 2 shown]
	v_fmac_f32_e32 v71, v101, v158
	v_fma_f32 v85, -v88, v160, v86
	v_fmac_f32_e32 v72, v95, v159
	v_dual_fmac_f32 v70, v96, v159 :: v_dual_fmac_f32 v69, v79, v160
	v_fmac_f32_e32 v78, v79, v159
	v_dual_fmac_f32 v71, v104, v159 :: v_dual_fmac_f32 v68, v87, v160
	v_fmac_f32_e32 v77, v103, v159
	s_waitcnt vmcnt(6)
	v_dual_fmac_f32 v70, v95, v160 :: v_dual_fmac_f32 v69, v110, v161
	v_fmac_f32_e32 v85, v129, v161
	v_fma_f32 v72, -v96, v160, v72
	v_fma_f32 v78, -v80, v160, v78
	v_dual_fmac_f32 v71, v103, v160 :: v_dual_fmac_f32 v68, v130, v161
	v_fma_f32 v77, -v104, v160, v77
	v_dual_fmac_f32 v70, v118, v161 :: v_dual_fmac_f32 v69, v109, v162
	v_fma_f32 v79, -v130, v162, v85
	v_fmac_f32_e32 v72, v117, v161
	v_fmac_f32_e32 v78, v109, v161
	v_dual_fmac_f32 v71, v126, v161 :: v_dual_fmac_f32 v68, v129, v162
	v_fmac_f32_e32 v77, v125, v161
	v_dual_fmac_f32 v70, v117, v162 :: v_dual_fmac_f32 v69, v112, v163
	v_fmac_f32_e32 v79, v131, v163
	v_fma_f32 v72, -v118, v162, v72
	v_fma_f32 v78, -v110, v162, v78
	v_dual_fmac_f32 v71, v125, v162 :: v_dual_fmac_f32 v68, v132, v163
	v_fma_f32 v77, -v126, v162, v77
	v_dual_fmac_f32 v70, v120, v163 :: v_dual_fmac_f32 v69, v111, v164
	v_fma_f32 v79, -v132, v164, v79
	v_fmac_f32_e32 v72, v119, v163
	v_fmac_f32_e32 v78, v111, v163
	v_dual_fmac_f32 v71, v128, v163 :: v_dual_fmac_f32 v68, v131, v164
	v_fmac_f32_e32 v77, v127, v163
	s_waitcnt vmcnt(5)
	v_dual_fmac_f32 v70, v119, v164 :: v_dual_fmac_f32 v69, v122, v165
	v_fmac_f32_e32 v79, v113, v165
	v_fma_f32 v72, -v120, v164, v72
	v_fmac_f32_e32 v68, v114, v165
	v_fma_f32 v77, -v128, v164, v77
	;; [unrolled: 2-line block ×3, first 2 shown]
	v_dual_fmac_f32 v72, v40, v165 :: v_dual_fmac_f32 v71, v127, v164
	s_delay_alu instid0(VALU_DEP_4) | instskip(NEXT) | instid1(VALU_DEP_4)
	v_dual_fmac_f32 v77, v44, v165 :: v_dual_fmac_f32 v68, v113, v166
	v_dual_fmac_f32 v70, v41, v165 :: v_dual_fmac_f32 v69, v124, v167
	s_delay_alu instid0(VALU_DEP_4) | instskip(NEXT) | instid1(VALU_DEP_4)
	v_fmac_f32_e32 v78, v121, v165
	v_fmac_f32_e32 v71, v45, v165
	v_fma_f32 v79, -v114, v166, v79
	s_delay_alu instid0(VALU_DEP_4) | instskip(SKIP_3) | instid1(VALU_DEP_4)
	v_fmac_f32_e32 v70, v40, v166
	v_dual_fmac_f32 v68, v116, v167 :: v_dual_fmac_f32 v69, v123, v168
	v_fma_f32 v78, -v122, v166, v78
	v_fma_f32 v45, -v45, v166, v77
	v_dual_fmac_f32 v71, v44, v166 :: v_dual_fmac_f32 v70, v43, v167
	s_delay_alu instid0(VALU_DEP_4) | instskip(SKIP_2) | instid1(VALU_DEP_2)
	v_fmac_f32_e32 v68, v115, v168
	v_fma_f32 v41, -v41, v166, v72
	s_waitcnt vmcnt(4)
	v_dual_fmac_f32 v71, v47, v167 :: v_dual_fmac_f32 v68, v25, v89
	v_fmac_f32_e32 v69, v21, v89
	v_dual_fmac_f32 v79, v115, v167 :: v_dual_fmac_f32 v70, v42, v168
	s_delay_alu instid0(VALU_DEP_3) | instskip(NEXT) | instid1(VALU_DEP_3)
	v_dual_fmac_f32 v78, v123, v167 :: v_dual_fmac_f32 v71, v46, v168
	v_fmac_f32_e32 v69, v20, v90
	s_delay_alu instid0(VALU_DEP_3) | instskip(SKIP_1) | instid1(VALU_DEP_4)
	v_fma_f32 v40, -v116, v168, v79
	v_fmac_f32_e32 v45, v46, v167
	v_fma_f32 v44, -v124, v168, v78
	v_dual_fmac_f32 v41, v42, v167 :: v_dual_fmac_f32 v68, v24, v90
	s_delay_alu instid0(VALU_DEP_4) | instskip(NEXT) | instid1(VALU_DEP_4)
	v_fmac_f32_e32 v40, v24, v89
	v_fma_f32 v45, -v47, v168, v45
	s_delay_alu instid0(VALU_DEP_4) | instskip(NEXT) | instid1(VALU_DEP_4)
	v_fmac_f32_e32 v44, v20, v89
	v_fma_f32 v41, -v43, v168, v41
	v_fmac_f32_e32 v70, v37, v89
	v_fmac_f32_e32 v71, v134, v89
	;; [unrolled: 1-line block ×3, first 2 shown]
	v_fma_f32 v25, -v25, v90, v40
	v_dual_fmac_f32 v41, v36, v89 :: v_dual_fmac_f32 v68, v27, v91
	v_fma_f32 v21, -v21, v90, v44
	s_delay_alu instid0(VALU_DEP_4)
	v_fma_f32 v20, -v134, v90, v45
	v_fmac_f32_e32 v70, v36, v90
	v_fmac_f32_e32 v71, v133, v90
	v_dual_fmac_f32 v69, v23, v91 :: v_dual_fmac_f32 v68, v26, v92
	v_fmac_f32_e32 v25, v26, v91
	v_fmac_f32_e32 v20, v135, v91
	v_fma_f32 v24, -v37, v90, v41
	s_delay_alu instid0(VALU_DEP_4)
	v_dual_fmac_f32 v70, v39, v91 :: v_dual_fmac_f32 v69, v22, v92
	s_waitcnt vmcnt(3)
	v_fmac_f32_e32 v68, v9, v169
	v_fma_f32 v25, -v27, v92, v25
	v_fma_f32 v20, -v136, v92, v20
	v_fmac_f32_e32 v21, v22, v91
	v_dual_fmac_f32 v71, v136, v91 :: v_dual_fmac_f32 v70, v38, v92
	v_dual_fmac_f32 v24, v38, v91 :: v_dual_fmac_f32 v69, v29, v169
	v_fmac_f32_e32 v68, v8, v170
	v_fmac_f32_e32 v25, v8, v169
	;; [unrolled: 1-line block ×3, first 2 shown]
	v_fma_f32 v21, -v23, v92, v21
	v_fmac_f32_e32 v71, v135, v92
	v_fmac_f32_e32 v68, v11, v171
	v_fma_f32 v22, -v39, v92, v24
	v_fma_f32 v9, -v9, v170, v25
	v_fmac_f32_e32 v21, v28, v169
	v_dual_fmac_f32 v70, v1, v169 :: v_dual_fmac_f32 v69, v28, v170
	v_fmac_f32_e32 v71, v17, v169
	s_delay_alu instid0(VALU_DEP_4) | instskip(NEXT) | instid1(VALU_DEP_4)
	v_dual_fmac_f32 v22, v0, v169 :: v_dual_fmac_f32 v9, v10, v171
	v_fma_f32 v8, -v29, v170, v21
	v_fma_f32 v17, -v17, v170, v20
	v_fmac_f32_e32 v70, v0, v170
	v_fmac_f32_e32 v71, v16, v170
	v_dual_fmac_f32 v69, v31, v171 :: v_dual_fmac_f32 v68, v10, v172
	v_fmac_f32_e32 v8, v30, v171
	v_fma_f32 v0, -v11, v172, v9
	v_fma_f32 v1, -v1, v170, v22
	v_fmac_f32_e32 v17, v18, v171
	v_fmac_f32_e32 v70, v3, v171
	;; [unrolled: 1-line block ×3, first 2 shown]
	v_fma_f32 v8, -v31, v172, v8
	s_waitcnt vmcnt(2)
	v_dual_fmac_f32 v69, v30, v172 :: v_dual_fmac_f32 v0, v12, v81
	v_dual_fmac_f32 v1, v2, v171 :: v_dual_fmac_f32 v68, v13, v81
	v_fmac_f32_e32 v70, v2, v172
	v_dual_fmac_f32 v71, v18, v172 :: v_dual_fmac_f32 v8, v32, v81
	s_delay_alu instid0(VALU_DEP_4) | instskip(NEXT) | instid1(VALU_DEP_4)
	v_fma_f32 v0, -v13, v82, v0
	v_dual_fmac_f32 v68, v12, v82 :: v_dual_fmac_f32 v69, v33, v81
	v_fma_f32 v9, -v19, v172, v17
	v_fma_f32 v1, -v3, v172, v1
	s_delay_alu instid0(VALU_DEP_4) | instskip(NEXT) | instid1(VALU_DEP_4)
	v_fmac_f32_e32 v0, v14, v83
	v_dual_fmac_f32 v70, v142, v81 :: v_dual_fmac_f32 v69, v32, v82
	v_fmac_f32_e32 v71, v150, v81
	v_dual_fmac_f32 v9, v149, v81 :: v_dual_fmac_f32 v68, v15, v83
	v_fma_f32 v2, -v33, v82, v8
	v_fmac_f32_e32 v1, v141, v81
	v_fmac_f32_e32 v70, v141, v82
	v_fmac_f32_e32 v71, v149, v82
	v_fma_f32 v3, -v150, v82, v9
	v_fmac_f32_e32 v2, v34, v83
	v_fma_f32 v1, -v142, v82, v1
	v_fmac_f32_e32 v70, v144, v83
	v_dual_fmac_f32 v69, v35, v83 :: v_dual_fmac_f32 v68, v14, v84
	v_fmac_f32_e32 v71, v152, v83
	v_fma_f32 v0, -v15, v84, v0
	s_delay_alu instid0(VALU_DEP_4)
	v_fmac_f32_e32 v70, v143, v84
	v_fmac_f32_e32 v3, v151, v83
	s_waitcnt vmcnt(0)
	v_dual_fmac_f32 v1, v143, v83 :: v_dual_fmac_f32 v68, v74, v105
	v_fma_f32 v2, -v35, v84, v2
	v_fmac_f32_e32 v69, v34, v84
	v_dual_fmac_f32 v71, v151, v84 :: v_dual_fmac_f32 v70, v138, v105
	v_fmac_f32_e32 v0, v73, v105
	v_fma_f32 v3, -v152, v84, v3
	v_fma_f32 v1, -v144, v84, v1
	v_fmac_f32_e32 v2, v4, v105
	v_dual_fmac_f32 v71, v146, v105 :: v_dual_fmac_f32 v68, v73, v106
	v_fma_f32 v0, -v74, v106, v0
	v_fmac_f32_e32 v69, v5, v105
	v_fmac_f32_e32 v3, v145, v105
	v_fma_f32 v2, -v5, v106, v2
	v_dual_fmac_f32 v68, v76, v107 :: v_dual_fmac_f32 v1, v137, v105
	s_delay_alu instid0(VALU_DEP_4) | instskip(NEXT) | instid1(VALU_DEP_4)
	v_dual_fmac_f32 v0, v75, v107 :: v_dual_fmac_f32 v69, v4, v106
	v_fma_f32 v3, -v146, v106, v3
	s_delay_alu instid0(VALU_DEP_3)
	v_fmac_f32_e32 v68, v75, v108
	v_fmac_f32_e32 v70, v137, v106
	;; [unrolled: 1-line block ×5, first 2 shown]
	v_fma_f32 v1, -v138, v106, v1
	v_fmac_f32_e32 v70, v140, v107
	v_fmac_f32_e32 v3, v147, v107
	v_fma_f32 v74, -v76, v108, v0
	v_fmac_f32_e32 v71, v148, v107
	v_fmac_f32_e32 v1, v139, v107
	;; [unrolled: 1-line block ×3, first 2 shown]
	v_fma_f32 v75, -v7, v108, v2
	v_fmac_f32_e32 v69, v6, v108
	v_fma_f32 v73, -v148, v108, v3
	v_fmac_f32_e32 v71, v147, v108
	v_fma_f32 v72, -v140, v108, v1
	s_and_not1_b32 exec_lo, exec_lo, s10
	s_cbranch_execnz .LBB33_27
; %bb.28:
	s_or_b32 exec_lo, exec_lo, s10
.LBB33_29:
	s_delay_alu instid0(SALU_CYCLE_1)
	s_or_b32 exec_lo, exec_lo, s7
.LBB33_30:
	s_delay_alu instid0(SALU_CYCLE_1) | instskip(NEXT) | instid1(SALU_CYCLE_1)
	s_or_b32 exec_lo, exec_lo, s6
	s_and_not1_b32 vcc_lo, exec_lo, s3
	s_cbranch_vccz .LBB33_32
	s_branch .LBB33_43
.LBB33_31:
                                        ; implicit-def: $vgpr68
                                        ; implicit-def: $vgpr74
                                        ; implicit-def: $vgpr72
                                        ; implicit-def: $vgpr70
                                        ; implicit-def: $vgpr73
                                        ; implicit-def: $vgpr71
                                        ; implicit-def: $vgpr75
                                        ; implicit-def: $vgpr69
.LBB33_32:
	v_dual_mov_b32 v68, 0 :: v_dual_mov_b32 v73, 0
	v_dual_mov_b32 v74, 0 :: v_dual_mov_b32 v71, 0
	;; [unrolled: 1-line block ×4, first 2 shown]
	s_and_saveexec_b32 s3, s2
	s_cbranch_execz .LBB33_42
; %bb.33:
	v_or_b32_e32 v0, 32, v67
	v_not_b32_e32 v3, v55
	v_not_b32_e32 v2, v56
	v_dual_mov_b32 v71, 0 :: v_dual_mov_b32 v70, 0
	s_delay_alu instid0(VALU_DEP_4) | instskip(NEXT) | instid1(VALU_DEP_1)
	v_sub_co_u32 v0, s2, v0, s12
	v_sub_co_ci_u32_e64 v1, null, 0, 0, s2
	v_sub_co_u32 v4, s2, s12, v67
	s_delay_alu instid0(VALU_DEP_3) | instskip(NEXT) | instid1(VALU_DEP_3)
	v_add_co_u32 v0, vcc_lo, v0, v55
	v_add_co_ci_u32_e32 v1, vcc_lo, v1, v56, vcc_lo
	v_sub_co_ci_u32_e64 v5, null, 0, 0, s2
	v_dual_mov_b32 v73, 0 :: v_dual_mov_b32 v72, 0
	s_delay_alu instid0(VALU_DEP_3)
	v_cmp_gt_i64_e32 vcc_lo, v[0:1], v[51:52]
	v_mov_b32_e32 v74, 0
	v_mov_b32_e32 v68, 0
	s_mov_b32 s2, exec_lo
	v_mov_b32_e32 v69, 0
	v_dual_cndmask_b32 v1, v52, v1 :: v_dual_cndmask_b32 v0, v51, v0
	v_add_co_u32 v3, vcc_lo, v4, v3
	v_add_co_ci_u32_e32 v2, vcc_lo, v5, v2, vcc_lo
	s_delay_alu instid0(VALU_DEP_2) | instskip(NEXT) | instid1(VALU_DEP_2)
	v_add_co_u32 v0, vcc_lo, v3, v0
	v_add_co_ci_u32_e32 v1, vcc_lo, v2, v1, vcc_lo
	s_delay_alu instid0(VALU_DEP_2) | instskip(NEXT) | instid1(VALU_DEP_1)
	v_lshrrev_b32_e32 v2, 5, v0
	v_dual_mov_b32 v75, 0 :: v_dual_add_nc_u32 v2, 1, v2
	s_delay_alu instid0(VALU_DEP_1) | instskip(NEXT) | instid1(VALU_DEP_1)
	v_and_b32_e32 v2, 3, v2
	v_cmpx_ne_u32_e32 0, v2
	s_cbranch_execz .LBB33_37
; %bb.34:
	v_lshlrev_b64 v[4:5], 2, v[49:50]
	v_dual_mov_b32 v3, 0 :: v_dual_lshlrev_b32 v2, 2, v2
	s_mov_b32 s6, 0
	s_delay_alu instid0(VALU_DEP_1) | instskip(NEXT) | instid1(VALU_DEP_3)
	v_mov_b32_e32 v68, v3
	v_add_co_u32 v4, vcc_lo, s8, v4
	s_delay_alu instid0(VALU_DEP_4)
	v_add_co_ci_u32_e32 v5, vcc_lo, s9, v5, vcc_lo
	v_mov_b32_e32 v74, v3
	v_mov_b32_e32 v72, v3
	;; [unrolled: 1-line block ×7, first 2 shown]
.LBB33_35:                              ; =>This Inner Loop Header: Depth=1
	global_load_b32 v18, v[4:5], off
	s_clause 0x2
	global_load_b128 v[6:9], v[53:54], off offset:32
	global_load_b128 v[10:13], v[53:54], off offset:16
	global_load_b128 v[14:17], v[53:54], off
	s_waitcnt vmcnt(3)
	v_subrev_nc_u32_e32 v18, s12, v18
	s_delay_alu instid0(VALU_DEP_1) | instskip(NEXT) | instid1(VALU_DEP_1)
	v_lshlrev_b32_e32 v18, 2, v18
	v_ashrrev_i32_e32 v19, 31, v18
	s_delay_alu instid0(VALU_DEP_1) | instskip(SKIP_1) | instid1(VALU_DEP_1)
	v_lshlrev_b64 v[18:19], 3, v[18:19]
	s_waitcnt lgkmcnt(0)
	v_add_co_u32 v22, vcc_lo, s4, v18
	s_delay_alu instid0(VALU_DEP_2)
	v_add_co_ci_u32_e32 v23, vcc_lo, s5, v19, vcc_lo
	s_clause 0x1
	global_load_b128 v[18:21], v[22:23], off
	global_load_b128 v[22:25], v[22:23], off offset:16
	s_clause 0x4
	global_load_b128 v[26:29], v[53:54], off offset:48
	global_load_b128 v[30:33], v[53:54], off offset:64
	;; [unrolled: 1-line block ×5, first 2 shown]
	v_add_co_u32 v53, vcc_lo, 0x1000, v53
	v_add_co_ci_u32_e32 v54, vcc_lo, 0, v54, vcc_lo
	v_add_co_u32 v49, vcc_lo, v49, 32
	v_add_co_ci_u32_e32 v50, vcc_lo, 0, v50, vcc_lo
	v_add_co_u32 v2, vcc_lo, v2, -4
	v_add_co_ci_u32_e32 v3, vcc_lo, -1, v3, vcc_lo
	v_add_co_u32 v4, vcc_lo, 0x80, v4
	v_add_co_ci_u32_e32 v5, vcc_lo, 0, v5, vcc_lo
	s_delay_alu instid0(VALU_DEP_3) | instskip(SKIP_3) | instid1(VALU_DEP_1)
	v_cmp_eq_u64_e32 vcc_lo, 0, v[2:3]
	s_or_b32 s6, vcc_lo, s6
	s_waitcnt vmcnt(6)
	v_fmac_f32_e32 v71, v11, v18
	v_dual_fmac_f32 v68, v15, v18 :: v_dual_fmac_f32 v71, v10, v19
	s_delay_alu instid0(VALU_DEP_1) | instskip(NEXT) | instid1(VALU_DEP_1)
	v_dual_fmac_f32 v75, v16, v18 :: v_dual_fmac_f32 v68, v14, v19
	v_dual_fmac_f32 v73, v10, v18 :: v_dual_fmac_f32 v68, v7, v20
	s_delay_alu instid0(VALU_DEP_1) | instskip(SKIP_2) | instid1(VALU_DEP_3)
	v_fma_f32 v11, -v11, v19, v73
	s_waitcnt vmcnt(4)
	v_dual_fmac_f32 v70, v13, v18 :: v_dual_fmac_f32 v71, v27, v20
	v_fmac_f32_e32 v68, v6, v21
	s_delay_alu instid0(VALU_DEP_3) | instskip(NEXT) | instid1(VALU_DEP_3)
	v_fmac_f32_e32 v11, v26, v20
	v_dual_fmac_f32 v69, v17, v18 :: v_dual_fmac_f32 v70, v12, v19
	s_delay_alu instid0(VALU_DEP_4) | instskip(NEXT) | instid1(VALU_DEP_2)
	v_fmac_f32_e32 v71, v26, v21
	v_dual_fmac_f32 v69, v16, v19 :: v_dual_fmac_f32 v74, v14, v18
	v_fma_f32 v14, -v17, v19, v75
	s_delay_alu instid0(VALU_DEP_2) | instskip(NEXT) | instid1(VALU_DEP_3)
	v_fmac_f32_e32 v69, v9, v20
	v_fma_f32 v15, -v15, v19, v74
	v_fmac_f32_e32 v72, v12, v18
	v_fmac_f32_e32 v70, v29, v20
	;; [unrolled: 1-line block ×5, first 2 shown]
	v_fma_f32 v10, -v13, v19, v72
	v_fma_f32 v8, -v27, v21, v11
	;; [unrolled: 1-line block ×3, first 2 shown]
	s_waitcnt vmcnt(3)
	v_fmac_f32_e32 v69, v33, v22
	v_fma_f32 v7, -v7, v21, v15
	v_fmac_f32_e32 v10, v28, v20
	v_fmac_f32_e32 v70, v28, v21
	s_delay_alu instid0(VALU_DEP_4) | instskip(NEXT) | instid1(VALU_DEP_4)
	v_dual_fmac_f32 v68, v31, v22 :: v_dual_fmac_f32 v69, v32, v23
	v_fmac_f32_e32 v7, v30, v22
	s_delay_alu instid0(VALU_DEP_4)
	v_fma_f32 v9, -v29, v21, v10
	s_waitcnt vmcnt(2)
	v_fmac_f32_e32 v8, v34, v22
	s_waitcnt vmcnt(1)
	v_dual_fmac_f32 v68, v30, v23 :: v_dual_fmac_f32 v69, v41, v24
	v_fma_f32 v7, -v31, v23, v7
	v_fmac_f32_e32 v70, v37, v22
	s_delay_alu instid0(VALU_DEP_3) | instskip(SKIP_1) | instid1(VALU_DEP_4)
	v_dual_fmac_f32 v9, v36, v22 :: v_dual_fmac_f32 v68, v39, v24
	v_fma_f32 v8, -v35, v23, v8
	v_fmac_f32_e32 v7, v38, v24
	s_delay_alu instid0(VALU_DEP_4)
	v_dual_fmac_f32 v71, v35, v22 :: v_dual_fmac_f32 v70, v36, v23
	v_fmac_f32_e32 v6, v32, v22
	v_fma_f32 v9, -v37, v23, v9
	s_waitcnt vmcnt(0)
	v_dual_fmac_f32 v8, v42, v24 :: v_dual_fmac_f32 v69, v40, v25
	v_fmac_f32_e32 v71, v34, v23
	v_fma_f32 v6, -v33, v23, v6
	v_fmac_f32_e32 v9, v44, v24
	v_fmac_f32_e32 v70, v45, v24
	s_delay_alu instid0(VALU_DEP_4) | instskip(NEXT) | instid1(VALU_DEP_4)
	v_dual_fmac_f32 v68, v38, v25 :: v_dual_fmac_f32 v71, v43, v24
	v_fmac_f32_e32 v6, v40, v24
	v_fma_f32 v74, -v39, v25, v7
	v_fma_f32 v73, -v43, v25, v8
	v_fma_f32 v72, -v45, v25, v9
	v_fmac_f32_e32 v71, v42, v25
	v_fma_f32 v75, -v41, v25, v6
	v_fmac_f32_e32 v70, v44, v25
	s_and_not1_b32 exec_lo, exec_lo, s6
	s_cbranch_execnz .LBB33_35
; %bb.36:
	s_or_b32 exec_lo, exec_lo, s6
.LBB33_37:
	s_delay_alu instid0(SALU_CYCLE_1) | instskip(NEXT) | instid1(SALU_CYCLE_1)
	s_or_b32 exec_lo, exec_lo, s2
	s_mov_b32 s2, exec_lo
	v_cmpx_lt_u64_e32 0x5f, v[0:1]
	s_cbranch_execz .LBB33_41
; %bb.38:
	v_lshlrev_b64 v[0:1], 2, v[49:50]
	s_mov_b32 s6, 0
	s_delay_alu instid0(VALU_DEP_1) | instskip(NEXT) | instid1(VALU_DEP_2)
	v_add_co_u32 v0, vcc_lo, v0, s8
	v_add_co_ci_u32_e32 v1, vcc_lo, s9, v1, vcc_lo
	s_delay_alu instid0(VALU_DEP_2) | instskip(NEXT) | instid1(VALU_DEP_2)
	v_add_co_u32 v0, vcc_lo, 0x100, v0
	v_add_co_ci_u32_e32 v1, vcc_lo, 0, v1, vcc_lo
.LBB33_39:                              ; =>This Inner Loop Header: Depth=1
	s_clause 0x3
	global_load_b32 v2, v[0:1], off offset:-256
	global_load_b32 v47, v[0:1], off offset:-128
	global_load_b32 v132, v[0:1], off
	global_load_b32 v133, v[0:1], off offset:128
	s_clause 0x7
	global_load_b128 v[3:6], v[53:54], off offset:48
	global_load_b128 v[7:10], v[53:54], off offset:32
	;; [unrolled: 1-line block ×3, first 2 shown]
	global_load_b128 v[15:18], v[53:54], off
	global_load_b128 v[19:22], v[53:54], off offset:112
	global_load_b128 v[23:26], v[53:54], off offset:96
	;; [unrolled: 1-line block ×4, first 2 shown]
	v_add_co_u32 v80, vcc_lo, 0x1000, v53
	v_add_co_ci_u32_e32 v81, vcc_lo, 0, v54, vcc_lo
	v_add_co_u32 v88, vcc_lo, v53, 0x2000
	v_add_co_ci_u32_e32 v89, vcc_lo, 0, v54, vcc_lo
	;; [unrolled: 2-line block ×4, first 2 shown]
	s_clause 0x12
	global_load_b128 v[35:38], v[80:81], off offset:32
	global_load_b128 v[39:42], v[80:81], off offset:16
	global_load_b128 v[43:46], v[80:81], off offset:112
	global_load_b128 v[55:58], v[80:81], off offset:96
	global_load_b128 v[59:62], v[80:81], off offset:80
	global_load_b128 v[76:79], v[80:81], off offset:48
	global_load_b128 v[80:83], v[80:81], off offset:64
	global_load_b128 v[84:87], v[88:89], off offset:-4096
	global_load_b128 v[88:91], v[88:89], off
	global_load_b128 v[92:95], v[116:117], off offset:32
	global_load_b128 v[96:99], v[116:117], off offset:16
	;; [unrolled: 1-line block ×7, first 2 shown]
	global_load_b128 v[120:123], v[140:141], off
	global_load_b128 v[124:127], v[140:141], off offset:48
	global_load_b128 v[128:131], v[140:141], off offset:32
	s_waitcnt vmcnt(30)
	v_subrev_nc_u32_e32 v2, s12, v2
	s_waitcnt vmcnt(29)
	v_subrev_nc_u32_e32 v47, s12, v47
	;; [unrolled: 2-line block ×4, first 2 shown]
	v_lshlrev_b32_e32 v132, 2, v2
	v_lshlrev_b32_e32 v134, 2, v47
	;; [unrolled: 1-line block ×3, first 2 shown]
	s_delay_alu instid0(VALU_DEP_4) | instskip(NEXT) | instid1(VALU_DEP_4)
	v_lshlrev_b32_e32 v138, 2, v133
	v_ashrrev_i32_e32 v133, 31, v132
	s_delay_alu instid0(VALU_DEP_4) | instskip(NEXT) | instid1(VALU_DEP_4)
	v_ashrrev_i32_e32 v135, 31, v134
	v_ashrrev_i32_e32 v137, 31, v136
	s_delay_alu instid0(VALU_DEP_4) | instskip(NEXT) | instid1(VALU_DEP_4)
	v_ashrrev_i32_e32 v139, 31, v138
	v_lshlrev_b64 v[132:133], 3, v[132:133]
	s_delay_alu instid0(VALU_DEP_4) | instskip(NEXT) | instid1(VALU_DEP_4)
	v_lshlrev_b64 v[134:135], 3, v[134:135]
	v_lshlrev_b64 v[136:137], 3, v[136:137]
	s_delay_alu instid0(VALU_DEP_4) | instskip(SKIP_1) | instid1(VALU_DEP_4)
	v_lshlrev_b64 v[138:139], 3, v[138:139]
	s_waitcnt lgkmcnt(0)
	v_add_co_u32 v142, vcc_lo, s4, v132
	v_add_co_ci_u32_e32 v143, vcc_lo, s5, v133, vcc_lo
	v_add_co_u32 v144, vcc_lo, s4, v134
	v_add_co_ci_u32_e32 v145, vcc_lo, s5, v135, vcc_lo
	;; [unrolled: 2-line block ×4, first 2 shown]
	s_clause 0x1
	global_load_b128 v[132:135], v[142:143], off
	global_load_b128 v[136:139], v[142:143], off offset:16
	v_add_co_u32 v49, vcc_lo, 0x80, v49
	v_add_co_ci_u32_e32 v50, vcc_lo, 0, v50, vcc_lo
	v_add_co_u32 v0, vcc_lo, 0x200, v0
	v_add_co_ci_u32_e32 v1, vcc_lo, 0, v1, vcc_lo
	;; [unrolled: 2-line block ×3, first 2 shown]
	v_cmp_ge_i64_e32 vcc_lo, v[49:50], v[51:52]
	s_or_b32 s6, vcc_lo, s6
	s_waitcnt vmcnt(1)
	v_fmac_f32_e32 v73, v11, v132
	v_fmac_f32_e32 v75, v17, v132
	;; [unrolled: 1-line block ×5, first 2 shown]
	v_fma_f32 v73, -v12, v133, v73
	v_fma_f32 v47, -v18, v133, v75
	v_fmac_f32_e32 v70, v13, v133
	v_fmac_f32_e32 v74, v15, v132
	v_dual_fmac_f32 v68, v16, v132 :: v_dual_fmac_f32 v71, v11, v133
	v_dual_fmac_f32 v72, v13, v132 :: v_dual_fmac_f32 v73, v3, v134
	v_fmac_f32_e32 v69, v17, v133
	s_delay_alu instid0(VALU_DEP_3) | instskip(SKIP_1) | instid1(VALU_DEP_4)
	v_dual_fmac_f32 v68, v15, v133 :: v_dual_fmac_f32 v47, v9, v134
	v_fma_f32 v2, -v16, v133, v74
	v_fma_f32 v72, -v14, v133, v72
	s_delay_alu instid0(VALU_DEP_4)
	v_fmac_f32_e32 v69, v10, v134
	v_fmac_f32_e32 v70, v6, v134
	;; [unrolled: 1-line block ×3, first 2 shown]
	v_fma_f32 v47, -v10, v135, v47
	v_fmac_f32_e32 v2, v7, v134
	s_clause 0x1
	global_load_b128 v[15:18], v[140:141], off offset:16
	global_load_b128 v[11:14], v[140:141], off offset:64
	v_fmac_f32_e32 v70, v5, v135
	v_dual_fmac_f32 v68, v8, v134 :: v_dual_fmac_f32 v71, v3, v135
	v_fmac_f32_e32 v72, v5, v134
	v_fmac_f32_e32 v69, v9, v135
	v_fma_f32 v142, -v4, v135, v73
	s_waitcnt vmcnt(2)
	v_dual_fmac_f32 v68, v7, v135 :: v_dual_fmac_f32 v47, v33, v136
	v_fma_f32 v132, -v8, v135, v2
	v_fmac_f32_e32 v69, v34, v136
	global_load_b128 v[7:10], v[140:141], off offset:80
	v_fmac_f32_e32 v71, v28, v136
	v_fma_f32 v6, -v6, v135, v72
	s_clause 0x1
	global_load_b128 v[2:5], v[144:145], off
	global_load_b128 v[72:75], v[144:145], off offset:16
	v_fmac_f32_e32 v68, v32, v136
	v_fma_f32 v47, -v34, v137, v47
	v_fmac_f32_e32 v71, v27, v137
	v_dual_fmac_f32 v132, v31, v136 :: v_dual_fmac_f32 v69, v33, v137
	s_delay_alu instid0(VALU_DEP_3) | instskip(NEXT) | instid1(VALU_DEP_3)
	v_dual_fmac_f32 v68, v31, v137 :: v_dual_fmac_f32 v47, v25, v138
	v_dual_fmac_f32 v70, v30, v136 :: v_dual_fmac_f32 v71, v20, v138
	s_delay_alu instid0(VALU_DEP_3)
	v_fma_f32 v143, -v32, v137, v132
	s_clause 0x1
	global_load_b128 v[31:34], v[146:147], off
	global_load_b128 v[132:135], v[146:147], off offset:16
	v_dual_fmac_f32 v6, v29, v136 :: v_dual_fmac_f32 v69, v26, v138
	v_fmac_f32_e32 v142, v27, v136
	v_dual_fmac_f32 v70, v29, v137 :: v_dual_fmac_f32 v71, v19, v139
	v_fmac_f32_e32 v143, v23, v138
	s_delay_alu instid0(VALU_DEP_4)
	v_fma_f32 v6, -v30, v137, v6
	v_fmac_f32_e32 v69, v25, v139
	v_fma_f32 v136, -v28, v137, v142
	global_load_b128 v[27:30], v[148:149], off
	v_fma_f32 v142, -v24, v139, v143
	v_fma_f32 v47, -v26, v139, v47
	s_waitcnt vmcnt(4)
	v_fmac_f32_e32 v71, v40, v2
	v_fmac_f32_e32 v6, v21, v138
	;; [unrolled: 1-line block ×5, first 2 shown]
	v_dual_fmac_f32 v71, v39, v3 :: v_dual_fmac_f32 v70, v22, v138
	s_delay_alu instid0(VALU_DEP_4) | instskip(NEXT) | instid1(VALU_DEP_4)
	v_fmac_f32_e32 v69, v86, v3
	v_fmac_f32_e32 v68, v23, v139
	global_load_b128 v[23:26], v[148:149], off offset:16
	v_fmac_f32_e32 v71, v77, v4
	v_fmac_f32_e32 v70, v21, v139
	v_fma_f32 v47, -v87, v3, v47
	v_fmac_f32_e32 v136, v19, v138
	v_fma_f32 v6, -v22, v139, v6
	v_dual_fmac_f32 v142, v84, v2 :: v_dual_fmac_f32 v69, v38, v4
	s_delay_alu instid0(VALU_DEP_4) | instskip(NEXT) | instid1(VALU_DEP_4)
	v_fmac_f32_e32 v47, v37, v4
	v_fma_f32 v143, -v20, v139, v136
	s_clause 0x1
	global_load_b128 v[19:22], v[140:141], off offset:96
	global_load_b128 v[136:139], v[140:141], off offset:112
	v_dual_fmac_f32 v70, v42, v2 :: v_dual_fmac_f32 v69, v37, v5
	v_dual_fmac_f32 v68, v85, v2 :: v_dual_fmac_f32 v71, v76, v5
	v_fmac_f32_e32 v143, v39, v2
	v_fmac_f32_e32 v6, v41, v2
	v_fma_f32 v2, -v85, v3, v142
	s_waitcnt vmcnt(6)
	v_dual_fmac_f32 v70, v41, v3 :: v_dual_fmac_f32 v69, v83, v72
	v_fmac_f32_e32 v68, v84, v3
	v_fma_f32 v6, -v42, v3, v6
	v_fmac_f32_e32 v2, v35, v4
	v_fmac_f32_e32 v71, v60, v72
	v_dual_fmac_f32 v69, v82, v73 :: v_dual_fmac_f32 v70, v79, v4
	v_fma_f32 v40, -v40, v3, v143
	s_delay_alu instid0(VALU_DEP_3) | instskip(NEXT) | instid1(VALU_DEP_3)
	v_dual_fmac_f32 v68, v36, v4 :: v_dual_fmac_f32 v71, v59, v73
	v_fmac_f32_e32 v69, v58, v74
	s_delay_alu instid0(VALU_DEP_4)
	v_fmac_f32_e32 v70, v78, v5
	v_fmac_f32_e32 v6, v78, v4
	v_fma_f32 v3, -v38, v5, v47
	v_fmac_f32_e32 v71, v44, v74
	v_fma_f32 v2, -v36, v5, v2
	;; [unrolled: 2-line block ×3, first 2 shown]
	v_dual_fmac_f32 v3, v82, v72 :: v_dual_fmac_f32 v68, v35, v5
	s_waitcnt vmcnt(5)
	s_delay_alu instid0(VALU_DEP_3) | instskip(NEXT) | instid1(VALU_DEP_3)
	v_dual_fmac_f32 v2, v80, v72 :: v_dual_fmac_f32 v69, v91, v31
	v_fmac_f32_e32 v6, v61, v72
	s_delay_alu instid0(VALU_DEP_3) | instskip(SKIP_1) | instid1(VALU_DEP_4)
	v_fma_f32 v3, -v83, v73, v3
	v_fmac_f32_e32 v40, v76, v4
	v_fma_f32 v2, -v81, v73, v2
	v_dual_fmac_f32 v71, v43, v75 :: v_dual_fmac_f32 v70, v62, v72
	s_delay_alu instid0(VALU_DEP_4) | instskip(NEXT) | instid1(VALU_DEP_4)
	v_fmac_f32_e32 v3, v57, v74
	v_fma_f32 v4, -v77, v5, v40
	v_fma_f32 v5, -v62, v73, v6
	s_delay_alu instid0(VALU_DEP_4) | instskip(SKIP_2) | instid1(VALU_DEP_4)
	v_dual_fmac_f32 v71, v97, v31 :: v_dual_fmac_f32 v2, v55, v74
	v_fmac_f32_e32 v69, v90, v32
	v_fma_f32 v3, -v58, v75, v3
	v_fmac_f32_e32 v5, v45, v74
	v_fmac_f32_e32 v68, v81, v72
	v_fmac_f32_e32 v4, v59, v72
	v_fma_f32 v2, -v56, v75, v2
	v_fmac_f32_e32 v3, v90, v31
	v_fma_f32 v5, -v46, v75, v5
	v_fmac_f32_e32 v68, v80, v73
	;; [unrolled: 2-line block ×3, first 2 shown]
	v_fma_f32 v3, -v91, v32, v3
	s_delay_alu instid0(VALU_DEP_4) | instskip(NEXT) | instid1(VALU_DEP_4)
	v_dual_fmac_f32 v5, v98, v31 :: v_dual_fmac_f32 v68, v56, v74
	v_dual_fmac_f32 v4, v43, v74 :: v_dual_fmac_f32 v71, v96, v32
	s_delay_alu instid0(VALU_DEP_4) | instskip(NEXT) | instid1(VALU_DEP_4)
	v_dual_fmac_f32 v70, v46, v74 :: v_dual_fmac_f32 v69, v95, v33
	v_dual_fmac_f32 v2, v88, v31 :: v_dual_fmac_f32 v3, v94, v33
	s_delay_alu instid0(VALU_DEP_3) | instskip(SKIP_1) | instid1(VALU_DEP_4)
	v_dual_fmac_f32 v68, v55, v75 :: v_dual_fmac_f32 v71, v113, v33
	v_fma_f32 v5, -v99, v32, v5
	v_fmac_f32_e32 v69, v94, v34
	s_delay_alu instid0(VALU_DEP_4) | instskip(NEXT) | instid1(VALU_DEP_4)
	v_fma_f32 v2, -v89, v32, v2
	v_dual_fmac_f32 v68, v89, v31 :: v_dual_fmac_f32 v71, v112, v34
	v_fma_f32 v4, -v44, v75, v4
	v_dual_fmac_f32 v70, v45, v75 :: v_dual_fmac_f32 v5, v114, v33
	s_waitcnt vmcnt(4)
	v_dual_fmac_f32 v2, v92, v33 :: v_dual_fmac_f32 v69, v119, v132
	v_fmac_f32_e32 v68, v88, v32
	v_fma_f32 v3, -v95, v34, v3
	v_fmac_f32_e32 v4, v96, v31
	v_dual_fmac_f32 v70, v99, v31 :: v_dual_fmac_f32 v71, v109, v132
	v_fma_f32 v2, -v93, v34, v2
	v_fma_f32 v5, -v115, v34, v5
	v_fmac_f32_e32 v3, v118, v132
	v_fmac_f32_e32 v69, v118, v133
	;; [unrolled: 1-line block ×3, first 2 shown]
	v_fma_f32 v4, -v97, v32, v4
	v_fmac_f32_e32 v5, v110, v132
	v_dual_fmac_f32 v70, v98, v32 :: v_dual_fmac_f32 v71, v108, v133
	v_dual_fmac_f32 v2, v116, v132 :: v_dual_fmac_f32 v69, v107, v134
	v_fmac_f32_e32 v68, v92, v34
	v_fma_f32 v3, -v119, v133, v3
	v_fmac_f32_e32 v4, v112, v33
	v_dual_fmac_f32 v70, v115, v33 :: v_dual_fmac_f32 v71, v101, v134
	v_fma_f32 v5, -v111, v133, v5
	s_delay_alu instid0(VALU_DEP_4) | instskip(SKIP_2) | instid1(VALU_DEP_4)
	v_fmac_f32_e32 v3, v106, v134
	v_dual_fmac_f32 v69, v106, v135 :: v_dual_fmac_f32 v68, v117, v132
	v_fma_f32 v4, -v113, v34, v4
	v_fmac_f32_e32 v5, v102, v134
	v_dual_fmac_f32 v70, v114, v34 :: v_dual_fmac_f32 v71, v100, v135
	s_waitcnt vmcnt(3)
	v_dual_fmac_f32 v68, v116, v133 :: v_dual_fmac_f32 v69, v123, v27
	v_fma_f32 v3, -v107, v135, v3
	v_fmac_f32_e32 v4, v108, v132
	v_dual_fmac_f32 v70, v111, v132 :: v_dual_fmac_f32 v71, v16, v27
	v_fma_f32 v2, -v117, v133, v2
	s_delay_alu instid0(VALU_DEP_4) | instskip(NEXT) | instid1(VALU_DEP_4)
	v_dual_fmac_f32 v68, v105, v134 :: v_dual_fmac_f32 v3, v122, v27
	v_fma_f32 v4, -v109, v133, v4
	s_delay_alu instid0(VALU_DEP_3) | instskip(NEXT) | instid1(VALU_DEP_3)
	v_dual_fmac_f32 v71, v15, v28 :: v_dual_fmac_f32 v2, v104, v134
	v_dual_fmac_f32 v69, v122, v28 :: v_dual_fmac_f32 v68, v104, v135
	v_fma_f32 v5, -v103, v135, v5
	v_fmac_f32_e32 v70, v110, v133
	v_fma_f32 v3, -v123, v28, v3
	v_fmac_f32_e32 v4, v100, v134
	v_fma_f32 v2, -v105, v135, v2
	s_delay_alu instid0(VALU_DEP_4) | instskip(SKIP_3) | instid1(VALU_DEP_3)
	v_dual_fmac_f32 v5, v17, v27 :: v_dual_fmac_f32 v70, v103, v134
	v_fmac_f32_e32 v71, v125, v29
	v_fmac_f32_e32 v3, v130, v29
	v_dual_fmac_f32 v69, v131, v29 :: v_dual_fmac_f32 v68, v121, v27
	v_dual_fmac_f32 v70, v102, v135 :: v_dual_fmac_f32 v71, v124, v30
	v_fma_f32 v5, -v18, v28, v5
	v_fmac_f32_e32 v2, v120, v27
	v_fma_f32 v3, -v131, v30, v3
	v_dual_fmac_f32 v69, v130, v30 :: v_dual_fmac_f32 v68, v120, v28
	v_fma_f32 v4, -v101, v135, v4
	v_fmac_f32_e32 v5, v126, v29
	v_fma_f32 v2, -v121, v28, v2
	s_delay_alu instid0(VALU_DEP_2) | instskip(SKIP_1) | instid1(VALU_DEP_1)
	v_fma_f32 v5, -v127, v30, v5
	s_waitcnt vmcnt(2)
	v_dual_fmac_f32 v2, v128, v29 :: v_dual_fmac_f32 v5, v9, v23
	v_fmac_f32_e32 v3, v13, v23
	v_dual_fmac_f32 v68, v129, v29 :: v_dual_fmac_f32 v71, v8, v23
	v_fmac_f32_e32 v70, v18, v27
	v_fmac_f32_e32 v69, v14, v23
	;; [unrolled: 1-line block ×3, first 2 shown]
	v_fma_f32 v2, -v129, v30, v2
	v_fmac_f32_e32 v71, v7, v24
	v_fmac_f32_e32 v70, v17, v28
	v_fma_f32 v3, -v14, v24, v3
	v_dual_fmac_f32 v68, v128, v30 :: v_dual_fmac_f32 v69, v13, v24
	v_fma_f32 v4, -v16, v28, v4
	s_waitcnt vmcnt(1)
	s_delay_alu instid0(VALU_DEP_3)
	v_dual_fmac_f32 v2, v11, v23 :: v_dual_fmac_f32 v3, v21, v25
	s_waitcnt vmcnt(0)
	v_dual_fmac_f32 v68, v12, v23 :: v_dual_fmac_f32 v71, v137, v25
	v_fmac_f32_e32 v70, v127, v29
	v_fmac_f32_e32 v69, v22, v25
	;; [unrolled: 1-line block ×3, first 2 shown]
	v_fma_f32 v5, -v10, v24, v5
	v_fmac_f32_e32 v71, v136, v26
	v_fmac_f32_e32 v70, v126, v30
	;; [unrolled: 1-line block ×3, first 2 shown]
	v_fma_f32 v4, -v125, v30, v4
	v_fma_f32 v2, -v12, v24, v2
	v_fmac_f32_e32 v68, v11, v24
	v_fmac_f32_e32 v70, v10, v23
	s_delay_alu instid0(VALU_DEP_4) | instskip(NEXT) | instid1(VALU_DEP_4)
	v_dual_fmac_f32 v5, v138, v25 :: v_dual_fmac_f32 v4, v7, v23
	v_fmac_f32_e32 v2, v19, v25
	s_delay_alu instid0(VALU_DEP_4) | instskip(NEXT) | instid1(VALU_DEP_4)
	v_fmac_f32_e32 v68, v20, v25
	v_fmac_f32_e32 v70, v9, v24
	v_fma_f32 v75, -v22, v26, v3
	v_fma_f32 v4, -v8, v24, v4
	;; [unrolled: 1-line block ×3, first 2 shown]
	v_fmac_f32_e32 v68, v19, v26
	v_fmac_f32_e32 v70, v139, v25
	v_fma_f32 v72, -v139, v26, v5
	v_fmac_f32_e32 v4, v136, v25
	s_delay_alu instid0(VALU_DEP_3) | instskip(NEXT) | instid1(VALU_DEP_2)
	v_fmac_f32_e32 v70, v138, v26
	v_fma_f32 v73, -v137, v26, v4
	s_and_not1_b32 exec_lo, exec_lo, s6
	s_cbranch_execnz .LBB33_39
; %bb.40:
	s_or_b32 exec_lo, exec_lo, s6
.LBB33_41:
	s_delay_alu instid0(SALU_CYCLE_1)
	s_or_b32 exec_lo, exec_lo, s2
.LBB33_42:
	s_delay_alu instid0(SALU_CYCLE_1)
	s_or_b32 exec_lo, exec_lo, s3
.LBB33_43:
	v_mbcnt_lo_u32_b32 v0, -1, 0
	s_delay_alu instid0(VALU_DEP_1) | instskip(SKIP_2) | instid1(VALU_DEP_3)
	v_xor_b32_e32 v1, 16, v0
	v_xor_b32_e32 v9, 8, v0
	;; [unrolled: 1-line block ×3, first 2 shown]
	v_cmp_gt_i32_e32 vcc_lo, 32, v1
	v_cndmask_b32_e32 v1, v0, v1, vcc_lo
	s_delay_alu instid0(VALU_DEP_4) | instskip(NEXT) | instid1(VALU_DEP_2)
	v_cmp_gt_i32_e32 vcc_lo, 32, v9
	v_lshlrev_b32_e32 v1, 2, v1
	ds_bpermute_b32 v4, v1, v75
	s_waitcnt lgkmcnt(0)
	v_add_f32_e32 v4, v75, v4
	ds_bpermute_b32 v2, v1, v74
	ds_bpermute_b32 v6, v1, v73
	;; [unrolled: 1-line block ×3, first 2 shown]
	v_cndmask_b32_e32 v9, v0, v9, vcc_lo
	ds_bpermute_b32 v3, v1, v68
	ds_bpermute_b32 v5, v1, v69
	;; [unrolled: 1-line block ×4, first 2 shown]
	v_cmp_gt_i32_e32 vcc_lo, 32, v17
	s_waitcnt lgkmcnt(6)
	v_dual_cndmask_b32 v17, v0, v17 :: v_dual_add_f32 v2, v74, v2
	s_waitcnt lgkmcnt(5)
	v_dual_add_f32 v6, v73, v6 :: v_dual_lshlrev_b32 v9, 2, v9
	s_waitcnt lgkmcnt(4)
	v_add_f32_e32 v8, v72, v8
	ds_bpermute_b32 v10, v9, v2
	s_waitcnt lgkmcnt(4)
	v_add_f32_e32 v3, v68, v3
	ds_bpermute_b32 v12, v9, v4
	ds_bpermute_b32 v14, v9, v6
	;; [unrolled: 1-line block ×3, first 2 shown]
	s_waitcnt lgkmcnt(6)
	v_add_f32_e32 v5, v69, v5
	s_waitcnt lgkmcnt(5)
	v_add_f32_e32 v7, v71, v7
	;; [unrolled: 2-line block ×4, first 2 shown]
	ds_bpermute_b32 v11, v9, v3
	s_waitcnt lgkmcnt(3)
	v_dual_add_f32 v4, v4, v12 :: v_dual_lshlrev_b32 v17, 2, v17
	ds_bpermute_b32 v13, v9, v5
	s_waitcnt lgkmcnt(3)
	v_add_f32_e32 v6, v6, v14
	ds_bpermute_b32 v15, v9, v7
	s_waitcnt lgkmcnt(3)
	v_add_f32_e32 v8, v8, v16
	;; [unrolled: 3-line block ×4, first 2 shown]
	s_waitcnt lgkmcnt(0)
	v_dual_add_f32 v4, v4, v11 :: v_dual_add_f32 v1, v1, v9
	ds_bpermute_b32 v9, v17, v2
	ds_bpermute_b32 v15, v17, v8
	v_add_f32_e32 v5, v5, v13
	ds_bpermute_b32 v13, v17, v6
	ds_bpermute_b32 v16, v17, v1
	s_waitcnt lgkmcnt(3)
	v_add_f32_e32 v2, v2, v9
	s_waitcnt lgkmcnt(2)
	v_add_f32_e32 v8, v8, v15
	ds_bpermute_b32 v10, v17, v3
	ds_bpermute_b32 v12, v17, v5
	s_waitcnt lgkmcnt(3)
	v_add_f32_e32 v6, v6, v13
	ds_bpermute_b32 v14, v17, v7
	v_xor_b32_e32 v17, 2, v0
	s_waitcnt lgkmcnt(3)
	v_add_f32_e32 v9, v1, v16
	s_delay_alu instid0(VALU_DEP_2) | instskip(SKIP_1) | instid1(VALU_DEP_1)
	v_cmp_gt_i32_e32 vcc_lo, 32, v17
	v_cndmask_b32_e32 v17, v0, v17, vcc_lo
	v_lshlrev_b32_e32 v17, 2, v17
	s_waitcnt lgkmcnt(2)
	v_add_f32_e32 v3, v3, v10
	ds_bpermute_b32 v1, v17, v2
	s_waitcnt lgkmcnt(2)
	v_add_f32_e32 v5, v5, v12
	ds_bpermute_b32 v13, v17, v6
	s_waitcnt lgkmcnt(2)
	v_add_f32_e32 v7, v7, v14
	ds_bpermute_b32 v10, v17, v3
	ds_bpermute_b32 v11, v17, v4
	ds_bpermute_b32 v12, v17, v5
	;; [unrolled: 1-line block ×5, first 2 shown]
	v_xor_b32_e32 v17, 1, v0
	s_delay_alu instid0(VALU_DEP_1) | instskip(SKIP_3) | instid1(VALU_DEP_2)
	v_cmp_gt_i32_e32 vcc_lo, 32, v17
	v_cndmask_b32_e32 v0, v0, v17, vcc_lo
	v_cmp_eq_u32_e32 vcc_lo, 31, v67
	s_waitcnt lgkmcnt(7)
	v_dual_add_f32 v0, v2, v1 :: v_dual_lshlrev_b32 v17, 2, v0
	s_waitcnt lgkmcnt(4)
	v_dual_add_f32 v1, v3, v10 :: v_dual_add_f32 v2, v4, v11
	s_waitcnt lgkmcnt(3)
	v_dual_add_f32 v4, v6, v13 :: v_dual_add_f32 v3, v5, v12
	;; [unrolled: 2-line block ×3, first 2 shown]
	s_waitcnt lgkmcnt(0)
	v_add_f32_e32 v7, v9, v16
	ds_bpermute_b32 v8, v17, v0
	ds_bpermute_b32 v9, v17, v1
	;; [unrolled: 1-line block ×8, first 2 shown]
	s_and_b32 exec_lo, exec_lo, vcc_lo
	s_cbranch_execz .LBB33_13
; %bb.44:
	s_load_b64 s[2:3], s[0:1], 0x50
	s_waitcnt lgkmcnt(0)
	v_add_f32_e32 v8, v0, v8
	v_dual_add_f32 v0, v1, v9 :: v_dual_add_f32 v1, v3, v11
	v_dual_add_f32 v9, v2, v10 :: v_dual_add_f32 v2, v5, v13
	v_dual_add_f32 v3, v7, v15 :: v_dual_add_f32 v10, v4, v12
	v_add_f32_e32 v11, v6, v14
	s_delay_alu instid0(VALU_DEP_4)
	v_mul_f32_e64 v4, v0, -v66
	v_mul_f32_e32 v5, v0, v65
	v_mul_f32_e64 v6, v1, -v66
	v_mul_f32_e32 v7, v1, v65
	;; [unrolled: 2-line block ×4, first 2 shown]
	v_cmp_eq_f32_e32 vcc_lo, 0, v63
	v_cmp_eq_f32_e64 s0, 0, v64
	v_fmac_f32_e32 v4, v65, v8
	v_dual_fmac_f32 v2, v65, v11 :: v_dual_fmac_f32 v5, v66, v8
	v_fmac_f32_e32 v6, v65, v9
	v_dual_fmac_f32 v7, v66, v9 :: v_dual_lshlrev_b32 v8, 2, v48
	v_fmac_f32_e32 v0, v65, v10
	v_fmac_f32_e32 v1, v66, v10
	;; [unrolled: 1-line block ×3, first 2 shown]
	s_and_b32 s0, vcc_lo, s0
	s_delay_alu instid0(SALU_CYCLE_1) | instskip(NEXT) | instid1(SALU_CYCLE_1)
	s_and_saveexec_b32 s1, s0
	s_xor_b32 s0, exec_lo, s1
; %bb.45:
	v_ashrrev_i32_e32 v9, 31, v8
                                        ; implicit-def: $vgpr63
                                        ; implicit-def: $vgpr64
	s_delay_alu instid0(VALU_DEP_1) | instskip(NEXT) | instid1(VALU_DEP_1)
	v_lshlrev_b64 v[8:9], 3, v[8:9]
	v_add_co_u32 v8, vcc_lo, s2, v8
	s_delay_alu instid0(VALU_DEP_2)
	v_add_co_ci_u32_e32 v9, vcc_lo, s3, v9, vcc_lo
	s_clause 0x1
	global_store_b128 v[8:9], v[4:7], off
	global_store_b128 v[8:9], v[0:3], off offset:16
                                        ; implicit-def: $vgpr4
                                        ; implicit-def: $vgpr8
                                        ; implicit-def: $vgpr0
; %bb.46:
	s_and_not1_saveexec_b32 s0, s0
	s_cbranch_execz .LBB33_13
; %bb.47:
	v_ashrrev_i32_e32 v9, 31, v8
	s_delay_alu instid0(VALU_DEP_1) | instskip(NEXT) | instid1(VALU_DEP_1)
	v_lshlrev_b64 v[8:9], 3, v[8:9]
	v_add_co_u32 v16, vcc_lo, s2, v8
	s_delay_alu instid0(VALU_DEP_2)
	v_add_co_ci_u32_e32 v17, vcc_lo, s3, v9, vcc_lo
	s_clause 0x1
	global_load_b128 v[8:11], v[16:17], off
	global_load_b128 v[12:15], v[16:17], off offset:16
	s_waitcnt vmcnt(1)
	v_dual_fmac_f32 v4, v63, v8 :: v_dual_fmac_f32 v7, v64, v10
	v_dual_fmac_f32 v5, v64, v8 :: v_dual_fmac_f32 v6, v63, v10
	s_waitcnt vmcnt(0)
	v_dual_fmac_f32 v0, v63, v12 :: v_dual_fmac_f32 v3, v64, v14
	v_dual_fmac_f32 v1, v64, v12 :: v_dual_fmac_f32 v2, v63, v14
	v_fma_f32 v4, -v64, v9, v4
	v_fmac_f32_e32 v5, v63, v9
	v_fma_f32 v6, -v64, v11, v6
	v_fmac_f32_e32 v7, v63, v11
	;; [unrolled: 2-line block ×4, first 2 shown]
	s_clause 0x1
	global_store_b128 v[16:17], v[4:7], off
	global_store_b128 v[16:17], v[0:3], off offset:16
	s_nop 0
	s_sendmsg sendmsg(MSG_DEALLOC_VGPRS)
	s_endpgm
	.section	.rodata,"a",@progbits
	.p2align	6, 0x0
	.amdhsa_kernel _ZN9rocsparseL18bsrxmvn_4x4_kernelILj128ELj32E21rocsparse_complex_numIfEliS2_S2_S2_EEvT3_20rocsparse_direction_NS_24const_host_device_scalarIT1_EES3_PKS3_PKT2_SC_S9_PKT4_PKT5_S7_PT6_21rocsparse_index_base_b
		.amdhsa_group_segment_fixed_size 0
		.amdhsa_private_segment_fixed_size 0
		.amdhsa_kernarg_size 96
		.amdhsa_user_sgpr_count 15
		.amdhsa_user_sgpr_dispatch_ptr 0
		.amdhsa_user_sgpr_queue_ptr 0
		.amdhsa_user_sgpr_kernarg_segment_ptr 1
		.amdhsa_user_sgpr_dispatch_id 0
		.amdhsa_user_sgpr_private_segment_size 0
		.amdhsa_wavefront_size32 1
		.amdhsa_uses_dynamic_stack 0
		.amdhsa_enable_private_segment 0
		.amdhsa_system_sgpr_workgroup_id_x 1
		.amdhsa_system_sgpr_workgroup_id_y 0
		.amdhsa_system_sgpr_workgroup_id_z 0
		.amdhsa_system_sgpr_workgroup_info 0
		.amdhsa_system_vgpr_workitem_id 0
		.amdhsa_next_free_vgpr 180
		.amdhsa_next_free_sgpr 16
		.amdhsa_reserve_vcc 1
		.amdhsa_float_round_mode_32 0
		.amdhsa_float_round_mode_16_64 0
		.amdhsa_float_denorm_mode_32 3
		.amdhsa_float_denorm_mode_16_64 3
		.amdhsa_dx10_clamp 1
		.amdhsa_ieee_mode 1
		.amdhsa_fp16_overflow 0
		.amdhsa_workgroup_processor_mode 1
		.amdhsa_memory_ordered 1
		.amdhsa_forward_progress 0
		.amdhsa_shared_vgpr_count 0
		.amdhsa_exception_fp_ieee_invalid_op 0
		.amdhsa_exception_fp_denorm_src 0
		.amdhsa_exception_fp_ieee_div_zero 0
		.amdhsa_exception_fp_ieee_overflow 0
		.amdhsa_exception_fp_ieee_underflow 0
		.amdhsa_exception_fp_ieee_inexact 0
		.amdhsa_exception_int_div_zero 0
	.end_amdhsa_kernel
	.section	.text._ZN9rocsparseL18bsrxmvn_4x4_kernelILj128ELj32E21rocsparse_complex_numIfEliS2_S2_S2_EEvT3_20rocsparse_direction_NS_24const_host_device_scalarIT1_EES3_PKS3_PKT2_SC_S9_PKT4_PKT5_S7_PT6_21rocsparse_index_base_b,"axG",@progbits,_ZN9rocsparseL18bsrxmvn_4x4_kernelILj128ELj32E21rocsparse_complex_numIfEliS2_S2_S2_EEvT3_20rocsparse_direction_NS_24const_host_device_scalarIT1_EES3_PKS3_PKT2_SC_S9_PKT4_PKT5_S7_PT6_21rocsparse_index_base_b,comdat
.Lfunc_end33:
	.size	_ZN9rocsparseL18bsrxmvn_4x4_kernelILj128ELj32E21rocsparse_complex_numIfEliS2_S2_S2_EEvT3_20rocsparse_direction_NS_24const_host_device_scalarIT1_EES3_PKS3_PKT2_SC_S9_PKT4_PKT5_S7_PT6_21rocsparse_index_base_b, .Lfunc_end33-_ZN9rocsparseL18bsrxmvn_4x4_kernelILj128ELj32E21rocsparse_complex_numIfEliS2_S2_S2_EEvT3_20rocsparse_direction_NS_24const_host_device_scalarIT1_EES3_PKS3_PKT2_SC_S9_PKT4_PKT5_S7_PT6_21rocsparse_index_base_b
                                        ; -- End function
	.section	.AMDGPU.csdata,"",@progbits
; Kernel info:
; codeLenInByte = 7952
; NumSgprs: 18
; NumVgprs: 180
; ScratchSize: 0
; MemoryBound: 0
; FloatMode: 240
; IeeeMode: 1
; LDSByteSize: 0 bytes/workgroup (compile time only)
; SGPRBlocks: 2
; VGPRBlocks: 22
; NumSGPRsForWavesPerEU: 18
; NumVGPRsForWavesPerEU: 180
; Occupancy: 8
; WaveLimiterHint : 1
; COMPUTE_PGM_RSRC2:SCRATCH_EN: 0
; COMPUTE_PGM_RSRC2:USER_SGPR: 15
; COMPUTE_PGM_RSRC2:TRAP_HANDLER: 0
; COMPUTE_PGM_RSRC2:TGID_X_EN: 1
; COMPUTE_PGM_RSRC2:TGID_Y_EN: 0
; COMPUTE_PGM_RSRC2:TGID_Z_EN: 0
; COMPUTE_PGM_RSRC2:TIDIG_COMP_CNT: 0
	.section	.text._ZN9rocsparseL18bsrxmvn_4x4_kernelILj128ELj64E21rocsparse_complex_numIfEliS2_S2_S2_EEvT3_20rocsparse_direction_NS_24const_host_device_scalarIT1_EES3_PKS3_PKT2_SC_S9_PKT4_PKT5_S7_PT6_21rocsparse_index_base_b,"axG",@progbits,_ZN9rocsparseL18bsrxmvn_4x4_kernelILj128ELj64E21rocsparse_complex_numIfEliS2_S2_S2_EEvT3_20rocsparse_direction_NS_24const_host_device_scalarIT1_EES3_PKS3_PKT2_SC_S9_PKT4_PKT5_S7_PT6_21rocsparse_index_base_b,comdat
	.globl	_ZN9rocsparseL18bsrxmvn_4x4_kernelILj128ELj64E21rocsparse_complex_numIfEliS2_S2_S2_EEvT3_20rocsparse_direction_NS_24const_host_device_scalarIT1_EES3_PKS3_PKT2_SC_S9_PKT4_PKT5_S7_PT6_21rocsparse_index_base_b ; -- Begin function _ZN9rocsparseL18bsrxmvn_4x4_kernelILj128ELj64E21rocsparse_complex_numIfEliS2_S2_S2_EEvT3_20rocsparse_direction_NS_24const_host_device_scalarIT1_EES3_PKS3_PKT2_SC_S9_PKT4_PKT5_S7_PT6_21rocsparse_index_base_b
	.p2align	8
	.type	_ZN9rocsparseL18bsrxmvn_4x4_kernelILj128ELj64E21rocsparse_complex_numIfEliS2_S2_S2_EEvT3_20rocsparse_direction_NS_24const_host_device_scalarIT1_EES3_PKS3_PKT2_SC_S9_PKT4_PKT5_S7_PT6_21rocsparse_index_base_b,@function
_ZN9rocsparseL18bsrxmvn_4x4_kernelILj128ELj64E21rocsparse_complex_numIfEliS2_S2_S2_EEvT3_20rocsparse_direction_NS_24const_host_device_scalarIT1_EES3_PKS3_PKT2_SC_S9_PKT4_PKT5_S7_PT6_21rocsparse_index_base_b: ; @_ZN9rocsparseL18bsrxmvn_4x4_kernelILj128ELj64E21rocsparse_complex_numIfEliS2_S2_S2_EEvT3_20rocsparse_direction_NS_24const_host_device_scalarIT1_EES3_PKS3_PKT2_SC_S9_PKT4_PKT5_S7_PT6_21rocsparse_index_base_b
; %bb.0:
	s_clause 0x2
	s_load_b64 s[12:13], s[0:1], 0x58
	s_load_b64 s[4:5], s[0:1], 0x8
	;; [unrolled: 1-line block ×3, first 2 shown]
	s_waitcnt lgkmcnt(0)
	s_bitcmp1_b32 s13, 0
	v_mov_b32_e32 v65, s4
	s_cselect_b32 s6, -1, 0
	s_delay_alu instid0(SALU_CYCLE_1)
	s_and_b32 vcc_lo, exec_lo, s6
	s_xor_b32 s6, s6, -1
	s_cbranch_vccz .LBB34_14
; %bb.1:
	v_cndmask_b32_e64 v1, 0, 1, s6
	v_mov_b32_e32 v66, s5
	s_and_not1_b32 vcc_lo, exec_lo, s6
	s_cbranch_vccz .LBB34_15
.LBB34_2:
	s_delay_alu instid0(VALU_DEP_2)
	v_cmp_ne_u32_e32 vcc_lo, 1, v1
	v_mov_b32_e32 v63, s2
	s_cbranch_vccz .LBB34_16
.LBB34_3:
	v_cmp_ne_u32_e32 vcc_lo, 1, v1
	v_mov_b32_e32 v64, s3
	s_cbranch_vccnz .LBB34_5
.LBB34_4:
	v_dual_mov_b32 v1, s2 :: v_dual_mov_b32 v2, s3
	flat_load_b32 v64, v[1:2] offset:4
.LBB34_5:
	s_waitcnt vmcnt(0) lgkmcnt(0)
	v_cmp_eq_f32_e32 vcc_lo, 0, v65
	v_cmp_eq_f32_e64 s2, 0, v66
	s_delay_alu instid0(VALU_DEP_1)
	s_and_b32 s4, vcc_lo, s2
	s_mov_b32 s2, -1
	s_and_saveexec_b32 s3, s4
; %bb.6:
	v_cmp_neq_f32_e32 vcc_lo, 1.0, v63
	v_cmp_neq_f32_e64 s2, 0, v64
	s_delay_alu instid0(VALU_DEP_1) | instskip(NEXT) | instid1(SALU_CYCLE_1)
	s_or_b32 s2, vcc_lo, s2
	s_or_not1_b32 s2, s2, exec_lo
; %bb.7:
	s_or_b32 exec_lo, exec_lo, s3
	s_and_saveexec_b32 s3, s2
	s_cbranch_execz .LBB34_13
; %bb.8:
	s_clause 0x1
	s_load_b64 s[4:5], s[0:1], 0x18
	s_load_b64 s[2:3], s[0:1], 0x0
	v_lshrrev_b32_e32 v1, 6, v0
	s_delay_alu instid0(VALU_DEP_1)
	v_lshl_or_b32 v48, s15, 1, v1
	s_waitcnt lgkmcnt(0)
	s_cmp_lg_u64 s[4:5], 0
	s_cbranch_scc0 .LBB34_17
; %bb.9:
	s_load_b32 s6, s[0:1], 0x10
	s_mov_b32 s7, 0
                                        ; implicit-def: $vgpr1
	s_waitcnt lgkmcnt(0)
	v_cmp_gt_i32_e32 vcc_lo, s6, v48
	s_mov_b32 s6, 0
	s_and_saveexec_b32 s8, vcc_lo
	s_delay_alu instid0(SALU_CYCLE_1)
	s_xor_b32 s8, exec_lo, s8
	s_cbranch_execz .LBB34_11
; %bb.10:
	v_ashrrev_i32_e32 v49, 31, v48
	s_mov_b32 s6, exec_lo
	s_delay_alu instid0(VALU_DEP_1) | instskip(NEXT) | instid1(VALU_DEP_1)
	v_lshlrev_b64 v[1:2], 2, v[48:49]
	v_add_co_u32 v1, vcc_lo, s4, v1
	s_delay_alu instid0(VALU_DEP_2)
	v_add_co_ci_u32_e32 v2, vcc_lo, s5, v2, vcc_lo
	global_load_b32 v1, v[1:2], off
	s_waitcnt vmcnt(0)
	v_subrev_nc_u32_e32 v1, s12, v1
.LBB34_11:
	s_or_b32 exec_lo, exec_lo, s8
	s_delay_alu instid0(SALU_CYCLE_1)
	s_and_b32 vcc_lo, exec_lo, s7
	s_cbranch_vccz .LBB34_18
.LBB34_12:
	v_cmp_gt_i32_e32 vcc_lo, s2, v48
	s_and_not1_b32 s2, s6, exec_lo
	s_and_b32 s4, vcc_lo, exec_lo
	s_delay_alu instid0(SALU_CYCLE_1) | instskip(NEXT) | instid1(SALU_CYCLE_1)
	s_or_b32 s6, s2, s4
	s_and_b32 exec_lo, exec_lo, s6
	s_cbranch_execnz .LBB34_19
.LBB34_13:
	s_nop 0
	s_sendmsg sendmsg(MSG_DEALLOC_VGPRS)
	s_endpgm
.LBB34_14:
	v_dual_mov_b32 v1, s4 :: v_dual_mov_b32 v2, s5
	flat_load_b32 v65, v[1:2]
	v_cndmask_b32_e64 v1, 0, 1, s6
	v_mov_b32_e32 v66, s5
	s_and_not1_b32 vcc_lo, exec_lo, s6
	s_cbranch_vccnz .LBB34_2
.LBB34_15:
	v_dual_mov_b32 v2, s4 :: v_dual_mov_b32 v3, s5
	flat_load_b32 v66, v[2:3] offset:4
	v_cmp_ne_u32_e32 vcc_lo, 1, v1
	v_mov_b32_e32 v63, s2
	s_cbranch_vccnz .LBB34_3
.LBB34_16:
	v_dual_mov_b32 v2, s2 :: v_dual_mov_b32 v3, s3
	flat_load_b32 v63, v[2:3]
	v_cmp_ne_u32_e32 vcc_lo, 1, v1
	v_mov_b32_e32 v64, s3
	s_cbranch_vccz .LBB34_4
	s_branch .LBB34_5
.LBB34_17:
	s_mov_b32 s6, 0
                                        ; implicit-def: $vgpr1
	s_cbranch_execnz .LBB34_12
.LBB34_18:
	s_delay_alu instid0(VALU_DEP_1)
	v_mov_b32_e32 v48, v1
	s_and_b32 exec_lo, exec_lo, s6
	s_cbranch_execz .LBB34_13
.LBB34_19:
	s_load_b256 s[4:11], s[0:1], 0x20
	s_delay_alu instid0(VALU_DEP_1) | instskip(SKIP_1) | instid1(VALU_DEP_2)
	v_ashrrev_i32_e32 v49, 31, v48
	v_dual_mov_b32 v68, 0 :: v_dual_and_b32 v67, 63, v0
	v_lshlrev_b64 v[1:2], 3, v[48:49]
	s_waitcnt lgkmcnt(0)
	s_delay_alu instid0(VALU_DEP_1) | instskip(NEXT) | instid1(VALU_DEP_2)
	v_add_co_u32 v3, vcc_lo, s4, v1
	v_add_co_ci_u32_e32 v4, vcc_lo, s5, v2, vcc_lo
	v_add_co_u32 v1, vcc_lo, s6, v1
	v_add_co_ci_u32_e32 v2, vcc_lo, s7, v2, vcc_lo
	s_delay_alu instid0(VALU_DEP_4)
	v_add_co_u32 v5, vcc_lo, v3, 8
	global_load_b64 v[55:56], v[3:4], off
	v_add_co_ci_u32_e32 v6, vcc_lo, 0, v4, vcc_lo
	s_cmp_eq_u64 s[6:7], 0
	s_load_b64 s[4:5], s[0:1], 0x40
	s_cselect_b32 vcc_lo, -1, 0
	s_cmp_eq_u32 s3, 1
	v_dual_cndmask_b32 v2, v2, v6 :: v_dual_cndmask_b32 v1, v1, v5
	s_mov_b32 s3, 0
	global_load_b64 v[1:2], v[1:2], off
	s_waitcnt vmcnt(1)
	v_sub_co_u32 v0, vcc_lo, v55, s12
	v_subrev_co_ci_u32_e32 v3, vcc_lo, 0, v56, vcc_lo
	s_delay_alu instid0(VALU_DEP_2) | instskip(NEXT) | instid1(VALU_DEP_2)
	v_add_co_u32 v49, vcc_lo, v0, v67
	v_add_co_ci_u32_e32 v50, vcc_lo, 0, v3, vcc_lo
	s_waitcnt vmcnt(0)
	v_sub_co_u32 v51, vcc_lo, v1, s12
	s_delay_alu instid0(VALU_DEP_2) | instskip(SKIP_1) | instid1(VALU_DEP_2)
	v_lshlrev_b64 v[0:1], 7, v[49:50]
	v_subrev_co_ci_u32_e32 v52, vcc_lo, 0, v2, vcc_lo
	v_add_co_u32 v53, vcc_lo, s10, v0
	s_delay_alu instid0(VALU_DEP_2) | instskip(NEXT) | instid1(VALU_DEP_4)
	v_cmp_lt_i64_e64 s2, v[49:50], v[51:52]
	v_add_co_ci_u32_e32 v54, vcc_lo, s11, v1, vcc_lo
	s_cbranch_scc1 .LBB34_31
; %bb.20:
	v_dual_mov_b32 v74, 0 :: v_dual_mov_b32 v73, 0
	v_dual_mov_b32 v72, 0 :: v_dual_mov_b32 v71, 0
	;; [unrolled: 1-line block ×3, first 2 shown]
	v_mov_b32_e32 v69, 0
	s_and_saveexec_b32 s6, s2
	s_cbranch_execz .LBB34_30
; %bb.21:
	v_or_b32_e32 v0, 64, v67
	v_not_b32_e32 v3, v55
	v_not_b32_e32 v2, v56
	v_mov_b32_e32 v58, v54
	v_mov_b32_e32 v60, v50
	v_sub_co_u32 v0, s7, v0, s12
	s_delay_alu instid0(VALU_DEP_1) | instskip(SKIP_1) | instid1(VALU_DEP_3)
	v_sub_co_ci_u32_e64 v1, null, 0, 0, s7
	v_sub_co_u32 v4, s7, s12, v67
	v_add_co_u32 v0, vcc_lo, v0, v55
	s_delay_alu instid0(VALU_DEP_3) | instskip(SKIP_2) | instid1(VALU_DEP_3)
	v_add_co_ci_u32_e32 v1, vcc_lo, v1, v56, vcc_lo
	v_sub_co_ci_u32_e64 v5, null, 0, 0, s7
	v_dual_mov_b32 v75, 0 :: v_dual_mov_b32 v70, 0
	v_cmp_gt_i64_e32 vcc_lo, v[0:1], v[51:52]
	v_dual_mov_b32 v73, 0 :: v_dual_mov_b32 v72, 0
	v_dual_mov_b32 v74, 0 :: v_dual_mov_b32 v57, v53
	;; [unrolled: 1-line block ×3, first 2 shown]
	v_dual_cndmask_b32 v1, v52, v1 :: v_dual_cndmask_b32 v0, v51, v0
	v_add_co_u32 v3, vcc_lo, v4, v3
	v_add_co_ci_u32_e32 v2, vcc_lo, v5, v2, vcc_lo
	s_mov_b32 s7, exec_lo
	s_delay_alu instid0(VALU_DEP_2) | instskip(NEXT) | instid1(VALU_DEP_2)
	v_add_co_u32 v0, vcc_lo, v3, v0
	v_add_co_ci_u32_e32 v1, vcc_lo, v2, v1, vcc_lo
	s_delay_alu instid0(VALU_DEP_2) | instskip(NEXT) | instid1(VALU_DEP_1)
	v_lshrrev_b32_e32 v2, 6, v0
	v_dual_mov_b32 v69, 0 :: v_dual_add_nc_u32 v2, 1, v2
	s_delay_alu instid0(VALU_DEP_1) | instskip(NEXT) | instid1(VALU_DEP_1)
	v_dual_mov_b32 v71, 0 :: v_dual_and_b32 v2, 3, v2
	v_cmpx_ne_u32_e32 0, v2
	s_cbranch_execz .LBB34_25
; %bb.22:
	v_lshlrev_b64 v[4:5], 2, v[49:50]
	v_dual_mov_b32 v3, 0 :: v_dual_lshlrev_b32 v2, 2, v2
	v_dual_mov_b32 v60, v50 :: v_dual_mov_b32 v59, v49
	v_dual_mov_b32 v58, v54 :: v_dual_mov_b32 v57, v53
	s_delay_alu instid0(VALU_DEP_4)
	v_add_co_u32 v4, vcc_lo, s8, v4
	v_add_co_ci_u32_e32 v5, vcc_lo, s9, v5, vcc_lo
	v_mov_b32_e32 v68, v3
	v_mov_b32_e32 v74, v3
	;; [unrolled: 1-line block ×8, first 2 shown]
	s_mov_b32 s10, 0
.LBB34_23:                              ; =>This Inner Loop Header: Depth=1
	global_load_b32 v38, v[4:5], off
	s_clause 0x7
	global_load_b128 v[6:9], v[57:58], off offset:48
	global_load_b128 v[10:13], v[57:58], off offset:32
	;; [unrolled: 1-line block ×3, first 2 shown]
	global_load_b128 v[18:21], v[57:58], off
	global_load_b128 v[22:25], v[57:58], off offset:112
	global_load_b128 v[26:29], v[57:58], off offset:96
	;; [unrolled: 1-line block ×4, first 2 shown]
	s_waitcnt vmcnt(8)
	v_subrev_nc_u32_e32 v38, s12, v38
	s_delay_alu instid0(VALU_DEP_1) | instskip(NEXT) | instid1(VALU_DEP_1)
	v_lshlrev_b32_e32 v38, 2, v38
	v_ashrrev_i32_e32 v39, 31, v38
	s_delay_alu instid0(VALU_DEP_1) | instskip(SKIP_1) | instid1(VALU_DEP_1)
	v_lshlrev_b64 v[38:39], 3, v[38:39]
	s_waitcnt lgkmcnt(0)
	v_add_co_u32 v42, vcc_lo, s4, v38
	s_delay_alu instid0(VALU_DEP_2)
	v_add_co_ci_u32_e32 v43, vcc_lo, s5, v39, vcc_lo
	v_add_co_u32 v57, vcc_lo, 0x2000, v57
	v_add_co_ci_u32_e32 v58, vcc_lo, 0, v58, vcc_lo
	s_clause 0x1
	global_load_b128 v[38:41], v[42:43], off
	global_load_b128 v[42:45], v[42:43], off offset:16
	v_add_co_u32 v59, vcc_lo, v59, 64
	v_add_co_ci_u32_e32 v60, vcc_lo, 0, v60, vcc_lo
	v_add_co_u32 v2, vcc_lo, v2, -4
	v_add_co_ci_u32_e32 v3, vcc_lo, -1, v3, vcc_lo
	v_add_co_u32 v4, vcc_lo, 0x100, v4
	v_add_co_ci_u32_e32 v5, vcc_lo, 0, v5, vcc_lo
	s_delay_alu instid0(VALU_DEP_3)
	v_cmp_eq_u64_e32 vcc_lo, 0, v[2:3]
	s_or_b32 s10, vcc_lo, s10
	s_waitcnt vmcnt(1)
	v_fmac_f32_e32 v70, v27, v38
	v_fmac_f32_e32 v71, v35, v38
	;; [unrolled: 1-line block ×4, first 2 shown]
	s_delay_alu instid0(VALU_DEP_4) | instskip(NEXT) | instid1(VALU_DEP_4)
	v_fmac_f32_e32 v70, v26, v39
	v_dual_fmac_f32 v68, v19, v38 :: v_dual_fmac_f32 v71, v34, v39
	v_fmac_f32_e32 v69, v11, v38
	v_fma_f32 v19, -v19, v39, v74
	s_delay_alu instid0(VALU_DEP_3) | instskip(SKIP_1) | instid1(VALU_DEP_4)
	v_fmac_f32_e32 v68, v18, v39
	v_fmac_f32_e32 v75, v10, v38
	v_fmac_f32_e32 v69, v10, v39
	v_fma_f32 v10, -v35, v39, v73
	v_fmac_f32_e32 v19, v20, v40
	v_fmac_f32_e32 v68, v21, v40
	v_fma_f32 v11, -v11, v39, v75
	v_dual_fmac_f32 v72, v26, v38 :: v_dual_fmac_f32 v69, v13, v40
	v_fmac_f32_e32 v10, v36, v40
	s_delay_alu instid0(VALU_DEP_4) | instskip(NEXT) | instid1(VALU_DEP_4)
	v_dual_fmac_f32 v71, v37, v40 :: v_dual_fmac_f32 v68, v20, v41
	v_fmac_f32_e32 v11, v12, v40
	s_delay_alu instid0(VALU_DEP_4) | instskip(SKIP_2) | instid1(VALU_DEP_4)
	v_fma_f32 v18, -v27, v39, v72
	v_dual_fmac_f32 v70, v29, v40 :: v_dual_fmac_f32 v69, v12, v41
	v_fma_f32 v19, -v21, v41, v19
	v_fma_f32 v11, -v13, v41, v11
	s_delay_alu instid0(VALU_DEP_4)
	v_fmac_f32_e32 v18, v28, v40
	v_fma_f32 v10, -v37, v41, v10
	s_waitcnt vmcnt(0)
	v_dual_fmac_f32 v71, v36, v41 :: v_dual_fmac_f32 v68, v15, v42
	v_dual_fmac_f32 v70, v28, v41 :: v_dual_fmac_f32 v11, v6, v42
	v_fmac_f32_e32 v19, v14, v42
	v_fma_f32 v12, -v29, v41, v18
	s_delay_alu instid0(VALU_DEP_4) | instskip(NEXT) | instid1(VALU_DEP_4)
	v_dual_fmac_f32 v69, v7, v42 :: v_dual_fmac_f32 v68, v14, v43
	v_fmac_f32_e32 v70, v23, v42
	s_delay_alu instid0(VALU_DEP_4)
	v_fma_f32 v13, -v15, v43, v19
	v_fmac_f32_e32 v10, v30, v42
	v_fma_f32 v7, -v7, v43, v11
	v_fmac_f32_e32 v12, v22, v42
	v_fmac_f32_e32 v69, v6, v43
	v_dual_fmac_f32 v71, v31, v42 :: v_dual_fmac_f32 v70, v22, v43
	v_fmac_f32_e32 v13, v16, v44
	v_fma_f32 v6, -v31, v43, v10
	s_delay_alu instid0(VALU_DEP_3) | instskip(SKIP_2) | instid1(VALU_DEP_3)
	v_dual_fmac_f32 v68, v17, v44 :: v_dual_fmac_f32 v71, v30, v43
	v_fmac_f32_e32 v7, v8, v44
	v_fma_f32 v10, -v23, v43, v12
	v_dual_fmac_f32 v69, v9, v44 :: v_dual_fmac_f32 v68, v16, v45
	v_fmac_f32_e32 v6, v32, v44
	v_fmac_f32_e32 v70, v25, v44
	s_delay_alu instid0(VALU_DEP_4) | instskip(NEXT) | instid1(VALU_DEP_4)
	v_fmac_f32_e32 v10, v24, v44
	v_fmac_f32_e32 v69, v8, v45
	;; [unrolled: 1-line block ×3, first 2 shown]
	v_fma_f32 v74, -v17, v45, v13
	v_fmac_f32_e32 v70, v24, v45
	v_fma_f32 v75, -v9, v45, v7
	v_fma_f32 v73, -v33, v45, v6
	v_fmac_f32_e32 v71, v32, v45
	v_fma_f32 v72, -v25, v45, v10
	s_and_not1_b32 exec_lo, exec_lo, s10
	s_cbranch_execnz .LBB34_23
; %bb.24:
	s_or_b32 exec_lo, exec_lo, s10
.LBB34_25:
	s_delay_alu instid0(SALU_CYCLE_1) | instskip(NEXT) | instid1(SALU_CYCLE_1)
	s_or_b32 exec_lo, exec_lo, s7
	s_mov_b32 s7, exec_lo
	v_cmpx_lt_u64_e32 0xbf, v[0:1]
	s_cbranch_execz .LBB34_29
; %bb.26:
	v_lshlrev_b64 v[0:1], 2, v[59:60]
	s_mov_b32 s10, 0
	s_delay_alu instid0(VALU_DEP_1) | instskip(NEXT) | instid1(VALU_DEP_2)
	v_add_co_u32 v0, vcc_lo, v0, s8
	v_add_co_ci_u32_e32 v1, vcc_lo, s9, v1, vcc_lo
	s_delay_alu instid0(VALU_DEP_2) | instskip(NEXT) | instid1(VALU_DEP_2)
	v_add_co_u32 v61, vcc_lo, 0x200, v0
	v_add_co_ci_u32_e32 v62, vcc_lo, 0, v1, vcc_lo
.LBB34_27:                              ; =>This Inner Loop Header: Depth=1
	s_clause 0x3
	global_load_b32 v76, v[61:62], off offset:-512
	global_load_b32 v153, v[61:62], off offset:-256
	global_load_b32 v154, v[61:62], off
	global_load_b32 v155, v[61:62], off offset:256
	s_clause 0x7
	global_load_b128 v[77:80], v[57:58], off offset:48
	global_load_b128 v[81:84], v[57:58], off offset:32
	;; [unrolled: 1-line block ×3, first 2 shown]
	global_load_b128 v[89:92], v[57:58], off
	global_load_b128 v[93:96], v[57:58], off offset:112
	global_load_b128 v[97:100], v[57:58], off offset:96
	;; [unrolled: 1-line block ×4, first 2 shown]
	v_add_co_u32 v0, vcc_lo, 0x2000, v57
	v_add_co_ci_u32_e32 v1, vcc_lo, 0, v58, vcc_lo
	v_add_co_u32 v4, vcc_lo, 0x4000, v57
	v_add_co_ci_u32_e32 v5, vcc_lo, 0, v58, vcc_lo
	v_add_co_u32 v173, vcc_lo, 0x6000, v57
	v_add_co_ci_u32_e32 v174, vcc_lo, 0, v58, vcc_lo
	s_clause 0x16
	global_load_b128 v[36:39], v[0:1], off offset:48
	global_load_b128 v[109:112], v[0:1], off offset:32
	global_load_b128 v[113:116], v[0:1], off
	global_load_b128 v[117:120], v[0:1], off offset:16
	global_load_b128 v[40:43], v[0:1], off offset:112
	;; [unrolled: 1-line block ×7, first 2 shown]
	global_load_b128 v[24:27], v[4:5], off
	global_load_b128 v[8:11], v[4:5], off offset:16
	global_load_b128 v[12:15], v[4:5], off offset:112
	;; [unrolled: 1-line block ×5, first 2 shown]
	global_load_b128 v[16:19], v[173:174], off
	global_load_b128 v[4:7], v[173:174], off offset:48
	global_load_b128 v[32:35], v[173:174], off offset:32
	;; [unrolled: 1-line block ×6, first 2 shown]
	s_waitcnt vmcnt(34)
	v_subrev_nc_u32_e32 v76, s12, v76
	s_waitcnt vmcnt(33)
	v_subrev_nc_u32_e32 v156, s12, v153
	;; [unrolled: 2-line block ×4, first 2 shown]
	v_lshlrev_b32_e32 v153, 2, v76
	v_lshlrev_b32_e32 v155, 2, v156
	;; [unrolled: 1-line block ×3, first 2 shown]
	s_delay_alu instid0(VALU_DEP_4) | instskip(NEXT) | instid1(VALU_DEP_4)
	v_lshlrev_b32_e32 v159, 2, v158
	v_ashrrev_i32_e32 v154, 31, v153
	s_delay_alu instid0(VALU_DEP_4) | instskip(NEXT) | instid1(VALU_DEP_4)
	v_ashrrev_i32_e32 v156, 31, v155
	v_ashrrev_i32_e32 v158, 31, v157
	s_delay_alu instid0(VALU_DEP_4) | instskip(NEXT) | instid1(VALU_DEP_4)
	v_ashrrev_i32_e32 v160, 31, v159
	v_lshlrev_b64 v[153:154], 3, v[153:154]
	s_delay_alu instid0(VALU_DEP_4) | instskip(NEXT) | instid1(VALU_DEP_4)
	v_lshlrev_b64 v[155:156], 3, v[155:156]
	v_lshlrev_b64 v[157:158], 3, v[157:158]
	s_delay_alu instid0(VALU_DEP_4) | instskip(SKIP_1) | instid1(VALU_DEP_4)
	v_lshlrev_b64 v[159:160], 3, v[159:160]
	s_waitcnt lgkmcnt(0)
	v_add_co_u32 v161, vcc_lo, s4, v153
	v_add_co_ci_u32_e32 v162, vcc_lo, s5, v154, vcc_lo
	v_add_co_u32 v165, vcc_lo, s4, v155
	v_add_co_ci_u32_e32 v166, vcc_lo, s5, v156, vcc_lo
	;; [unrolled: 2-line block ×4, first 2 shown]
	s_clause 0x3
	global_load_b128 v[153:156], v[161:162], off
	global_load_b128 v[157:160], v[161:162], off offset:16
	global_load_b128 v[161:164], v[165:166], off
	global_load_b128 v[165:168], v[165:166], off offset:16
	v_add_co_u32 v59, vcc_lo, 0x100, v59
	v_add_co_ci_u32_e32 v60, vcc_lo, 0, v60, vcc_lo
	v_add_co_u32 v61, vcc_lo, 0x400, v61
	v_add_co_ci_u32_e32 v62, vcc_lo, 0, v62, vcc_lo
	;; [unrolled: 2-line block ×3, first 2 shown]
	v_cmp_ge_i64_e32 vcc_lo, v[59:60], v[51:52]
	s_or_b32 s10, vcc_lo, s10
	s_waitcnt vmcnt(3)
	v_fmac_f32_e32 v74, v89, v153
	v_fmac_f32_e32 v68, v90, v153
	;; [unrolled: 1-line block ×5, first 2 shown]
	v_fma_f32 v74, -v90, v154, v74
	v_fmac_f32_e32 v68, v89, v154
	v_fmac_f32_e32 v70, v98, v153
	;; [unrolled: 1-line block ×3, first 2 shown]
	v_fma_f32 v72, -v98, v154, v72
	v_fmac_f32_e32 v74, v91, v155
	v_dual_fmac_f32 v68, v92, v155 :: v_dual_fmac_f32 v73, v105, v153
	v_fmac_f32_e32 v70, v97, v154
	s_delay_alu instid0(VALU_DEP_4) | instskip(NEXT) | instid1(VALU_DEP_4)
	v_fmac_f32_e32 v72, v99, v155
	v_fma_f32 v177, -v92, v156, v74
	s_delay_alu instid0(VALU_DEP_4)
	v_fmac_f32_e32 v68, v91, v156
	s_clause 0x1
	global_load_b128 v[89:92], v[169:170], off
	global_load_b128 v[169:172], v[169:170], off offset:16
	v_fma_f32 v74, -v82, v154, v75
	v_fmac_f32_e32 v69, v81, v154
	v_fma_f32 v73, -v106, v154, v73
	v_dual_fmac_f32 v71, v105, v154 :: v_dual_fmac_f32 v70, v100, v155
	s_delay_alu instid0(VALU_DEP_4) | instskip(NEXT) | instid1(VALU_DEP_4)
	v_fmac_f32_e32 v74, v83, v155
	v_fmac_f32_e32 v69, v84, v155
	s_waitcnt vmcnt(4)
	v_dual_fmac_f32 v73, v107, v155 :: v_dual_fmac_f32 v68, v86, v157
	v_dual_fmac_f32 v71, v108, v155 :: v_dual_fmac_f32 v70, v99, v156
	v_fma_f32 v178, -v84, v156, v74
	v_fmac_f32_e32 v69, v83, v156
	global_load_b128 v[81:84], v[175:176], off
	v_fma_f32 v179, -v108, v156, v73
	v_dual_fmac_f32 v71, v107, v156 :: v_dual_fmac_f32 v178, v77, v157
	global_load_b128 v[73:76], v[173:174], off offset:16
	global_load_b128 v[105:108], v[175:176], off offset:16
	v_fmac_f32_e32 v177, v85, v157
	v_dual_fmac_f32 v69, v78, v157 :: v_dual_fmac_f32 v68, v85, v158
	v_fma_f32 v72, -v100, v156, v72
	v_fmac_f32_e32 v70, v94, v157
	v_fmac_f32_e32 v179, v101, v157
	v_fma_f32 v86, -v86, v158, v177
	v_dual_fmac_f32 v68, v88, v159 :: v_dual_fmac_f32 v69, v77, v158
	s_delay_alu instid0(VALU_DEP_4) | instskip(SKIP_2) | instid1(VALU_DEP_4)
	v_dual_fmac_f32 v71, v102, v157 :: v_dual_fmac_f32 v70, v93, v158
	v_fmac_f32_e32 v72, v93, v157
	v_fma_f32 v78, -v78, v158, v178
	v_fmac_f32_e32 v69, v80, v159
	v_fma_f32 v77, -v102, v158, v179
	v_dual_fmac_f32 v71, v101, v158 :: v_dual_fmac_f32 v86, v87, v159
	s_delay_alu instid0(VALU_DEP_4) | instskip(SKIP_2) | instid1(VALU_DEP_4)
	v_fmac_f32_e32 v78, v79, v159
	v_fma_f32 v72, -v94, v158, v72
	v_dual_fmac_f32 v70, v96, v159 :: v_dual_fmac_f32 v69, v79, v160
	v_dual_fmac_f32 v71, v104, v159 :: v_dual_fmac_f32 v68, v87, v160
	v_fmac_f32_e32 v77, v103, v159
	v_fma_f32 v85, -v88, v160, v86
	s_waitcnt vmcnt(6)
	v_dual_fmac_f32 v70, v95, v160 :: v_dual_fmac_f32 v69, v110, v161
	v_fmac_f32_e32 v72, v95, v159
	v_fma_f32 v78, -v80, v160, v78
	v_fmac_f32_e32 v85, v113, v161
	v_dual_fmac_f32 v71, v103, v160 :: v_dual_fmac_f32 v68, v114, v161
	v_fma_f32 v77, -v104, v160, v77
	s_delay_alu instid0(VALU_DEP_4)
	v_fmac_f32_e32 v78, v109, v161
	v_dual_fmac_f32 v70, v122, v161 :: v_dual_fmac_f32 v69, v109, v162
	v_fma_f32 v72, -v96, v160, v72
	v_dual_fmac_f32 v71, v130, v161 :: v_dual_fmac_f32 v68, v113, v162
	v_fmac_f32_e32 v77, v129, v161
	v_fma_f32 v79, -v114, v162, v85
	v_dual_fmac_f32 v70, v121, v162 :: v_dual_fmac_f32 v69, v112, v163
	v_fmac_f32_e32 v72, v121, v161
	v_fma_f32 v78, -v110, v162, v78
	s_delay_alu instid0(VALU_DEP_4) | instskip(SKIP_2) | instid1(VALU_DEP_4)
	v_fmac_f32_e32 v79, v115, v163
	v_dual_fmac_f32 v71, v129, v162 :: v_dual_fmac_f32 v68, v116, v163
	v_fma_f32 v77, -v130, v162, v77
	v_fmac_f32_e32 v78, v111, v163
	v_dual_fmac_f32 v70, v124, v163 :: v_dual_fmac_f32 v69, v111, v164
	v_fma_f32 v72, -v122, v162, v72
	v_dual_fmac_f32 v71, v132, v163 :: v_dual_fmac_f32 v68, v115, v164
	v_fmac_f32_e32 v77, v131, v163
	v_fma_f32 v79, -v116, v164, v79
	s_waitcnt vmcnt(5)
	v_dual_fmac_f32 v70, v123, v164 :: v_dual_fmac_f32 v69, v37, v165
	v_fmac_f32_e32 v72, v123, v163
	v_fmac_f32_e32 v68, v118, v165
	;; [unrolled: 1-line block ×3, first 2 shown]
	v_fma_f32 v77, -v132, v164, v77
	v_dual_fmac_f32 v70, v41, v165 :: v_dual_fmac_f32 v69, v36, v166
	v_fma_f32 v78, -v112, v164, v78
	s_delay_alu instid0(VALU_DEP_4) | instskip(NEXT) | instid1(VALU_DEP_3)
	v_fma_f32 v79, -v118, v166, v79
	v_dual_fmac_f32 v77, v125, v165 :: v_dual_fmac_f32 v70, v40, v166
	s_delay_alu instid0(VALU_DEP_3) | instskip(SKIP_2) | instid1(VALU_DEP_4)
	v_dual_fmac_f32 v71, v131, v164 :: v_dual_fmac_f32 v78, v36, v165
	v_fma_f32 v72, -v124, v164, v72
	v_fmac_f32_e32 v68, v117, v166
	v_fmac_f32_e32 v70, v43, v167
	;; [unrolled: 1-line block ×5, first 2 shown]
	v_fma_f32 v37, -v37, v166, v78
	v_fmac_f32_e32 v70, v42, v168
	v_fma_f32 v40, -v120, v168, v79
	v_fmac_f32_e32 v71, v125, v166
	v_fmac_f32_e32 v69, v39, v167
	v_fma_f32 v36, -v126, v166, v77
	v_fma_f32 v41, -v41, v166, v72
	s_waitcnt vmcnt(4)
	v_fmac_f32_e32 v40, v24, v89
	v_dual_fmac_f32 v68, v120, v167 :: v_dual_fmac_f32 v69, v38, v168
	s_delay_alu instid0(VALU_DEP_1) | instskip(SKIP_1) | instid1(VALU_DEP_2)
	v_dual_fmac_f32 v37, v38, v167 :: v_dual_fmac_f32 v68, v119, v168
	v_fmac_f32_e32 v71, v128, v167
	v_fma_f32 v37, -v39, v168, v37
	s_delay_alu instid0(VALU_DEP_4) | instskip(NEXT) | instid1(VALU_DEP_4)
	v_dual_fmac_f32 v36, v127, v167 :: v_dual_fmac_f32 v69, v21, v89
	v_fmac_f32_e32 v68, v25, v89
	v_fmac_f32_e32 v70, v45, v89
	s_delay_alu instid0(VALU_DEP_4) | instskip(NEXT) | instid1(VALU_DEP_4)
	v_fmac_f32_e32 v37, v20, v89
	v_fma_f32 v36, -v128, v168, v36
	v_fmac_f32_e32 v69, v20, v90
	v_fmac_f32_e32 v41, v42, v167
	v_fma_f32 v25, -v25, v90, v40
	v_fmac_f32_e32 v68, v24, v90
	v_fmac_f32_e32 v36, v133, v89
	;; [unrolled: 1-line block ×3, first 2 shown]
	v_fma_f32 v38, -v43, v168, v41
	v_fmac_f32_e32 v25, v26, v91
	v_fmac_f32_e32 v71, v127, v168
	v_fma_f32 v20, -v134, v90, v36
	v_fmac_f32_e32 v68, v27, v91
	v_dual_fmac_f32 v38, v44, v89 :: v_dual_fmac_f32 v69, v23, v91
	s_delay_alu instid0(VALU_DEP_4) | instskip(SKIP_2) | instid1(VALU_DEP_4)
	v_fmac_f32_e32 v71, v134, v89
	v_fma_f32 v25, -v27, v92, v25
	v_fma_f32 v21, -v21, v90, v37
	;; [unrolled: 1-line block ×3, first 2 shown]
	s_delay_alu instid0(VALU_DEP_4)
	v_dual_fmac_f32 v70, v47, v91 :: v_dual_fmac_f32 v71, v133, v90
	v_fmac_f32_e32 v68, v26, v92
	v_dual_fmac_f32 v20, v135, v91 :: v_dual_fmac_f32 v69, v22, v92
	s_waitcnt vmcnt(3)
	v_fmac_f32_e32 v25, v8, v169
	v_dual_fmac_f32 v71, v136, v91 :: v_dual_fmac_f32 v70, v46, v92
	v_dual_fmac_f32 v21, v22, v91 :: v_dual_fmac_f32 v68, v9, v169
	s_delay_alu instid0(VALU_DEP_2) | instskip(SKIP_1) | instid1(VALU_DEP_3)
	v_dual_fmac_f32 v24, v46, v91 :: v_dual_fmac_f32 v71, v135, v92
	v_fma_f32 v20, -v136, v92, v20
	v_dual_fmac_f32 v69, v1, v169 :: v_dual_fmac_f32 v68, v8, v170
	s_delay_alu instid0(VALU_DEP_4) | instskip(SKIP_2) | instid1(VALU_DEP_4)
	v_fma_f32 v21, -v23, v92, v21
	v_fmac_f32_e32 v70, v13, v169
	v_fma_f32 v9, -v9, v170, v25
	v_fmac_f32_e32 v69, v0, v170
	v_fmac_f32_e32 v20, v28, v169
	s_delay_alu instid0(VALU_DEP_4)
	v_dual_fmac_f32 v71, v29, v169 :: v_dual_fmac_f32 v70, v12, v170
	v_fma_f32 v22, -v47, v92, v24
	v_dual_fmac_f32 v21, v0, v169 :: v_dual_fmac_f32 v68, v11, v171
	v_fmac_f32_e32 v9, v10, v171
	v_fma_f32 v0, -v29, v170, v20
	v_fmac_f32_e32 v71, v28, v170
	s_delay_alu instid0(VALU_DEP_4) | instskip(SKIP_3) | instid1(VALU_DEP_4)
	v_dual_fmac_f32 v69, v3, v171 :: v_dual_fmac_f32 v68, v10, v172
	v_fma_f32 v1, -v1, v170, v21
	v_fmac_f32_e32 v22, v12, v169
	v_fmac_f32_e32 v0, v30, v171
	v_dual_fmac_f32 v70, v15, v171 :: v_dual_fmac_f32 v69, v2, v172
	v_fmac_f32_e32 v71, v31, v171
	v_fmac_f32_e32 v1, v2, v171
	v_fma_f32 v8, -v13, v170, v22
	s_delay_alu instid0(VALU_DEP_4)
	v_fmac_f32_e32 v70, v14, v172
	s_waitcnt vmcnt(2)
	v_dual_fmac_f32 v68, v17, v81 :: v_dual_fmac_f32 v71, v30, v172
	v_fma_f32 v9, -v11, v172, v9
	v_fmac_f32_e32 v8, v14, v171
	v_fma_f32 v1, -v3, v172, v1
	v_fma_f32 v0, -v31, v172, v0
	v_dual_fmac_f32 v69, v33, v81 :: v_dual_fmac_f32 v68, v16, v82
	v_fmac_f32_e32 v71, v150, v81
	v_fmac_f32_e32 v9, v16, v81
	v_fma_f32 v2, -v15, v172, v8
	s_delay_alu instid0(VALU_DEP_4)
	v_dual_fmac_f32 v0, v149, v81 :: v_dual_fmac_f32 v69, v32, v82
	v_fmac_f32_e32 v68, v19, v83
	v_dual_fmac_f32 v70, v142, v81 :: v_dual_fmac_f32 v71, v149, v82
	v_fmac_f32_e32 v1, v32, v81
	v_fma_f32 v3, -v17, v82, v9
	v_fmac_f32_e32 v2, v141, v81
	s_delay_alu instid0(VALU_DEP_4)
	v_dual_fmac_f32 v70, v141, v82 :: v_dual_fmac_f32 v69, v35, v83
	v_fmac_f32_e32 v68, v18, v84
	v_fma_f32 v1, -v33, v82, v1
	v_fmac_f32_e32 v71, v152, v83
	v_fma_f32 v0, -v150, v82, v0
	v_fmac_f32_e32 v3, v18, v83
	s_waitcnt vmcnt(0)
	v_fmac_f32_e32 v68, v74, v105
	v_fma_f32 v2, -v142, v82, v2
	v_dual_fmac_f32 v70, v144, v83 :: v_dual_fmac_f32 v71, v151, v84
	v_fmac_f32_e32 v1, v34, v83
	v_dual_fmac_f32 v0, v151, v83 :: v_dual_fmac_f32 v69, v34, v84
	v_fma_f32 v3, -v19, v84, v3
	v_fmac_f32_e32 v2, v143, v83
	v_fmac_f32_e32 v70, v143, v84
	v_fma_f32 v1, -v35, v84, v1
	v_fma_f32 v0, -v152, v84, v0
	v_fmac_f32_e32 v3, v73, v105
	v_fma_f32 v2, -v144, v84, v2
	s_delay_alu instid0(VALU_DEP_4)
	v_dual_fmac_f32 v68, v73, v106 :: v_dual_fmac_f32 v1, v4, v105
	v_fmac_f32_e32 v69, v5, v105
	v_fmac_f32_e32 v70, v138, v105
	;; [unrolled: 1-line block ×3, first 2 shown]
	v_fma_f32 v3, -v74, v106, v3
	v_fmac_f32_e32 v2, v137, v105
	v_fmac_f32_e32 v68, v76, v107
	v_dual_fmac_f32 v0, v145, v105 :: v_dual_fmac_f32 v69, v4, v106
	v_fma_f32 v1, -v5, v106, v1
	v_fmac_f32_e32 v70, v137, v106
	v_fmac_f32_e32 v71, v145, v106
	s_delay_alu instid0(VALU_DEP_4)
	v_fma_f32 v0, -v146, v106, v0
	v_fmac_f32_e32 v3, v75, v107
	v_fma_f32 v2, -v138, v106, v2
	v_dual_fmac_f32 v1, v6, v107 :: v_dual_fmac_f32 v68, v75, v108
	v_fmac_f32_e32 v69, v7, v107
	v_fmac_f32_e32 v0, v147, v107
	s_delay_alu instid0(VALU_DEP_4)
	v_fmac_f32_e32 v2, v139, v107
	v_fmac_f32_e32 v70, v140, v107
	v_fmac_f32_e32 v71, v148, v107
	v_fma_f32 v74, -v76, v108, v3
	v_fma_f32 v75, -v7, v108, v1
	v_fmac_f32_e32 v69, v6, v108
	v_fmac_f32_e32 v70, v139, v108
	v_fma_f32 v73, -v148, v108, v0
	v_fmac_f32_e32 v71, v147, v108
	v_fma_f32 v72, -v140, v108, v2
	s_and_not1_b32 exec_lo, exec_lo, s10
	s_cbranch_execnz .LBB34_27
; %bb.28:
	s_or_b32 exec_lo, exec_lo, s10
.LBB34_29:
	s_delay_alu instid0(SALU_CYCLE_1)
	s_or_b32 exec_lo, exec_lo, s7
.LBB34_30:
	s_delay_alu instid0(SALU_CYCLE_1) | instskip(NEXT) | instid1(SALU_CYCLE_1)
	s_or_b32 exec_lo, exec_lo, s6
	s_and_not1_b32 vcc_lo, exec_lo, s3
	s_cbranch_vccz .LBB34_32
	s_branch .LBB34_43
.LBB34_31:
                                        ; implicit-def: $vgpr68
                                        ; implicit-def: $vgpr74
                                        ; implicit-def: $vgpr72
                                        ; implicit-def: $vgpr70
                                        ; implicit-def: $vgpr73
                                        ; implicit-def: $vgpr71
                                        ; implicit-def: $vgpr75
                                        ; implicit-def: $vgpr69
.LBB34_32:
	v_dual_mov_b32 v68, 0 :: v_dual_mov_b32 v73, 0
	v_dual_mov_b32 v74, 0 :: v_dual_mov_b32 v71, 0
	;; [unrolled: 1-line block ×4, first 2 shown]
	s_and_saveexec_b32 s3, s2
	s_cbranch_execz .LBB34_42
; %bb.33:
	v_or_b32_e32 v0, 64, v67
	v_not_b32_e32 v3, v55
	v_not_b32_e32 v2, v56
	v_dual_mov_b32 v71, 0 :: v_dual_mov_b32 v70, 0
	s_delay_alu instid0(VALU_DEP_4) | instskip(NEXT) | instid1(VALU_DEP_1)
	v_sub_co_u32 v0, s2, v0, s12
	v_sub_co_ci_u32_e64 v1, null, 0, 0, s2
	v_sub_co_u32 v4, s2, s12, v67
	s_delay_alu instid0(VALU_DEP_3) | instskip(NEXT) | instid1(VALU_DEP_3)
	v_add_co_u32 v0, vcc_lo, v0, v55
	v_add_co_ci_u32_e32 v1, vcc_lo, v1, v56, vcc_lo
	v_sub_co_ci_u32_e64 v5, null, 0, 0, s2
	v_dual_mov_b32 v73, 0 :: v_dual_mov_b32 v72, 0
	s_delay_alu instid0(VALU_DEP_3)
	v_cmp_gt_i64_e32 vcc_lo, v[0:1], v[51:52]
	v_mov_b32_e32 v74, 0
	v_mov_b32_e32 v68, 0
	s_mov_b32 s2, exec_lo
	v_mov_b32_e32 v69, 0
	v_dual_cndmask_b32 v1, v52, v1 :: v_dual_cndmask_b32 v0, v51, v0
	v_add_co_u32 v3, vcc_lo, v4, v3
	v_add_co_ci_u32_e32 v2, vcc_lo, v5, v2, vcc_lo
	s_delay_alu instid0(VALU_DEP_2) | instskip(NEXT) | instid1(VALU_DEP_2)
	v_add_co_u32 v0, vcc_lo, v3, v0
	v_add_co_ci_u32_e32 v1, vcc_lo, v2, v1, vcc_lo
	s_delay_alu instid0(VALU_DEP_2) | instskip(NEXT) | instid1(VALU_DEP_1)
	v_lshrrev_b32_e32 v2, 6, v0
	v_dual_mov_b32 v75, 0 :: v_dual_add_nc_u32 v2, 1, v2
	s_delay_alu instid0(VALU_DEP_1) | instskip(NEXT) | instid1(VALU_DEP_1)
	v_and_b32_e32 v2, 3, v2
	v_cmpx_ne_u32_e32 0, v2
	s_cbranch_execz .LBB34_37
; %bb.34:
	v_lshlrev_b64 v[4:5], 2, v[49:50]
	v_dual_mov_b32 v3, 0 :: v_dual_lshlrev_b32 v2, 2, v2
	s_mov_b32 s6, 0
	s_delay_alu instid0(VALU_DEP_1) | instskip(NEXT) | instid1(VALU_DEP_3)
	v_mov_b32_e32 v68, v3
	v_add_co_u32 v4, vcc_lo, s8, v4
	s_delay_alu instid0(VALU_DEP_4)
	v_add_co_ci_u32_e32 v5, vcc_lo, s9, v5, vcc_lo
	v_mov_b32_e32 v74, v3
	v_mov_b32_e32 v72, v3
	;; [unrolled: 1-line block ×7, first 2 shown]
.LBB34_35:                              ; =>This Inner Loop Header: Depth=1
	global_load_b32 v18, v[4:5], off
	s_clause 0x2
	global_load_b128 v[6:9], v[53:54], off offset:32
	global_load_b128 v[10:13], v[53:54], off offset:16
	global_load_b128 v[14:17], v[53:54], off
	s_waitcnt vmcnt(3)
	v_subrev_nc_u32_e32 v18, s12, v18
	s_delay_alu instid0(VALU_DEP_1) | instskip(NEXT) | instid1(VALU_DEP_1)
	v_lshlrev_b32_e32 v18, 2, v18
	v_ashrrev_i32_e32 v19, 31, v18
	s_delay_alu instid0(VALU_DEP_1) | instskip(SKIP_1) | instid1(VALU_DEP_1)
	v_lshlrev_b64 v[18:19], 3, v[18:19]
	s_waitcnt lgkmcnt(0)
	v_add_co_u32 v22, vcc_lo, s4, v18
	s_delay_alu instid0(VALU_DEP_2)
	v_add_co_ci_u32_e32 v23, vcc_lo, s5, v19, vcc_lo
	s_clause 0x1
	global_load_b128 v[18:21], v[22:23], off
	global_load_b128 v[22:25], v[22:23], off offset:16
	s_clause 0x4
	global_load_b128 v[26:29], v[53:54], off offset:48
	global_load_b128 v[30:33], v[53:54], off offset:64
	global_load_b128 v[34:37], v[53:54], off offset:80
	global_load_b128 v[38:41], v[53:54], off offset:96
	global_load_b128 v[42:45], v[53:54], off offset:112
	v_add_co_u32 v53, vcc_lo, 0x2000, v53
	v_add_co_ci_u32_e32 v54, vcc_lo, 0, v54, vcc_lo
	v_add_co_u32 v49, vcc_lo, v49, 64
	v_add_co_ci_u32_e32 v50, vcc_lo, 0, v50, vcc_lo
	v_add_co_u32 v2, vcc_lo, v2, -4
	v_add_co_ci_u32_e32 v3, vcc_lo, -1, v3, vcc_lo
	v_add_co_u32 v4, vcc_lo, 0x100, v4
	v_add_co_ci_u32_e32 v5, vcc_lo, 0, v5, vcc_lo
	s_delay_alu instid0(VALU_DEP_3) | instskip(SKIP_3) | instid1(VALU_DEP_1)
	v_cmp_eq_u64_e32 vcc_lo, 0, v[2:3]
	s_or_b32 s6, vcc_lo, s6
	s_waitcnt vmcnt(6)
	v_fmac_f32_e32 v71, v11, v18
	v_dual_fmac_f32 v68, v15, v18 :: v_dual_fmac_f32 v71, v10, v19
	s_delay_alu instid0(VALU_DEP_1) | instskip(NEXT) | instid1(VALU_DEP_1)
	v_dual_fmac_f32 v75, v16, v18 :: v_dual_fmac_f32 v68, v14, v19
	v_dual_fmac_f32 v73, v10, v18 :: v_dual_fmac_f32 v68, v7, v20
	s_delay_alu instid0(VALU_DEP_1) | instskip(SKIP_2) | instid1(VALU_DEP_3)
	v_fma_f32 v11, -v11, v19, v73
	s_waitcnt vmcnt(4)
	v_dual_fmac_f32 v70, v13, v18 :: v_dual_fmac_f32 v71, v27, v20
	v_fmac_f32_e32 v68, v6, v21
	s_delay_alu instid0(VALU_DEP_3) | instskip(NEXT) | instid1(VALU_DEP_3)
	v_fmac_f32_e32 v11, v26, v20
	v_dual_fmac_f32 v69, v17, v18 :: v_dual_fmac_f32 v70, v12, v19
	s_delay_alu instid0(VALU_DEP_4) | instskip(NEXT) | instid1(VALU_DEP_2)
	v_fmac_f32_e32 v71, v26, v21
	v_dual_fmac_f32 v69, v16, v19 :: v_dual_fmac_f32 v74, v14, v18
	v_fma_f32 v14, -v17, v19, v75
	s_delay_alu instid0(VALU_DEP_2) | instskip(NEXT) | instid1(VALU_DEP_3)
	v_fmac_f32_e32 v69, v9, v20
	v_fma_f32 v15, -v15, v19, v74
	v_fmac_f32_e32 v72, v12, v18
	v_fmac_f32_e32 v70, v29, v20
	;; [unrolled: 1-line block ×5, first 2 shown]
	v_fma_f32 v10, -v13, v19, v72
	v_fma_f32 v8, -v27, v21, v11
	;; [unrolled: 1-line block ×3, first 2 shown]
	s_waitcnt vmcnt(3)
	v_fmac_f32_e32 v69, v33, v22
	v_fma_f32 v7, -v7, v21, v15
	v_fmac_f32_e32 v10, v28, v20
	v_fmac_f32_e32 v70, v28, v21
	s_delay_alu instid0(VALU_DEP_4) | instskip(NEXT) | instid1(VALU_DEP_4)
	v_dual_fmac_f32 v68, v31, v22 :: v_dual_fmac_f32 v69, v32, v23
	v_fmac_f32_e32 v7, v30, v22
	s_delay_alu instid0(VALU_DEP_4)
	v_fma_f32 v9, -v29, v21, v10
	s_waitcnt vmcnt(2)
	v_fmac_f32_e32 v8, v34, v22
	s_waitcnt vmcnt(1)
	v_dual_fmac_f32 v68, v30, v23 :: v_dual_fmac_f32 v69, v41, v24
	v_fma_f32 v7, -v31, v23, v7
	v_fmac_f32_e32 v70, v37, v22
	s_delay_alu instid0(VALU_DEP_3) | instskip(SKIP_1) | instid1(VALU_DEP_4)
	v_dual_fmac_f32 v9, v36, v22 :: v_dual_fmac_f32 v68, v39, v24
	v_fma_f32 v8, -v35, v23, v8
	v_fmac_f32_e32 v7, v38, v24
	s_delay_alu instid0(VALU_DEP_4)
	v_dual_fmac_f32 v71, v35, v22 :: v_dual_fmac_f32 v70, v36, v23
	v_fmac_f32_e32 v6, v32, v22
	v_fma_f32 v9, -v37, v23, v9
	s_waitcnt vmcnt(0)
	v_dual_fmac_f32 v8, v42, v24 :: v_dual_fmac_f32 v69, v40, v25
	v_fmac_f32_e32 v71, v34, v23
	v_fma_f32 v6, -v33, v23, v6
	v_fmac_f32_e32 v9, v44, v24
	v_fmac_f32_e32 v70, v45, v24
	s_delay_alu instid0(VALU_DEP_4) | instskip(NEXT) | instid1(VALU_DEP_4)
	v_dual_fmac_f32 v68, v38, v25 :: v_dual_fmac_f32 v71, v43, v24
	v_fmac_f32_e32 v6, v40, v24
	v_fma_f32 v74, -v39, v25, v7
	v_fma_f32 v73, -v43, v25, v8
	;; [unrolled: 1-line block ×3, first 2 shown]
	v_fmac_f32_e32 v71, v42, v25
	v_fma_f32 v75, -v41, v25, v6
	v_fmac_f32_e32 v70, v44, v25
	s_and_not1_b32 exec_lo, exec_lo, s6
	s_cbranch_execnz .LBB34_35
; %bb.36:
	s_or_b32 exec_lo, exec_lo, s6
.LBB34_37:
	s_delay_alu instid0(SALU_CYCLE_1) | instskip(NEXT) | instid1(SALU_CYCLE_1)
	s_or_b32 exec_lo, exec_lo, s2
	s_mov_b32 s2, exec_lo
	v_cmpx_lt_u64_e32 0xbf, v[0:1]
	s_cbranch_execz .LBB34_41
; %bb.38:
	v_lshlrev_b64 v[0:1], 2, v[49:50]
	s_mov_b32 s6, 0
	s_delay_alu instid0(VALU_DEP_1) | instskip(NEXT) | instid1(VALU_DEP_2)
	v_add_co_u32 v0, vcc_lo, v0, s8
	v_add_co_ci_u32_e32 v1, vcc_lo, s9, v1, vcc_lo
	s_delay_alu instid0(VALU_DEP_2) | instskip(NEXT) | instid1(VALU_DEP_2)
	v_add_co_u32 v0, vcc_lo, 0x200, v0
	v_add_co_ci_u32_e32 v1, vcc_lo, 0, v1, vcc_lo
.LBB34_39:                              ; =>This Inner Loop Header: Depth=1
	s_clause 0x3
	global_load_b32 v2, v[0:1], off offset:-512
	global_load_b32 v47, v[0:1], off offset:-256
	global_load_b32 v132, v[0:1], off
	global_load_b32 v133, v[0:1], off offset:256
	s_clause 0x7
	global_load_b128 v[3:6], v[53:54], off offset:48
	global_load_b128 v[7:10], v[53:54], off offset:32
	;; [unrolled: 1-line block ×3, first 2 shown]
	global_load_b128 v[15:18], v[53:54], off
	global_load_b128 v[19:22], v[53:54], off offset:112
	global_load_b128 v[23:26], v[53:54], off offset:96
	global_load_b128 v[27:30], v[53:54], off offset:80
	global_load_b128 v[31:34], v[53:54], off offset:64
	v_add_co_u32 v84, vcc_lo, 0x2000, v53
	v_add_co_ci_u32_e32 v85, vcc_lo, 0, v54, vcc_lo
	v_add_co_u32 v116, vcc_lo, 0x4000, v53
	v_add_co_ci_u32_e32 v117, vcc_lo, 0, v54, vcc_lo
	;; [unrolled: 2-line block ×3, first 2 shown]
	s_clause 0x12
	global_load_b128 v[35:38], v[84:85], off offset:48
	global_load_b128 v[39:42], v[84:85], off offset:32
	global_load_b128 v[43:46], v[84:85], off
	global_load_b128 v[55:58], v[84:85], off offset:16
	global_load_b128 v[59:62], v[84:85], off offset:112
	;; [unrolled: 1-line block ×7, first 2 shown]
	global_load_b128 v[96:99], v[116:117], off
	global_load_b128 v[100:103], v[116:117], off offset:16
	global_load_b128 v[104:107], v[116:117], off offset:112
	;; [unrolled: 1-line block ×5, first 2 shown]
	global_load_b128 v[120:123], v[140:141], off
	global_load_b128 v[124:127], v[140:141], off offset:48
	global_load_b128 v[128:131], v[140:141], off offset:32
	s_waitcnt vmcnt(30)
	v_subrev_nc_u32_e32 v2, s12, v2
	s_waitcnt vmcnt(29)
	v_subrev_nc_u32_e32 v47, s12, v47
	s_waitcnt vmcnt(28)
	v_subrev_nc_u32_e32 v135, s12, v132
	s_waitcnt vmcnt(27)
	v_subrev_nc_u32_e32 v133, s12, v133
	v_lshlrev_b32_e32 v132, 2, v2
	v_lshlrev_b32_e32 v134, 2, v47
	v_lshlrev_b32_e32 v136, 2, v135
	s_delay_alu instid0(VALU_DEP_4) | instskip(NEXT) | instid1(VALU_DEP_4)
	v_lshlrev_b32_e32 v138, 2, v133
	v_ashrrev_i32_e32 v133, 31, v132
	s_delay_alu instid0(VALU_DEP_4) | instskip(NEXT) | instid1(VALU_DEP_4)
	v_ashrrev_i32_e32 v135, 31, v134
	v_ashrrev_i32_e32 v137, 31, v136
	s_delay_alu instid0(VALU_DEP_4) | instskip(NEXT) | instid1(VALU_DEP_4)
	v_ashrrev_i32_e32 v139, 31, v138
	v_lshlrev_b64 v[132:133], 3, v[132:133]
	s_delay_alu instid0(VALU_DEP_4) | instskip(NEXT) | instid1(VALU_DEP_4)
	v_lshlrev_b64 v[134:135], 3, v[134:135]
	v_lshlrev_b64 v[136:137], 3, v[136:137]
	s_delay_alu instid0(VALU_DEP_4) | instskip(SKIP_1) | instid1(VALU_DEP_4)
	v_lshlrev_b64 v[138:139], 3, v[138:139]
	s_waitcnt lgkmcnt(0)
	v_add_co_u32 v142, vcc_lo, s4, v132
	v_add_co_ci_u32_e32 v143, vcc_lo, s5, v133, vcc_lo
	v_add_co_u32 v144, vcc_lo, s4, v134
	v_add_co_ci_u32_e32 v145, vcc_lo, s5, v135, vcc_lo
	;; [unrolled: 2-line block ×4, first 2 shown]
	s_clause 0x1
	global_load_b128 v[132:135], v[142:143], off
	global_load_b128 v[136:139], v[142:143], off offset:16
	v_add_co_u32 v49, vcc_lo, 0x100, v49
	v_add_co_ci_u32_e32 v50, vcc_lo, 0, v50, vcc_lo
	v_add_co_u32 v0, vcc_lo, 0x400, v0
	v_add_co_ci_u32_e32 v1, vcc_lo, 0, v1, vcc_lo
	;; [unrolled: 2-line block ×3, first 2 shown]
	v_cmp_ge_i64_e32 vcc_lo, v[49:50], v[51:52]
	s_or_b32 s6, vcc_lo, s6
	s_waitcnt vmcnt(1)
	v_fmac_f32_e32 v73, v11, v132
	v_fmac_f32_e32 v75, v17, v132
	v_fmac_f32_e32 v70, v14, v132
	v_fmac_f32_e32 v71, v12, v132
	v_fmac_f32_e32 v69, v18, v132
	v_fma_f32 v73, -v12, v133, v73
	v_fma_f32 v47, -v18, v133, v75
	v_fmac_f32_e32 v70, v13, v133
	v_fmac_f32_e32 v74, v15, v132
	v_dual_fmac_f32 v68, v16, v132 :: v_dual_fmac_f32 v71, v11, v133
	v_dual_fmac_f32 v72, v13, v132 :: v_dual_fmac_f32 v73, v3, v134
	v_fmac_f32_e32 v69, v17, v133
	s_delay_alu instid0(VALU_DEP_3) | instskip(SKIP_1) | instid1(VALU_DEP_4)
	v_dual_fmac_f32 v68, v15, v133 :: v_dual_fmac_f32 v47, v9, v134
	v_fma_f32 v2, -v16, v133, v74
	v_fma_f32 v72, -v14, v133, v72
	s_delay_alu instid0(VALU_DEP_4)
	v_fmac_f32_e32 v69, v10, v134
	v_fmac_f32_e32 v70, v6, v134
	;; [unrolled: 1-line block ×3, first 2 shown]
	v_fma_f32 v47, -v10, v135, v47
	v_fmac_f32_e32 v2, v7, v134
	s_clause 0x1
	global_load_b128 v[15:18], v[140:141], off offset:16
	global_load_b128 v[11:14], v[140:141], off offset:64
	v_fmac_f32_e32 v70, v5, v135
	v_dual_fmac_f32 v68, v8, v134 :: v_dual_fmac_f32 v71, v3, v135
	v_fmac_f32_e32 v72, v5, v134
	v_fmac_f32_e32 v69, v9, v135
	v_fma_f32 v142, -v4, v135, v73
	s_waitcnt vmcnt(2)
	v_dual_fmac_f32 v68, v7, v135 :: v_dual_fmac_f32 v47, v33, v136
	v_fma_f32 v132, -v8, v135, v2
	v_fmac_f32_e32 v69, v34, v136
	global_load_b128 v[7:10], v[140:141], off offset:80
	v_fmac_f32_e32 v71, v28, v136
	v_fma_f32 v6, -v6, v135, v72
	s_clause 0x1
	global_load_b128 v[2:5], v[144:145], off
	global_load_b128 v[72:75], v[144:145], off offset:16
	v_fmac_f32_e32 v68, v32, v136
	v_fma_f32 v47, -v34, v137, v47
	v_fmac_f32_e32 v71, v27, v137
	v_dual_fmac_f32 v132, v31, v136 :: v_dual_fmac_f32 v69, v33, v137
	s_delay_alu instid0(VALU_DEP_3) | instskip(NEXT) | instid1(VALU_DEP_3)
	v_dual_fmac_f32 v68, v31, v137 :: v_dual_fmac_f32 v47, v25, v138
	v_dual_fmac_f32 v70, v30, v136 :: v_dual_fmac_f32 v71, v20, v138
	s_delay_alu instid0(VALU_DEP_3)
	v_fma_f32 v143, -v32, v137, v132
	s_clause 0x1
	global_load_b128 v[31:34], v[146:147], off
	global_load_b128 v[132:135], v[146:147], off offset:16
	v_dual_fmac_f32 v6, v29, v136 :: v_dual_fmac_f32 v69, v26, v138
	v_fmac_f32_e32 v142, v27, v136
	v_dual_fmac_f32 v70, v29, v137 :: v_dual_fmac_f32 v71, v19, v139
	v_fmac_f32_e32 v143, v23, v138
	s_delay_alu instid0(VALU_DEP_4)
	v_fma_f32 v6, -v30, v137, v6
	v_fmac_f32_e32 v69, v25, v139
	v_fma_f32 v136, -v28, v137, v142
	global_load_b128 v[27:30], v[148:149], off
	v_fma_f32 v142, -v24, v139, v143
	v_fma_f32 v47, -v26, v139, v47
	s_waitcnt vmcnt(4)
	v_fmac_f32_e32 v71, v56, v2
	v_fmac_f32_e32 v6, v21, v138
	;; [unrolled: 1-line block ×5, first 2 shown]
	v_dual_fmac_f32 v71, v55, v3 :: v_dual_fmac_f32 v70, v22, v138
	s_delay_alu instid0(VALU_DEP_4) | instskip(NEXT) | instid1(VALU_DEP_4)
	v_fmac_f32_e32 v69, v45, v3
	v_fmac_f32_e32 v68, v23, v139
	global_load_b128 v[23:26], v[148:149], off offset:16
	v_dual_fmac_f32 v71, v36, v4 :: v_dual_fmac_f32 v70, v21, v139
	v_dual_fmac_f32 v142, v43, v2 :: v_dual_fmac_f32 v69, v42, v4
	v_fmac_f32_e32 v68, v44, v2
	v_fma_f32 v6, -v22, v139, v6
	s_delay_alu instid0(VALU_DEP_4) | instskip(NEXT) | instid1(VALU_DEP_3)
	v_fmac_f32_e32 v71, v35, v5
	v_dual_fmac_f32 v69, v41, v5 :: v_dual_fmac_f32 v68, v43, v3
	v_fma_f32 v43, -v46, v3, v47
	v_fmac_f32_e32 v136, v19, v138
	v_fmac_f32_e32 v6, v57, v2
	s_waitcnt vmcnt(4)
	v_dual_fmac_f32 v70, v58, v2 :: v_dual_fmac_f32 v69, v87, v72
	v_fmac_f32_e32 v43, v41, v4
	v_fma_f32 v143, -v20, v139, v136
	s_clause 0x1
	global_load_b128 v[19:22], v[140:141], off offset:96
	global_load_b128 v[136:139], v[140:141], off offset:112
	v_fma_f32 v6, -v58, v3, v6
	v_dual_fmac_f32 v70, v57, v3 :: v_dual_fmac_f32 v69, v86, v73
	v_fmac_f32_e32 v143, v55, v2
	v_fma_f32 v2, -v44, v3, v142
	s_delay_alu instid0(VALU_DEP_4)
	v_fmac_f32_e32 v6, v37, v4
	v_fmac_f32_e32 v71, v81, v72
	;; [unrolled: 1-line block ×3, first 2 shown]
	v_fma_f32 v44, -v56, v3, v143
	v_fma_f32 v3, -v42, v5, v43
	v_fmac_f32_e32 v2, v39, v4
	v_fma_f32 v6, -v38, v5, v6
	s_delay_alu instid0(VALU_DEP_4) | instskip(NEXT) | instid1(VALU_DEP_4)
	v_dual_fmac_f32 v71, v80, v73 :: v_dual_fmac_f32 v44, v35, v4
	v_fmac_f32_e32 v3, v86, v72
	v_fmac_f32_e32 v70, v38, v4
	v_fma_f32 v2, -v40, v5, v2
	s_delay_alu instid0(VALU_DEP_4)
	v_fmac_f32_e32 v71, v60, v74
	v_fmac_f32_e32 v69, v78, v75
	v_fma_f32 v3, -v87, v73, v3
	v_fmac_f32_e32 v68, v40, v4
	v_fmac_f32_e32 v70, v37, v5
	s_waitcnt vmcnt(5)
	v_dual_fmac_f32 v6, v82, v72 :: v_dual_fmac_f32 v69, v99, v31
	s_delay_alu instid0(VALU_DEP_3) | instskip(SKIP_1) | instid1(VALU_DEP_3)
	v_dual_fmac_f32 v3, v78, v74 :: v_dual_fmac_f32 v68, v39, v5
	v_fma_f32 v4, -v36, v5, v44
	v_fma_f32 v5, -v83, v73, v6
	v_fmac_f32_e32 v2, v84, v72
	s_delay_alu instid0(VALU_DEP_4) | instskip(SKIP_1) | instid1(VALU_DEP_4)
	v_fma_f32 v3, -v79, v75, v3
	v_dual_fmac_f32 v68, v85, v72 :: v_dual_fmac_f32 v71, v59, v75
	v_fmac_f32_e32 v5, v61, v74
	s_delay_alu instid0(VALU_DEP_4) | instskip(SKIP_1) | instid1(VALU_DEP_4)
	v_fma_f32 v2, -v85, v73, v2
	v_fmac_f32_e32 v70, v83, v72
	v_dual_fmac_f32 v68, v84, v73 :: v_dual_fmac_f32 v71, v101, v31
	s_delay_alu instid0(VALU_DEP_4) | instskip(NEXT) | instid1(VALU_DEP_4)
	v_fma_f32 v5, -v62, v75, v5
	v_fmac_f32_e32 v2, v76, v74
	v_dual_fmac_f32 v4, v80, v72 :: v_dual_fmac_f32 v3, v98, v31
	s_delay_alu instid0(VALU_DEP_4) | instskip(SKIP_4) | instid1(VALU_DEP_4)
	v_dual_fmac_f32 v70, v82, v73 :: v_dual_fmac_f32 v71, v100, v32
	v_dual_fmac_f32 v68, v77, v74 :: v_dual_fmac_f32 v69, v98, v32
	v_fmac_f32_e32 v5, v102, v31
	v_fma_f32 v2, -v77, v75, v2
	v_fma_f32 v4, -v81, v73, v4
	v_dual_fmac_f32 v70, v62, v74 :: v_dual_fmac_f32 v69, v95, v33
	v_dual_fmac_f32 v68, v76, v75 :: v_dual_fmac_f32 v71, v89, v33
	s_delay_alu instid0(VALU_DEP_4) | instskip(SKIP_1) | instid1(VALU_DEP_4)
	v_fmac_f32_e32 v2, v96, v31
	v_fma_f32 v3, -v99, v32, v3
	v_fmac_f32_e32 v69, v94, v34
	v_fmac_f32_e32 v4, v59, v74
	v_dual_fmac_f32 v68, v97, v31 :: v_dual_fmac_f32 v71, v88, v34
	v_fma_f32 v2, -v97, v32, v2
	v_fma_f32 v5, -v103, v32, v5
	v_fmac_f32_e32 v3, v94, v33
	v_fma_f32 v4, -v60, v75, v4
	v_fmac_f32_e32 v70, v61, v75
	s_waitcnt vmcnt(4)
	v_dual_fmac_f32 v2, v92, v33 :: v_dual_fmac_f32 v69, v119, v132
	v_dual_fmac_f32 v68, v96, v32 :: v_dual_fmac_f32 v5, v90, v33
	v_fma_f32 v3, -v95, v34, v3
	v_fmac_f32_e32 v4, v100, v31
	v_dual_fmac_f32 v70, v103, v31 :: v_dual_fmac_f32 v71, v113, v132
	v_fma_f32 v2, -v93, v34, v2
	v_fma_f32 v5, -v91, v34, v5
	v_fmac_f32_e32 v3, v118, v132
	v_fmac_f32_e32 v69, v118, v133
	;; [unrolled: 1-line block ×3, first 2 shown]
	v_fma_f32 v4, -v101, v32, v4
	v_fmac_f32_e32 v5, v114, v132
	v_dual_fmac_f32 v70, v102, v32 :: v_dual_fmac_f32 v71, v112, v133
	v_dual_fmac_f32 v2, v116, v132 :: v_dual_fmac_f32 v69, v111, v134
	v_fmac_f32_e32 v68, v92, v34
	v_fma_f32 v3, -v119, v133, v3
	v_fmac_f32_e32 v4, v88, v33
	v_dual_fmac_f32 v70, v91, v33 :: v_dual_fmac_f32 v71, v105, v134
	v_fma_f32 v5, -v115, v133, v5
	s_delay_alu instid0(VALU_DEP_4) | instskip(SKIP_2) | instid1(VALU_DEP_4)
	v_fmac_f32_e32 v3, v110, v134
	v_dual_fmac_f32 v69, v110, v135 :: v_dual_fmac_f32 v68, v117, v132
	v_fma_f32 v4, -v89, v34, v4
	v_fmac_f32_e32 v5, v106, v134
	v_dual_fmac_f32 v70, v90, v34 :: v_dual_fmac_f32 v71, v104, v135
	s_waitcnt vmcnt(3)
	v_dual_fmac_f32 v68, v116, v133 :: v_dual_fmac_f32 v69, v123, v27
	v_fma_f32 v3, -v111, v135, v3
	v_fmac_f32_e32 v4, v112, v132
	v_dual_fmac_f32 v70, v115, v132 :: v_dual_fmac_f32 v71, v16, v27
	v_fma_f32 v2, -v117, v133, v2
	s_delay_alu instid0(VALU_DEP_4) | instskip(NEXT) | instid1(VALU_DEP_4)
	v_dual_fmac_f32 v68, v109, v134 :: v_dual_fmac_f32 v3, v122, v27
	v_fma_f32 v4, -v113, v133, v4
	s_delay_alu instid0(VALU_DEP_3) | instskip(NEXT) | instid1(VALU_DEP_3)
	v_dual_fmac_f32 v71, v15, v28 :: v_dual_fmac_f32 v2, v108, v134
	v_dual_fmac_f32 v69, v122, v28 :: v_dual_fmac_f32 v68, v108, v135
	v_fma_f32 v5, -v107, v135, v5
	v_fmac_f32_e32 v70, v114, v133
	v_fma_f32 v3, -v123, v28, v3
	v_fmac_f32_e32 v4, v104, v134
	v_fma_f32 v2, -v109, v135, v2
	s_delay_alu instid0(VALU_DEP_4) | instskip(SKIP_3) | instid1(VALU_DEP_3)
	v_dual_fmac_f32 v5, v17, v27 :: v_dual_fmac_f32 v70, v107, v134
	v_fmac_f32_e32 v71, v125, v29
	v_fmac_f32_e32 v3, v130, v29
	v_dual_fmac_f32 v69, v131, v29 :: v_dual_fmac_f32 v68, v121, v27
	v_dual_fmac_f32 v70, v106, v135 :: v_dual_fmac_f32 v71, v124, v30
	v_fma_f32 v5, -v18, v28, v5
	v_fmac_f32_e32 v2, v120, v27
	v_fma_f32 v3, -v131, v30, v3
	v_dual_fmac_f32 v69, v130, v30 :: v_dual_fmac_f32 v68, v120, v28
	v_fma_f32 v4, -v105, v135, v4
	v_fmac_f32_e32 v5, v126, v29
	v_fma_f32 v2, -v121, v28, v2
	s_delay_alu instid0(VALU_DEP_2) | instskip(SKIP_1) | instid1(VALU_DEP_1)
	v_fma_f32 v5, -v127, v30, v5
	s_waitcnt vmcnt(2)
	v_dual_fmac_f32 v2, v128, v29 :: v_dual_fmac_f32 v5, v9, v23
	v_fmac_f32_e32 v3, v13, v23
	v_dual_fmac_f32 v68, v129, v29 :: v_dual_fmac_f32 v71, v8, v23
	v_fmac_f32_e32 v70, v18, v27
	v_fmac_f32_e32 v69, v14, v23
	;; [unrolled: 1-line block ×3, first 2 shown]
	v_fma_f32 v2, -v129, v30, v2
	v_fmac_f32_e32 v71, v7, v24
	v_fmac_f32_e32 v70, v17, v28
	v_fma_f32 v3, -v14, v24, v3
	v_dual_fmac_f32 v68, v128, v30 :: v_dual_fmac_f32 v69, v13, v24
	v_fma_f32 v4, -v16, v28, v4
	v_fmac_f32_e32 v2, v11, v23
	v_fma_f32 v5, -v10, v24, v5
	s_waitcnt vmcnt(1)
	v_fmac_f32_e32 v69, v22, v25
	v_fmac_f32_e32 v4, v124, v29
	v_dual_fmac_f32 v3, v21, v25 :: v_dual_fmac_f32 v68, v12, v23
	s_waitcnt vmcnt(0)
	v_fmac_f32_e32 v71, v137, v25
	v_dual_fmac_f32 v70, v127, v29 :: v_dual_fmac_f32 v69, v21, v26
	v_fma_f32 v4, -v125, v30, v4
	v_fma_f32 v2, -v12, v24, v2
	s_delay_alu instid0(VALU_DEP_4) | instskip(NEXT) | instid1(VALU_DEP_4)
	v_fmac_f32_e32 v71, v136, v26
	v_fmac_f32_e32 v70, v126, v30
	;; [unrolled: 1-line block ×3, first 2 shown]
	v_dual_fmac_f32 v4, v7, v23 :: v_dual_fmac_f32 v5, v138, v25
	v_fmac_f32_e32 v2, v19, v25
	s_delay_alu instid0(VALU_DEP_4) | instskip(NEXT) | instid1(VALU_DEP_4)
	v_fmac_f32_e32 v70, v10, v23
	v_fmac_f32_e32 v68, v20, v25
	s_delay_alu instid0(VALU_DEP_4)
	v_fma_f32 v4, -v8, v24, v4
	v_fma_f32 v75, -v22, v26, v3
	;; [unrolled: 1-line block ×3, first 2 shown]
	v_fmac_f32_e32 v70, v9, v24
	v_fmac_f32_e32 v68, v19, v26
	;; [unrolled: 1-line block ×3, first 2 shown]
	v_fma_f32 v72, -v139, v26, v5
	s_delay_alu instid0(VALU_DEP_4) | instskip(NEXT) | instid1(VALU_DEP_3)
	v_fmac_f32_e32 v70, v139, v25
	v_fma_f32 v73, -v137, v26, v4
	s_delay_alu instid0(VALU_DEP_2)
	v_fmac_f32_e32 v70, v138, v26
	s_and_not1_b32 exec_lo, exec_lo, s6
	s_cbranch_execnz .LBB34_39
; %bb.40:
	s_or_b32 exec_lo, exec_lo, s6
.LBB34_41:
	s_delay_alu instid0(SALU_CYCLE_1)
	s_or_b32 exec_lo, exec_lo, s2
.LBB34_42:
	s_delay_alu instid0(SALU_CYCLE_1)
	s_or_b32 exec_lo, exec_lo, s3
.LBB34_43:
	v_mbcnt_lo_u32_b32 v0, -1, 0
	s_delay_alu instid0(VALU_DEP_1) | instskip(SKIP_2) | instid1(VALU_DEP_3)
	v_or_b32_e32 v1, 32, v0
	v_xor_b32_e32 v9, 16, v0
	v_xor_b32_e32 v17, 8, v0
	v_cmp_gt_i32_e32 vcc_lo, 32, v1
	v_cndmask_b32_e32 v1, v0, v1, vcc_lo
	s_delay_alu instid0(VALU_DEP_4) | instskip(NEXT) | instid1(VALU_DEP_2)
	v_cmp_gt_i32_e32 vcc_lo, 32, v9
	v_lshlrev_b32_e32 v1, 2, v1
	ds_bpermute_b32 v4, v1, v75
	s_waitcnt lgkmcnt(0)
	v_add_f32_e32 v4, v75, v4
	ds_bpermute_b32 v2, v1, v74
	ds_bpermute_b32 v6, v1, v73
	;; [unrolled: 1-line block ×3, first 2 shown]
	v_cndmask_b32_e32 v9, v0, v9, vcc_lo
	ds_bpermute_b32 v3, v1, v68
	ds_bpermute_b32 v5, v1, v69
	;; [unrolled: 1-line block ×4, first 2 shown]
	v_cmp_gt_i32_e32 vcc_lo, 32, v17
	s_waitcnt lgkmcnt(6)
	v_dual_cndmask_b32 v17, v0, v17 :: v_dual_add_f32 v2, v74, v2
	s_waitcnt lgkmcnt(5)
	v_dual_add_f32 v6, v73, v6 :: v_dual_lshlrev_b32 v9, 2, v9
	s_waitcnt lgkmcnt(4)
	v_add_f32_e32 v8, v72, v8
	ds_bpermute_b32 v10, v9, v2
	s_waitcnt lgkmcnt(4)
	v_add_f32_e32 v3, v68, v3
	ds_bpermute_b32 v12, v9, v4
	ds_bpermute_b32 v14, v9, v6
	;; [unrolled: 1-line block ×3, first 2 shown]
	s_waitcnt lgkmcnt(6)
	v_add_f32_e32 v5, v69, v5
	s_waitcnt lgkmcnt(5)
	v_add_f32_e32 v7, v71, v7
	;; [unrolled: 2-line block ×4, first 2 shown]
	ds_bpermute_b32 v11, v9, v3
	s_waitcnt lgkmcnt(3)
	v_dual_add_f32 v4, v4, v12 :: v_dual_lshlrev_b32 v17, 2, v17
	ds_bpermute_b32 v13, v9, v5
	s_waitcnt lgkmcnt(3)
	v_add_f32_e32 v6, v6, v14
	ds_bpermute_b32 v15, v9, v7
	s_waitcnt lgkmcnt(3)
	v_add_f32_e32 v8, v8, v16
	;; [unrolled: 3-line block ×4, first 2 shown]
	s_waitcnt lgkmcnt(0)
	v_dual_add_f32 v4, v4, v11 :: v_dual_add_f32 v1, v1, v9
	ds_bpermute_b32 v9, v17, v2
	ds_bpermute_b32 v15, v17, v8
	v_add_f32_e32 v5, v5, v13
	ds_bpermute_b32 v13, v17, v6
	ds_bpermute_b32 v16, v17, v1
	s_waitcnt lgkmcnt(3)
	v_add_f32_e32 v2, v2, v9
	s_waitcnt lgkmcnt(2)
	v_add_f32_e32 v8, v8, v15
	ds_bpermute_b32 v10, v17, v3
	ds_bpermute_b32 v12, v17, v5
	s_waitcnt lgkmcnt(3)
	v_add_f32_e32 v6, v6, v13
	ds_bpermute_b32 v14, v17, v7
	v_xor_b32_e32 v17, 4, v0
	s_delay_alu instid0(VALU_DEP_1) | instskip(SKIP_1) | instid1(VALU_DEP_1)
	v_cmp_gt_i32_e32 vcc_lo, 32, v17
	v_cndmask_b32_e32 v17, v0, v17, vcc_lo
	v_lshlrev_b32_e32 v17, 2, v17
	s_waitcnt lgkmcnt(0)
	v_add_f32_e32 v7, v7, v14
	ds_bpermute_b32 v15, v17, v8
	s_waitcnt lgkmcnt(0)
	v_add_f32_e32 v8, v8, v15
	ds_bpermute_b32 v11, v17, v4
	ds_bpermute_b32 v9, v17, v2
	;; [unrolled: 1-line block ×3, first 2 shown]
	v_add_f32_e32 v3, v3, v10
	v_add_f32_e32 v5, v5, v12
	ds_bpermute_b32 v14, v17, v7
	s_waitcnt lgkmcnt(3)
	v_dual_add_f32 v4, v4, v11 :: v_dual_add_f32 v1, v1, v16
	s_waitcnt lgkmcnt(2)
	v_add_f32_e32 v2, v2, v9
	ds_bpermute_b32 v10, v17, v3
	s_waitcnt lgkmcnt(2)
	v_add_f32_e32 v6, v6, v13
	ds_bpermute_b32 v12, v17, v5
	ds_bpermute_b32 v16, v17, v1
	v_xor_b32_e32 v17, 2, v0
	s_waitcnt lgkmcnt(3)
	v_add_f32_e32 v7, v7, v14
	s_delay_alu instid0(VALU_DEP_2) | instskip(SKIP_1) | instid1(VALU_DEP_1)
	v_cmp_gt_i32_e32 vcc_lo, 32, v17
	v_cndmask_b32_e32 v17, v0, v17, vcc_lo
	v_lshlrev_b32_e32 v17, 2, v17
	s_waitcnt lgkmcnt(0)
	v_add_f32_e32 v9, v1, v16
	ds_bpermute_b32 v1, v17, v2
	v_add_f32_e32 v3, v3, v10
	ds_bpermute_b32 v13, v17, v6
	;; [unrolled: 2-line block ×3, first 2 shown]
	ds_bpermute_b32 v14, v17, v7
	ds_bpermute_b32 v10, v17, v3
	;; [unrolled: 1-line block ×5, first 2 shown]
	v_xor_b32_e32 v17, 1, v0
	s_delay_alu instid0(VALU_DEP_1) | instskip(SKIP_3) | instid1(VALU_DEP_2)
	v_cmp_gt_i32_e32 vcc_lo, 32, v17
	v_cndmask_b32_e32 v0, v0, v17, vcc_lo
	v_cmp_eq_u32_e32 vcc_lo, 63, v67
	s_waitcnt lgkmcnt(7)
	v_dual_add_f32 v0, v2, v1 :: v_dual_lshlrev_b32 v17, 2, v0
	s_waitcnt lgkmcnt(3)
	v_dual_add_f32 v1, v3, v10 :: v_dual_add_f32 v2, v4, v11
	s_waitcnt lgkmcnt(1)
	v_dual_add_f32 v4, v6, v13 :: v_dual_add_f32 v3, v5, v12
	v_dual_add_f32 v5, v7, v14 :: v_dual_add_f32 v6, v8, v15
	s_waitcnt lgkmcnt(0)
	v_add_f32_e32 v7, v9, v16
	ds_bpermute_b32 v8, v17, v0
	ds_bpermute_b32 v9, v17, v1
	ds_bpermute_b32 v10, v17, v2
	ds_bpermute_b32 v11, v17, v3
	ds_bpermute_b32 v12, v17, v4
	ds_bpermute_b32 v13, v17, v5
	ds_bpermute_b32 v14, v17, v6
	ds_bpermute_b32 v15, v17, v7
	s_and_b32 exec_lo, exec_lo, vcc_lo
	s_cbranch_execz .LBB34_13
; %bb.44:
	s_load_b64 s[2:3], s[0:1], 0x50
	s_waitcnt lgkmcnt(0)
	v_add_f32_e32 v8, v0, v8
	v_dual_add_f32 v0, v1, v9 :: v_dual_add_f32 v1, v3, v11
	v_dual_add_f32 v9, v2, v10 :: v_dual_add_f32 v2, v5, v13
	;; [unrolled: 1-line block ×3, first 2 shown]
	v_add_f32_e32 v11, v6, v14
	s_delay_alu instid0(VALU_DEP_4)
	v_mul_f32_e64 v4, v0, -v66
	v_mul_f32_e32 v5, v0, v65
	v_mul_f32_e64 v6, v1, -v66
	v_mul_f32_e32 v7, v1, v65
	;; [unrolled: 2-line block ×4, first 2 shown]
	v_cmp_eq_f32_e32 vcc_lo, 0, v63
	v_cmp_eq_f32_e64 s0, 0, v64
	v_fmac_f32_e32 v4, v65, v8
	v_dual_fmac_f32 v2, v65, v11 :: v_dual_fmac_f32 v5, v66, v8
	v_fmac_f32_e32 v6, v65, v9
	v_dual_fmac_f32 v7, v66, v9 :: v_dual_lshlrev_b32 v8, 2, v48
	v_fmac_f32_e32 v0, v65, v10
	v_fmac_f32_e32 v1, v66, v10
	;; [unrolled: 1-line block ×3, first 2 shown]
	s_and_b32 s0, vcc_lo, s0
	s_delay_alu instid0(SALU_CYCLE_1) | instskip(NEXT) | instid1(SALU_CYCLE_1)
	s_and_saveexec_b32 s1, s0
	s_xor_b32 s0, exec_lo, s1
; %bb.45:
	v_ashrrev_i32_e32 v9, 31, v8
                                        ; implicit-def: $vgpr63
                                        ; implicit-def: $vgpr64
	s_delay_alu instid0(VALU_DEP_1) | instskip(NEXT) | instid1(VALU_DEP_1)
	v_lshlrev_b64 v[8:9], 3, v[8:9]
	v_add_co_u32 v8, vcc_lo, s2, v8
	s_delay_alu instid0(VALU_DEP_2)
	v_add_co_ci_u32_e32 v9, vcc_lo, s3, v9, vcc_lo
	s_clause 0x1
	global_store_b128 v[8:9], v[4:7], off
	global_store_b128 v[8:9], v[0:3], off offset:16
                                        ; implicit-def: $vgpr4
                                        ; implicit-def: $vgpr8
                                        ; implicit-def: $vgpr0
; %bb.46:
	s_and_not1_saveexec_b32 s0, s0
	s_cbranch_execz .LBB34_13
; %bb.47:
	v_ashrrev_i32_e32 v9, 31, v8
	s_delay_alu instid0(VALU_DEP_1) | instskip(NEXT) | instid1(VALU_DEP_1)
	v_lshlrev_b64 v[8:9], 3, v[8:9]
	v_add_co_u32 v16, vcc_lo, s2, v8
	s_delay_alu instid0(VALU_DEP_2)
	v_add_co_ci_u32_e32 v17, vcc_lo, s3, v9, vcc_lo
	s_clause 0x1
	global_load_b128 v[8:11], v[16:17], off
	global_load_b128 v[12:15], v[16:17], off offset:16
	s_waitcnt vmcnt(1)
	v_dual_fmac_f32 v4, v63, v8 :: v_dual_fmac_f32 v7, v64, v10
	v_dual_fmac_f32 v5, v64, v8 :: v_dual_fmac_f32 v6, v63, v10
	s_waitcnt vmcnt(0)
	v_dual_fmac_f32 v0, v63, v12 :: v_dual_fmac_f32 v3, v64, v14
	v_dual_fmac_f32 v1, v64, v12 :: v_dual_fmac_f32 v2, v63, v14
	v_fma_f32 v4, -v64, v9, v4
	v_fmac_f32_e32 v5, v63, v9
	v_fma_f32 v6, -v64, v11, v6
	v_fmac_f32_e32 v7, v63, v11
	;; [unrolled: 2-line block ×4, first 2 shown]
	s_clause 0x1
	global_store_b128 v[16:17], v[4:7], off
	global_store_b128 v[16:17], v[0:3], off offset:16
	s_nop 0
	s_sendmsg sendmsg(MSG_DEALLOC_VGPRS)
	s_endpgm
	.section	.rodata,"a",@progbits
	.p2align	6, 0x0
	.amdhsa_kernel _ZN9rocsparseL18bsrxmvn_4x4_kernelILj128ELj64E21rocsparse_complex_numIfEliS2_S2_S2_EEvT3_20rocsparse_direction_NS_24const_host_device_scalarIT1_EES3_PKS3_PKT2_SC_S9_PKT4_PKT5_S7_PT6_21rocsparse_index_base_b
		.amdhsa_group_segment_fixed_size 0
		.amdhsa_private_segment_fixed_size 0
		.amdhsa_kernarg_size 96
		.amdhsa_user_sgpr_count 15
		.amdhsa_user_sgpr_dispatch_ptr 0
		.amdhsa_user_sgpr_queue_ptr 0
		.amdhsa_user_sgpr_kernarg_segment_ptr 1
		.amdhsa_user_sgpr_dispatch_id 0
		.amdhsa_user_sgpr_private_segment_size 0
		.amdhsa_wavefront_size32 1
		.amdhsa_uses_dynamic_stack 0
		.amdhsa_enable_private_segment 0
		.amdhsa_system_sgpr_workgroup_id_x 1
		.amdhsa_system_sgpr_workgroup_id_y 0
		.amdhsa_system_sgpr_workgroup_id_z 0
		.amdhsa_system_sgpr_workgroup_info 0
		.amdhsa_system_vgpr_workitem_id 0
		.amdhsa_next_free_vgpr 180
		.amdhsa_next_free_sgpr 16
		.amdhsa_reserve_vcc 1
		.amdhsa_float_round_mode_32 0
		.amdhsa_float_round_mode_16_64 0
		.amdhsa_float_denorm_mode_32 3
		.amdhsa_float_denorm_mode_16_64 3
		.amdhsa_dx10_clamp 1
		.amdhsa_ieee_mode 1
		.amdhsa_fp16_overflow 0
		.amdhsa_workgroup_processor_mode 1
		.amdhsa_memory_ordered 1
		.amdhsa_forward_progress 0
		.amdhsa_shared_vgpr_count 0
		.amdhsa_exception_fp_ieee_invalid_op 0
		.amdhsa_exception_fp_denorm_src 0
		.amdhsa_exception_fp_ieee_div_zero 0
		.amdhsa_exception_fp_ieee_overflow 0
		.amdhsa_exception_fp_ieee_underflow 0
		.amdhsa_exception_fp_ieee_inexact 0
		.amdhsa_exception_int_div_zero 0
	.end_amdhsa_kernel
	.section	.text._ZN9rocsparseL18bsrxmvn_4x4_kernelILj128ELj64E21rocsparse_complex_numIfEliS2_S2_S2_EEvT3_20rocsparse_direction_NS_24const_host_device_scalarIT1_EES3_PKS3_PKT2_SC_S9_PKT4_PKT5_S7_PT6_21rocsparse_index_base_b,"axG",@progbits,_ZN9rocsparseL18bsrxmvn_4x4_kernelILj128ELj64E21rocsparse_complex_numIfEliS2_S2_S2_EEvT3_20rocsparse_direction_NS_24const_host_device_scalarIT1_EES3_PKS3_PKT2_SC_S9_PKT4_PKT5_S7_PT6_21rocsparse_index_base_b,comdat
.Lfunc_end34:
	.size	_ZN9rocsparseL18bsrxmvn_4x4_kernelILj128ELj64E21rocsparse_complex_numIfEliS2_S2_S2_EEvT3_20rocsparse_direction_NS_24const_host_device_scalarIT1_EES3_PKS3_PKT2_SC_S9_PKT4_PKT5_S7_PT6_21rocsparse_index_base_b, .Lfunc_end34-_ZN9rocsparseL18bsrxmvn_4x4_kernelILj128ELj64E21rocsparse_complex_numIfEliS2_S2_S2_EEvT3_20rocsparse_direction_NS_24const_host_device_scalarIT1_EES3_PKS3_PKT2_SC_S9_PKT4_PKT5_S7_PT6_21rocsparse_index_base_b
                                        ; -- End function
	.section	.AMDGPU.csdata,"",@progbits
; Kernel info:
; codeLenInByte = 8052
; NumSgprs: 18
; NumVgprs: 180
; ScratchSize: 0
; MemoryBound: 0
; FloatMode: 240
; IeeeMode: 1
; LDSByteSize: 0 bytes/workgroup (compile time only)
; SGPRBlocks: 2
; VGPRBlocks: 22
; NumSGPRsForWavesPerEU: 18
; NumVGPRsForWavesPerEU: 180
; Occupancy: 8
; WaveLimiterHint : 1
; COMPUTE_PGM_RSRC2:SCRATCH_EN: 0
; COMPUTE_PGM_RSRC2:USER_SGPR: 15
; COMPUTE_PGM_RSRC2:TRAP_HANDLER: 0
; COMPUTE_PGM_RSRC2:TGID_X_EN: 1
; COMPUTE_PGM_RSRC2:TGID_Y_EN: 0
; COMPUTE_PGM_RSRC2:TGID_Z_EN: 0
; COMPUTE_PGM_RSRC2:TIDIG_COMP_CNT: 0
	.section	.text._ZN9rocsparseL18bsrxmvn_4x4_kernelILj128ELj4E21rocsparse_complex_numIdEliS2_S2_S2_EEvT3_20rocsparse_direction_NS_24const_host_device_scalarIT1_EES3_PKS3_PKT2_SC_S9_PKT4_PKT5_S7_PT6_21rocsparse_index_base_b,"axG",@progbits,_ZN9rocsparseL18bsrxmvn_4x4_kernelILj128ELj4E21rocsparse_complex_numIdEliS2_S2_S2_EEvT3_20rocsparse_direction_NS_24const_host_device_scalarIT1_EES3_PKS3_PKT2_SC_S9_PKT4_PKT5_S7_PT6_21rocsparse_index_base_b,comdat
	.globl	_ZN9rocsparseL18bsrxmvn_4x4_kernelILj128ELj4E21rocsparse_complex_numIdEliS2_S2_S2_EEvT3_20rocsparse_direction_NS_24const_host_device_scalarIT1_EES3_PKS3_PKT2_SC_S9_PKT4_PKT5_S7_PT6_21rocsparse_index_base_b ; -- Begin function _ZN9rocsparseL18bsrxmvn_4x4_kernelILj128ELj4E21rocsparse_complex_numIdEliS2_S2_S2_EEvT3_20rocsparse_direction_NS_24const_host_device_scalarIT1_EES3_PKS3_PKT2_SC_S9_PKT4_PKT5_S7_PT6_21rocsparse_index_base_b
	.p2align	8
	.type	_ZN9rocsparseL18bsrxmvn_4x4_kernelILj128ELj4E21rocsparse_complex_numIdEliS2_S2_S2_EEvT3_20rocsparse_direction_NS_24const_host_device_scalarIT1_EES3_PKS3_PKT2_SC_S9_PKT4_PKT5_S7_PT6_21rocsparse_index_base_b,@function
_ZN9rocsparseL18bsrxmvn_4x4_kernelILj128ELj4E21rocsparse_complex_numIdEliS2_S2_S2_EEvT3_20rocsparse_direction_NS_24const_host_device_scalarIT1_EES3_PKS3_PKT2_SC_S9_PKT4_PKT5_S7_PT6_21rocsparse_index_base_b: ; @_ZN9rocsparseL18bsrxmvn_4x4_kernelILj128ELj4E21rocsparse_complex_numIdEliS2_S2_S2_EEvT3_20rocsparse_direction_NS_24const_host_device_scalarIT1_EES3_PKS3_PKT2_SC_S9_PKT4_PKT5_S7_PT6_21rocsparse_index_base_b
; %bb.0:
	s_load_b64 s[12:13], s[2:3], 0x68
	s_load_b64 s[16:17], s[0:1], 0x4
	s_load_b128 s[8:11], s[2:3], 0x8
	v_bfe_u32 v2, v0, 10, 10
	s_mov_b64 s[0:1], src_shared_base
	s_load_b128 s[4:7], s[2:3], 0x50
	v_and_b32_e32 v1, 0x3ff, v0
	v_bfe_u32 v0, v0, 20, 10
	s_waitcnt lgkmcnt(0)
	s_bitcmp1_b32 s13, 0
	v_mul_u32_u24_e32 v2, s17, v2
	s_cselect_b32 s0, -1, 0
	v_mov_b32_e32 v23, s11
	s_and_b32 vcc_lo, s0, exec_lo
	s_cselect_b32 s13, s1, s9
	s_lshr_b32 s14, s16, 16
	v_dual_mov_b32 v4, s4 :: v_dual_mov_b32 v5, s5
	s_mul_i32 s14, s14, s17
	v_dual_mov_b32 v7, s13 :: v_dual_mov_b32 v22, s10
	v_mad_u32_u24 v2, s14, v1, v2
	s_xor_b32 s10, s0, -1
	s_delay_alu instid0(VALU_DEP_1) | instskip(SKIP_1) | instid1(VALU_DEP_2)
	v_add_lshl_u32 v0, v2, v0, 3
	v_dual_mov_b32 v2, s8 :: v_dual_mov_b32 v3, s9
	v_add_nc_u32_e32 v6, 0x400, v0
	ds_store_2addr_stride64_b64 v0, v[4:5], v[2:3] offset1:2
	v_cndmask_b32_e64 v6, s8, v6, s0
	flat_load_b64 v[20:21], v[6:7]
	s_cbranch_vccnz .LBB35_2
; %bb.1:
	v_dual_mov_b32 v2, s8 :: v_dual_mov_b32 v3, s9
	flat_load_b64 v[22:23], v[2:3] offset:8
.LBB35_2:
	s_and_b32 s8, s0, exec_lo
	s_cselect_b32 s1, s1, s5
	v_cndmask_b32_e64 v2, s4, v0, s0
	v_mov_b32_e32 v3, s1
	v_dual_mov_b32 v19, s7 :: v_dual_mov_b32 v18, s6
	s_and_not1_b32 vcc_lo, exec_lo, s10
	flat_load_b64 v[16:17], v[2:3]
	s_cbranch_vccnz .LBB35_4
; %bb.3:
	v_dual_mov_b32 v2, s4 :: v_dual_mov_b32 v3, s5
	flat_load_b64 v[18:19], v[2:3] offset:8
.LBB35_4:
	s_waitcnt vmcnt(1) lgkmcnt(1)
	v_cmp_eq_f64_e32 vcc_lo, 0, v[20:21]
	v_cmp_eq_f64_e64 s0, 0, v[22:23]
	s_delay_alu instid0(VALU_DEP_1)
	s_and_b32 s4, vcc_lo, s0
	s_mov_b32 s0, -1
	s_and_saveexec_b32 s1, s4
	s_cbranch_execz .LBB35_6
; %bb.5:
	s_waitcnt vmcnt(0) lgkmcnt(0)
	v_cmp_neq_f64_e32 vcc_lo, 1.0, v[16:17]
	v_cmp_neq_f64_e64 s0, 0, v[18:19]
	s_delay_alu instid0(VALU_DEP_1) | instskip(NEXT) | instid1(SALU_CYCLE_1)
	s_or_b32 s0, vcc_lo, s0
	s_or_not1_b32 s0, s0, exec_lo
.LBB35_6:
	s_or_b32 exec_lo, exec_lo, s1
	s_and_saveexec_b32 s1, s0
	s_cbranch_execz .LBB35_12
; %bb.7:
	s_clause 0x1
	s_load_b64 s[4:5], s[2:3], 0x20
	s_load_b64 s[0:1], s[2:3], 0x0
	v_lshrrev_b32_e32 v0, 2, v1
	s_delay_alu instid0(VALU_DEP_1)
	v_lshl_or_b32 v24, s15, 5, v0
	s_waitcnt lgkmcnt(0)
	s_cmp_lg_u64 s[4:5], 0
	s_cbranch_scc0 .LBB35_13
; %bb.8:
	s_load_b32 s6, s[2:3], 0x18
	s_mov_b32 s7, 0
                                        ; implicit-def: $vgpr0
	s_waitcnt lgkmcnt(0)
	v_cmp_gt_i32_e32 vcc_lo, s6, v24
	s_mov_b32 s6, 0
	s_and_saveexec_b32 s8, vcc_lo
	s_delay_alu instid0(SALU_CYCLE_1)
	s_xor_b32 s8, exec_lo, s8
	s_cbranch_execz .LBB35_10
; %bb.9:
	v_ashrrev_i32_e32 v25, 31, v24
	s_mov_b32 s6, exec_lo
	s_delay_alu instid0(VALU_DEP_1) | instskip(NEXT) | instid1(VALU_DEP_1)
	v_lshlrev_b64 v[2:3], 2, v[24:25]
	v_add_co_u32 v2, vcc_lo, s4, v2
	s_delay_alu instid0(VALU_DEP_2)
	v_add_co_ci_u32_e32 v3, vcc_lo, s5, v3, vcc_lo
	global_load_b32 v0, v[2:3], off
	s_waitcnt vmcnt(0)
	v_subrev_nc_u32_e32 v0, s12, v0
.LBB35_10:
	s_or_b32 exec_lo, exec_lo, s8
	s_delay_alu instid0(SALU_CYCLE_1)
	s_and_b32 vcc_lo, exec_lo, s7
	s_cbranch_vccz .LBB35_14
.LBB35_11:
	v_cmp_gt_i32_e32 vcc_lo, s0, v24
	s_and_not1_b32 s0, s6, exec_lo
	s_and_b32 s4, vcc_lo, exec_lo
	s_delay_alu instid0(SALU_CYCLE_1) | instskip(NEXT) | instid1(SALU_CYCLE_1)
	s_or_b32 s6, s0, s4
	s_and_b32 exec_lo, exec_lo, s6
	s_cbranch_execnz .LBB35_15
.LBB35_12:
	s_nop 0
	s_sendmsg sendmsg(MSG_DEALLOC_VGPRS)
	s_endpgm
.LBB35_13:
	s_mov_b32 s6, 0
                                        ; implicit-def: $vgpr0
	s_cbranch_execnz .LBB35_11
.LBB35_14:
	s_delay_alu instid0(VALU_DEP_1)
	v_mov_b32_e32 v24, v0
	s_and_b32 exec_lo, exec_lo, s6
	s_cbranch_execz .LBB35_12
.LBB35_15:
	s_load_b256 s[4:11], s[2:3], 0x28
	s_delay_alu instid0(VALU_DEP_1) | instskip(SKIP_1) | instid1(VALU_DEP_2)
	v_ashrrev_i32_e32 v25, 31, v24
	v_and_b32_e32 v55, 3, v1
	v_lshlrev_b64 v[2:3], 3, v[24:25]
	s_waitcnt lgkmcnt(0)
	s_delay_alu instid0(VALU_DEP_1) | instskip(NEXT) | instid1(VALU_DEP_2)
	v_add_co_u32 v4, vcc_lo, s4, v2
	v_add_co_ci_u32_e32 v5, vcc_lo, s5, v3, vcc_lo
	v_add_co_u32 v0, vcc_lo, s6, v2
	v_add_co_ci_u32_e32 v2, vcc_lo, s7, v3, vcc_lo
	s_delay_alu instid0(VALU_DEP_4)
	v_add_co_u32 v6, vcc_lo, v4, 8
	global_load_b64 v[47:48], v[4:5], off
	v_add_co_ci_u32_e32 v3, vcc_lo, 0, v5, vcc_lo
	s_cmp_eq_u64 s[6:7], 0
	s_load_b64 s[4:5], s[2:3], 0x48
	s_cselect_b32 vcc_lo, -1, 0
	s_cmp_eq_u32 s1, 1
	v_dual_cndmask_b32 v3, v2, v3 :: v_dual_cndmask_b32 v2, v0, v6
	global_load_b64 v[2:3], v[2:3], off
	s_waitcnt vmcnt(1)
	v_sub_co_u32 v0, vcc_lo, v47, s12
	v_subrev_co_ci_u32_e32 v1, vcc_lo, 0, v48, vcc_lo
	s_delay_alu instid0(VALU_DEP_2) | instskip(NEXT) | instid1(VALU_DEP_2)
	v_add_co_u32 v25, vcc_lo, v0, v55
	v_add_co_ci_u32_e32 v26, vcc_lo, 0, v1, vcc_lo
	s_delay_alu instid0(VALU_DEP_1) | instskip(SKIP_3) | instid1(VALU_DEP_3)
	v_lshlrev_b64 v[0:1], 8, v[25:26]
	s_waitcnt vmcnt(0)
	v_sub_co_u32 v27, vcc_lo, v2, s12
	v_subrev_co_ci_u32_e32 v28, vcc_lo, 0, v3, vcc_lo
	v_add_co_u32 v29, vcc_lo, s10, v0
	s_delay_alu instid0(VALU_DEP_2)
	v_cmp_lt_i64_e64 s0, v[25:26], v[27:28]
	v_add_co_ci_u32_e32 v30, vcc_lo, s11, v1, vcc_lo
	s_cbranch_scc1 .LBB35_27
; %bb.16:
	v_mov_b32_e32 v35, 0
	v_mov_b32_e32 v36, 0
	s_delay_alu instid0(VALU_DEP_2) | instskip(NEXT) | instid1(VALU_DEP_2)
	v_mov_b32_e32 v33, v35
	v_dual_mov_b32 v31, v35 :: v_dual_mov_b32 v32, v36
	v_dual_mov_b32 v40, v36 :: v_dual_mov_b32 v39, v35
	v_mov_b32_e32 v34, v36
	v_dual_mov_b32 v42, v36 :: v_dual_mov_b32 v41, v35
	v_dual_mov_b32 v44, v36 :: v_dual_mov_b32 v43, v35
	;; [unrolled: 1-line block ×4, first 2 shown]
	s_and_saveexec_b32 s6, s0
	s_cbranch_execz .LBB35_26
; %bb.17:
	v_or_b32_e32 v0, 4, v55
	v_not_b32_e32 v3, v47
	v_not_b32_e32 v2, v48
	v_mov_b32_e32 v52, v26
	s_mov_b32 s10, 0
	v_sub_co_u32 v0, s1, v0, s12
	s_delay_alu instid0(VALU_DEP_1) | instskip(SKIP_1) | instid1(VALU_DEP_3)
	v_sub_co_ci_u32_e64 v1, null, 0, 0, s1
	v_sub_co_u32 v4, s1, s12, v55
	v_add_co_u32 v0, vcc_lo, v0, v47
	s_delay_alu instid0(VALU_DEP_3) | instskip(SKIP_2) | instid1(VALU_DEP_2)
	v_add_co_ci_u32_e32 v1, vcc_lo, v1, v48, vcc_lo
	v_sub_co_ci_u32_e64 v5, null, 0, 0, s1
	s_mov_b32 s7, exec_lo
	v_cmp_gt_i64_e32 vcc_lo, v[0:1], v[27:28]
	v_mov_b32_e32 v51, v25
	v_dual_cndmask_b32 v1, v28, v1 :: v_dual_cndmask_b32 v0, v27, v0
	v_add_co_u32 v3, vcc_lo, v4, v3
	v_add_co_ci_u32_e32 v2, vcc_lo, v5, v2, vcc_lo
	s_delay_alu instid0(VALU_DEP_2) | instskip(NEXT) | instid1(VALU_DEP_2)
	v_add_co_u32 v0, vcc_lo, v3, v0
	v_add_co_ci_u32_e32 v1, vcc_lo, v2, v1, vcc_lo
	s_delay_alu instid0(VALU_DEP_2) | instskip(SKIP_3) | instid1(VALU_DEP_3)
	v_lshrrev_b32_e32 v2, 2, v0
	v_mov_b32_e32 v37, 0
	v_mov_b32_e32 v38, 0
	v_dual_mov_b32 v50, v30 :: v_dual_mov_b32 v49, v29
	v_dual_mov_b32 v31, v37 :: v_dual_add_nc_u32 v2, 1, v2
	s_delay_alu instid0(VALU_DEP_3) | instskip(SKIP_1) | instid1(VALU_DEP_3)
	v_dual_mov_b32 v33, v37 :: v_dual_mov_b32 v46, v38
	v_mov_b32_e32 v44, v38
	v_and_b32_e32 v2, 3, v2
	v_mov_b32_e32 v42, v38
	v_dual_mov_b32 v34, v38 :: v_dual_mov_b32 v35, v37
	v_dual_mov_b32 v40, v38 :: v_dual_mov_b32 v45, v37
	v_mov_b32_e32 v43, v37
	v_dual_mov_b32 v41, v37 :: v_dual_mov_b32 v32, v38
	v_dual_mov_b32 v39, v37 :: v_dual_mov_b32 v36, v38
	v_cmpx_ne_u32_e32 0, v2
	s_cbranch_execz .LBB35_21
; %bb.18:
	v_lshlrev_b64 v[4:5], 2, v[25:26]
	v_dual_mov_b32 v35, 0 :: v_dual_lshlrev_b32 v2, 2, v2
	v_dual_mov_b32 v3, 0 :: v_dual_mov_b32 v36, 0
	v_dual_mov_b32 v52, v26 :: v_dual_mov_b32 v51, v25
	s_delay_alu instid0(VALU_DEP_4)
	v_add_co_u32 v4, vcc_lo, s8, v4
	v_add_co_ci_u32_e32 v5, vcc_lo, s9, v5, vcc_lo
	v_dual_mov_b32 v50, v30 :: v_dual_mov_b32 v49, v29
	v_dual_mov_b32 v40, v36 :: v_dual_mov_b32 v39, v35
	;; [unrolled: 1-line block ×8, first 2 shown]
.LBB35_19:                              ; =>This Inner Loop Header: Depth=1
	global_load_b32 v14, v[4:5], off
	s_clause 0x7
	global_load_b128 v[6:9], v[49:50], off offset:16
	global_load_b128 v[10:13], v[49:50], off
	global_load_b128 v[56:59], v[49:50], off offset:80
	global_load_b128 v[60:63], v[49:50], off offset:64
	;; [unrolled: 1-line block ×6, first 2 shown]
	v_add_co_u32 v4, s1, v4, 16
	s_delay_alu instid0(VALU_DEP_1) | instskip(SKIP_2) | instid1(VALU_DEP_1)
	v_add_co_ci_u32_e64 v5, s1, 0, v5, s1
	s_waitcnt vmcnt(8)
	v_subrev_nc_u32_e32 v14, s12, v14
	v_lshlrev_b32_e32 v14, 2, v14
	s_delay_alu instid0(VALU_DEP_1) | instskip(NEXT) | instid1(VALU_DEP_1)
	v_ashrrev_i32_e32 v15, 31, v14
	v_lshlrev_b64 v[14:15], 4, v[14:15]
	s_waitcnt lgkmcnt(0)
	s_delay_alu instid0(VALU_DEP_1) | instskip(NEXT) | instid1(VALU_DEP_2)
	v_add_co_u32 v14, vcc_lo, s4, v14
	v_add_co_ci_u32_e32 v15, vcc_lo, s5, v15, vcc_lo
	s_clause 0x1
	global_load_b128 v[80:83], v[14:15], off
	global_load_b128 v[84:87], v[14:15], off offset:16
	s_clause 0x7
	global_load_b128 v[88:91], v[49:50], off offset:48
	global_load_b128 v[92:95], v[49:50], off offset:32
	;; [unrolled: 1-line block ×8, first 2 shown]
	s_clause 0x1
	global_load_b128 v[120:123], v[14:15], off offset:32
	global_load_b128 v[124:127], v[14:15], off offset:48
	v_add_co_u32 v49, vcc_lo, 0x400, v49
	v_add_co_ci_u32_e32 v50, vcc_lo, 0, v50, vcc_lo
	v_add_co_u32 v2, vcc_lo, v2, -4
	v_add_co_ci_u32_e32 v3, vcc_lo, -1, v3, vcc_lo
	v_add_co_u32 v51, vcc_lo, v51, 4
	v_add_co_ci_u32_e32 v52, vcc_lo, 0, v52, vcc_lo
	s_delay_alu instid0(VALU_DEP_3)
	v_cmp_eq_u64_e32 vcc_lo, 0, v[2:3]
	s_or_b32 s10, vcc_lo, s10
	s_waitcnt vmcnt(11)
	v_fma_f64 v[14:15], v[10:11], v[80:81], v[39:40]
	v_fma_f64 v[35:36], v[12:13], v[80:81], v[35:36]
	v_fma_f64 v[39:40], v[60:61], v[80:81], v[45:46]
	v_fma_f64 v[37:38], v[62:63], v[80:81], v[37:38]
	v_fma_f64 v[41:42], v[68:69], v[80:81], v[41:42]
	v_fma_f64 v[43:44], v[70:71], v[80:81], v[43:44]
	v_fma_f64 v[33:34], v[76:77], v[80:81], v[33:34]
	v_fma_f64 v[31:32], v[78:79], v[80:81], v[31:32]
	v_fma_f64 v[12:13], -v[12:13], v[82:83], v[14:15]
	v_fma_f64 v[10:11], v[10:11], v[82:83], v[35:36]
	v_fma_f64 v[14:15], -v[62:63], v[82:83], v[39:40]
	v_fma_f64 v[35:36], v[60:61], v[82:83], v[37:38]
	v_fma_f64 v[37:38], -v[70:71], v[82:83], v[41:42]
	v_fma_f64 v[39:40], v[68:69], v[82:83], v[43:44]
	v_fma_f64 v[33:34], -v[78:79], v[82:83], v[33:34]
	v_fma_f64 v[31:32], v[76:77], v[82:83], v[31:32]
	s_waitcnt vmcnt(10)
	v_fma_f64 v[12:13], v[6:7], v[84:85], v[12:13]
	v_fma_f64 v[10:11], v[8:9], v[84:85], v[10:11]
	v_fma_f64 v[14:15], v[56:57], v[84:85], v[14:15]
	v_fma_f64 v[35:36], v[58:59], v[84:85], v[35:36]
	v_fma_f64 v[37:38], v[64:65], v[84:85], v[37:38]
	v_fma_f64 v[39:40], v[66:67], v[84:85], v[39:40]
	v_fma_f64 v[33:34], v[72:73], v[84:85], v[33:34]
	v_fma_f64 v[31:32], v[74:75], v[84:85], v[31:32]
	v_fma_f64 v[8:9], -v[8:9], v[86:87], v[12:13]
	v_fma_f64 v[6:7], v[6:7], v[86:87], v[10:11]
	v_fma_f64 v[10:11], -v[58:59], v[86:87], v[14:15]
	v_fma_f64 v[12:13], v[56:57], v[86:87], v[35:36]
	v_fma_f64 v[14:15], -v[66:67], v[86:87], v[37:38]
	v_fma_f64 v[35:36], v[64:65], v[86:87], v[39:40]
	v_fma_f64 v[33:34], -v[74:75], v[86:87], v[33:34]
	v_fma_f64 v[31:32], v[72:73], v[86:87], v[31:32]
	;; [unrolled: 17-line block ×4, first 2 shown]
	s_and_not1_b32 exec_lo, exec_lo, s10
	s_cbranch_execnz .LBB35_19
; %bb.20:
	s_or_b32 exec_lo, exec_lo, s10
.LBB35_21:
	s_delay_alu instid0(SALU_CYCLE_1) | instskip(NEXT) | instid1(SALU_CYCLE_1)
	s_or_b32 exec_lo, exec_lo, s7
	s_mov_b32 s7, exec_lo
	v_cmpx_lt_u64_e32 11, v[0:1]
	s_cbranch_execz .LBB35_25
; %bb.22:
	v_lshlrev_b64 v[0:1], 2, v[51:52]
	s_mov_b32 s10, 0
	s_delay_alu instid0(VALU_DEP_1) | instskip(NEXT) | instid1(VALU_DEP_2)
	v_add_co_u32 v0, vcc_lo, v0, s8
	v_add_co_ci_u32_e32 v1, vcc_lo, s9, v1, vcc_lo
	s_delay_alu instid0(VALU_DEP_2) | instskip(NEXT) | instid1(VALU_DEP_2)
	v_add_co_u32 v53, vcc_lo, v0, 32
	v_add_co_ci_u32_e32 v54, vcc_lo, 0, v1, vcc_lo
.LBB35_23:                              ; =>This Inner Loop Header: Depth=1
	s_clause 0x1
	global_load_b32 v56, v[53:54], off offset:-32
	global_load_b32 v57, v[53:54], off offset:-16
	s_clause 0x3
	global_load_b128 v[12:15], v[49:50], off
	global_load_b128 v[8:11], v[49:50], off offset:64
	global_load_b128 v[4:7], v[49:50], off offset:128
	;; [unrolled: 1-line block ×3, first 2 shown]
	s_clause 0x1
	global_load_b32 v154, v[53:54], off
	global_load_b32 v156, v[53:54], off offset:16
	v_add_co_u32 v53, s1, v53, 64
	s_delay_alu instid0(VALU_DEP_1) | instskip(SKIP_2) | instid1(VALU_DEP_1)
	v_add_co_ci_u32_e64 v54, s1, 0, v54, s1
	s_waitcnt vmcnt(7)
	v_subrev_nc_u32_e32 v56, s12, v56
	v_lshlrev_b32_e32 v58, 2, v56
	s_waitcnt vmcnt(6)
	v_subrev_nc_u32_e32 v56, s12, v57
	s_waitcnt vmcnt(1)
	v_subrev_nc_u32_e32 v154, s12, v154
	v_ashrrev_i32_e32 v59, 31, v58
	s_delay_alu instid0(VALU_DEP_3) | instskip(NEXT) | instid1(VALU_DEP_3)
	v_lshlrev_b32_e32 v56, 2, v56
	v_lshlrev_b32_e32 v154, 2, v154
	s_delay_alu instid0(VALU_DEP_3) | instskip(NEXT) | instid1(VALU_DEP_3)
	v_lshlrev_b64 v[58:59], 4, v[58:59]
	v_ashrrev_i32_e32 v57, 31, v56
	s_delay_alu instid0(VALU_DEP_3) | instskip(NEXT) | instid1(VALU_DEP_2)
	v_ashrrev_i32_e32 v155, 31, v154
	v_lshlrev_b64 v[56:57], 4, v[56:57]
	s_waitcnt lgkmcnt(0)
	s_delay_alu instid0(VALU_DEP_4)
	v_add_co_u32 v118, vcc_lo, s4, v58
	v_add_co_ci_u32_e32 v119, vcc_lo, s5, v59, vcc_lo
	global_load_b128 v[58:61], v[118:119], off
	s_clause 0x3
	global_load_b128 v[62:65], v[49:50], off offset:16
	global_load_b128 v[66:69], v[49:50], off offset:80
	global_load_b128 v[70:73], v[49:50], off offset:144
	global_load_b128 v[74:77], v[49:50], off offset:208
	global_load_b128 v[78:81], v[118:119], off offset:16
	s_clause 0x3
	global_load_b128 v[82:85], v[49:50], off offset:96
	global_load_b128 v[86:89], v[49:50], off offset:160
	global_load_b128 v[90:93], v[49:50], off offset:224
	global_load_b128 v[94:97], v[49:50], off offset:32
	global_load_b128 v[98:101], v[118:119], off offset:32
	;; [unrolled: 6-line block ×3, first 2 shown]
	s_clause 0x3
	global_load_b128 v[122:125], v[49:50], off offset:1024
	global_load_b128 v[126:129], v[49:50], off offset:1088
	global_load_b128 v[130:133], v[49:50], off offset:1152
	global_load_b128 v[134:137], v[49:50], off offset:1216
	v_add_co_u32 v142, vcc_lo, s4, v56
	v_add_co_ci_u32_e32 v143, vcc_lo, s5, v57, vcc_lo
	global_load_b128 v[138:141], v[142:143], off
	s_waitcnt vmcnt(20)
	v_fma_f64 v[39:40], v[12:13], v[58:59], v[39:40]
	v_fma_f64 v[35:36], v[14:15], v[58:59], v[35:36]
	v_fma_f64 v[45:46], v[8:9], v[58:59], v[45:46]
	v_fma_f64 v[37:38], v[10:11], v[58:59], v[37:38]
	v_fma_f64 v[41:42], v[4:5], v[58:59], v[41:42]
	v_fma_f64 v[43:44], v[6:7], v[58:59], v[43:44]
	v_fma_f64 v[33:34], v[0:1], v[58:59], v[33:34]
	v_fma_f64 v[31:32], v[2:3], v[58:59], v[31:32]
	v_fma_f64 v[39:40], -v[14:15], v[60:61], v[39:40]
	v_fma_f64 v[35:36], v[12:13], v[60:61], v[35:36]
	v_fma_f64 v[45:46], -v[10:11], v[60:61], v[45:46]
	v_fma_f64 v[37:38], v[8:9], v[60:61], v[37:38]
	v_fma_f64 v[41:42], -v[6:7], v[60:61], v[41:42]
	v_fma_f64 v[43:44], v[4:5], v[60:61], v[43:44]
	v_fma_f64 v[56:57], -v[2:3], v[60:61], v[33:34]
	v_fma_f64 v[58:59], v[0:1], v[60:61], v[31:32]
	s_clause 0x3
	global_load_b128 v[0:3], v[49:50], off offset:1040
	global_load_b128 v[4:7], v[49:50], off offset:1104
	global_load_b128 v[8:11], v[49:50], off offset:1168
	global_load_b128 v[12:15], v[49:50], off offset:1232
	global_load_b128 v[31:34], v[142:143], off offset:16
	s_waitcnt vmcnt(20)
	v_fma_f64 v[39:40], v[62:63], v[78:79], v[39:40]
	v_fma_f64 v[35:36], v[64:65], v[78:79], v[35:36]
	v_fma_f64 v[45:46], v[66:67], v[78:79], v[45:46]
	v_fma_f64 v[37:38], v[68:69], v[78:79], v[37:38]
	v_fma_f64 v[41:42], v[70:71], v[78:79], v[41:42]
	v_fma_f64 v[43:44], v[72:73], v[78:79], v[43:44]
	v_fma_f64 v[56:57], v[74:75], v[78:79], v[56:57]
	v_fma_f64 v[58:59], v[76:77], v[78:79], v[58:59]
	v_fma_f64 v[64:65], -v[64:65], v[80:81], v[39:40]
	v_fma_f64 v[78:79], v[62:63], v[80:81], v[35:36]
	v_fma_f64 v[68:69], -v[68:69], v[80:81], v[45:46]
	v_fma_f64 v[66:67], v[66:67], v[80:81], v[37:38]
	v_fma_f64 v[72:73], -v[72:73], v[80:81], v[41:42]
	v_fma_f64 v[70:71], v[70:71], v[80:81], v[43:44]
	v_fma_f64 v[76:77], -v[76:77], v[80:81], v[56:57]
	v_fma_f64 v[74:75], v[74:75], v[80:81], v[58:59]
	s_clause 0x3
	global_load_b128 v[35:38], v[49:50], off offset:1120
	global_load_b128 v[39:42], v[49:50], off offset:1184
	global_load_b128 v[43:46], v[49:50], off offset:1248
	global_load_b128 v[56:59], v[49:50], off offset:1056
	global_load_b128 v[60:63], v[142:143], off offset:32
	;; [unrolled: 23-line block ×3, first 2 shown]
	s_waitcnt vmcnt(20)
	v_fma_f64 v[100:101], v[102:103], v[118:119], v[96:97]
	v_fma_f64 v[142:143], v[104:105], v[118:119], v[94:95]
	;; [unrolled: 1-line block ×8, first 2 shown]
	s_clause 0x3
	global_load_b128 v[84:87], v[49:50], off offset:2048
	global_load_b128 v[88:91], v[49:50], off offset:2112
	;; [unrolled: 1-line block ×4, first 2 shown]
	v_fma_f64 v[104:105], -v[104:105], v[120:121], v[100:101]
	v_fma_f64 v[142:143], v[102:103], v[120:121], v[142:143]
	v_fma_f64 v[108:109], -v[108:109], v[120:121], v[144:145]
	v_fma_f64 v[106:107], v[106:107], v[120:121], v[146:147]
	;; [unrolled: 2-line block ×4, first 2 shown]
	v_lshlrev_b64 v[100:101], 4, v[154:155]
	v_subrev_nc_u32_e32 v154, s12, v156
	s_delay_alu instid0(VALU_DEP_2) | instskip(NEXT) | instid1(VALU_DEP_3)
	v_add_co_u32 v144, vcc_lo, s4, v100
	v_add_co_ci_u32_e32 v145, vcc_lo, s5, v101, vcc_lo
	s_delay_alu instid0(VALU_DEP_3)
	v_lshlrev_b32_e32 v154, 2, v154
	global_load_b128 v[100:103], v[144:145], off
	v_ashrrev_i32_e32 v155, 31, v154
	s_waitcnt vmcnt(20)
	v_fma_f64 v[104:105], v[122:123], v[138:139], v[104:105]
	v_fma_f64 v[118:119], v[124:125], v[138:139], v[142:143]
	v_fma_f64 v[108:109], v[126:127], v[138:139], v[108:109]
	v_fma_f64 v[106:107], v[128:129], v[138:139], v[106:107]
	v_fma_f64 v[112:113], v[130:131], v[138:139], v[112:113]
	v_fma_f64 v[110:111], v[132:133], v[138:139], v[110:111]
	v_fma_f64 v[116:117], v[134:135], v[138:139], v[116:117]
	v_fma_f64 v[114:115], v[136:137], v[138:139], v[114:115]
	v_fma_f64 v[124:125], -v[124:125], v[140:141], v[104:105]
	v_fma_f64 v[138:139], v[122:123], v[140:141], v[118:119]
	v_fma_f64 v[128:129], -v[128:129], v[140:141], v[108:109]
	v_fma_f64 v[126:127], v[126:127], v[140:141], v[106:107]
	v_fma_f64 v[132:133], -v[132:133], v[140:141], v[112:113]
	v_fma_f64 v[130:131], v[130:131], v[140:141], v[110:111]
	v_fma_f64 v[136:137], -v[136:137], v[140:141], v[116:117]
	v_fma_f64 v[134:135], v[134:135], v[140:141], v[114:115]
	s_clause 0x3
	global_load_b128 v[104:107], v[49:50], off offset:2064
	global_load_b128 v[108:111], v[49:50], off offset:2128
	global_load_b128 v[112:115], v[49:50], off offset:2192
	global_load_b128 v[116:119], v[49:50], off offset:2256
	global_load_b128 v[120:123], v[144:145], off offset:16
	s_waitcnt vmcnt(20)
	v_fma_f64 v[124:125], v[0:1], v[31:32], v[124:125]
	v_fma_f64 v[138:139], v[2:3], v[31:32], v[138:139]
	v_fma_f64 v[128:129], v[4:5], v[31:32], v[128:129]
	v_fma_f64 v[126:127], v[6:7], v[31:32], v[126:127]
	v_fma_f64 v[132:133], v[8:9], v[31:32], v[132:133]
	v_fma_f64 v[130:131], v[10:11], v[31:32], v[130:131]
	v_fma_f64 v[136:137], v[12:13], v[31:32], v[136:137]
	v_fma_f64 v[31:32], v[14:15], v[31:32], v[134:135]
	v_fma_f64 v[124:125], -v[2:3], v[33:34], v[124:125]
	v_fma_f64 v[134:135], v[0:1], v[33:34], v[138:139]
	v_fma_f64 v[128:129], -v[6:7], v[33:34], v[128:129]
	v_fma_f64 v[126:127], v[4:5], v[33:34], v[126:127]
	v_fma_f64 v[132:133], -v[10:11], v[33:34], v[132:133]
	v_fma_f64 v[130:131], v[8:9], v[33:34], v[130:131]
	v_fma_f64 v[136:137], -v[14:15], v[33:34], v[136:137]
	v_fma_f64 v[138:139], v[12:13], v[33:34], v[31:32]
	s_clause 0x3
	global_load_b128 v[0:3], v[49:50], off offset:2144
	global_load_b128 v[4:7], v[49:50], off offset:2208
	global_load_b128 v[8:11], v[49:50], off offset:2272
	global_load_b128 v[12:15], v[49:50], off offset:2080
	global_load_b128 v[31:34], v[144:145], off offset:32
	;; [unrolled: 23-line block ×3, first 2 shown]
	s_waitcnt vmcnt(20)
	v_fma_f64 v[140:141], v[64:65], v[80:81], v[124:125]
	v_fma_f64 v[142:143], v[66:67], v[80:81], v[134:135]
	;; [unrolled: 1-line block ×8, first 2 shown]
	s_clause 0x3
	global_load_b128 v[124:127], v[49:50], off offset:3072
	global_load_b128 v[128:131], v[49:50], off offset:3136
	;; [unrolled: 1-line block ×4, first 2 shown]
	v_fma_f64 v[140:141], -v[66:67], v[82:83], v[140:141]
	v_fma_f64 v[142:143], v[64:65], v[82:83], v[142:143]
	v_fma_f64 v[70:71], -v[70:71], v[82:83], v[144:145]
	v_fma_f64 v[68:69], v[68:69], v[82:83], v[146:147]
	;; [unrolled: 2-line block ×4, first 2 shown]
	v_lshlrev_b64 v[64:65], 4, v[154:155]
	s_delay_alu instid0(VALU_DEP_1) | instskip(NEXT) | instid1(VALU_DEP_2)
	v_add_co_u32 v144, vcc_lo, s4, v64
	v_add_co_ci_u32_e32 v145, vcc_lo, s5, v65, vcc_lo
	v_add_co_u32 v51, vcc_lo, v51, 16
	v_add_co_ci_u32_e32 v52, vcc_lo, 0, v52, vcc_lo
	global_load_b128 v[64:67], v[144:145], off
	s_waitcnt vmcnt(20)
	v_fma_f64 v[80:81], v[84:85], v[100:101], v[140:141]
	v_fma_f64 v[82:83], v[86:87], v[100:101], v[142:143]
	v_fma_f64 v[70:71], v[88:89], v[100:101], v[70:71]
	v_fma_f64 v[68:69], v[90:91], v[100:101], v[68:69]
	v_fma_f64 v[74:75], v[92:93], v[100:101], v[74:75]
	v_fma_f64 v[72:73], v[94:95], v[100:101], v[72:73]
	v_fma_f64 v[78:79], v[96:97], v[100:101], v[78:79]
	v_fma_f64 v[76:77], v[98:99], v[100:101], v[76:77]
	v_fma_f64 v[100:101], -v[86:87], v[102:103], v[80:81]
	v_fma_f64 v[140:141], v[84:85], v[102:103], v[82:83]
	v_fma_f64 v[90:91], -v[90:91], v[102:103], v[70:71]
	v_fma_f64 v[88:89], v[88:89], v[102:103], v[68:69]
	v_fma_f64 v[94:95], -v[94:95], v[102:103], v[74:75]
	v_fma_f64 v[92:93], v[92:93], v[102:103], v[72:73]
	v_fma_f64 v[98:99], -v[98:99], v[102:103], v[78:79]
	v_fma_f64 v[96:97], v[96:97], v[102:103], v[76:77]
	s_clause 0x3
	global_load_b128 v[68:71], v[49:50], off offset:3088
	global_load_b128 v[72:75], v[49:50], off offset:3152
	global_load_b128 v[76:79], v[49:50], off offset:3216
	global_load_b128 v[80:83], v[49:50], off offset:3280
	global_load_b128 v[84:87], v[144:145], off offset:16
	s_waitcnt vmcnt(20)
	v_fma_f64 v[100:101], v[104:105], v[120:121], v[100:101]
	v_fma_f64 v[102:103], v[106:107], v[120:121], v[140:141]
	v_fma_f64 v[90:91], v[108:109], v[120:121], v[90:91]
	v_fma_f64 v[88:89], v[110:111], v[120:121], v[88:89]
	v_fma_f64 v[94:95], v[112:113], v[120:121], v[94:95]
	v_fma_f64 v[92:93], v[114:115], v[120:121], v[92:93]
	v_fma_f64 v[98:99], v[116:117], v[120:121], v[98:99]
	v_fma_f64 v[96:97], v[118:119], v[120:121], v[96:97]
	v_fma_f64 v[120:121], -v[106:107], v[122:123], v[100:101]
	v_fma_f64 v[140:141], v[104:105], v[122:123], v[102:103]
	v_fma_f64 v[110:111], -v[110:111], v[122:123], v[90:91]
	v_fma_f64 v[108:109], v[108:109], v[122:123], v[88:89]
	v_fma_f64 v[114:115], -v[114:115], v[122:123], v[94:95]
	v_fma_f64 v[112:113], v[112:113], v[122:123], v[92:93]
	v_fma_f64 v[118:119], -v[118:119], v[122:123], v[98:99]
	v_fma_f64 v[116:117], v[116:117], v[122:123], v[96:97]
	s_clause 0x3
	global_load_b128 v[88:91], v[49:50], off offset:3168
	global_load_b128 v[92:95], v[49:50], off offset:3232
	global_load_b128 v[96:99], v[49:50], off offset:3296
	global_load_b128 v[100:103], v[49:50], off offset:3104
	global_load_b128 v[104:107], v[144:145], off offset:32
	;; [unrolled: 23-line block ×3, first 2 shown]
	v_add_co_u32 v49, vcc_lo, 0x1000, v49
	v_add_co_ci_u32_e32 v50, vcc_lo, 0, v50, vcc_lo
	v_cmp_ge_i64_e32 vcc_lo, v[51:52], v[27:28]
	s_or_b32 s10, vcc_lo, s10
	s_waitcnt vmcnt(20)
	v_fma_f64 v[33:34], v[35:36], v[60:61], v[116:117]
	v_fma_f64 v[116:117], v[37:38], v[60:61], v[120:121]
	v_fma_f64 v[120:121], v[39:40], v[60:61], v[122:123]
	v_fma_f64 v[122:123], v[41:42], v[60:61], v[140:141]
	v_fma_f64 v[114:115], v[43:44], v[60:61], v[114:115]
	v_fma_f64 v[112:113], v[45:46], v[60:61], v[112:113]
	v_fma_f64 v[118:119], v[56:57], v[60:61], v[118:119]
	v_fma_f64 v[31:32], v[58:59], v[60:61], v[31:32]
	v_fma_f64 v[33:34], -v[37:38], v[62:63], v[33:34]
	v_fma_f64 v[35:36], v[35:36], v[62:63], v[116:117]
	v_fma_f64 v[37:38], -v[41:42], v[62:63], v[120:121]
	v_fma_f64 v[39:40], v[39:40], v[62:63], v[122:123]
	v_fma_f64 v[41:42], -v[45:46], v[62:63], v[114:115]
	v_fma_f64 v[43:44], v[43:44], v[62:63], v[112:113]
	v_fma_f64 v[45:46], -v[58:59], v[62:63], v[118:119]
	v_fma_f64 v[31:32], v[56:57], v[62:63], v[31:32]
	s_waitcnt vmcnt(15)
	v_fma_f64 v[33:34], v[124:125], v[64:65], v[33:34]
	v_fma_f64 v[35:36], v[126:127], v[64:65], v[35:36]
	v_fma_f64 v[37:38], v[128:129], v[64:65], v[37:38]
	v_fma_f64 v[39:40], v[130:131], v[64:65], v[39:40]
	v_fma_f64 v[41:42], v[132:133], v[64:65], v[41:42]
	v_fma_f64 v[43:44], v[134:135], v[64:65], v[43:44]
	v_fma_f64 v[45:46], v[136:137], v[64:65], v[45:46]
	v_fma_f64 v[31:32], v[138:139], v[64:65], v[31:32]
	v_fma_f64 v[33:34], -v[126:127], v[66:67], v[33:34]
	v_fma_f64 v[35:36], v[124:125], v[66:67], v[35:36]
	v_fma_f64 v[37:38], -v[130:131], v[66:67], v[37:38]
	v_fma_f64 v[39:40], v[128:129], v[66:67], v[39:40]
	v_fma_f64 v[41:42], -v[134:135], v[66:67], v[41:42]
	v_fma_f64 v[43:44], v[132:133], v[66:67], v[43:44]
	v_fma_f64 v[45:46], -v[138:139], v[66:67], v[45:46]
	v_fma_f64 v[31:32], v[136:137], v[66:67], v[31:32]
	;; [unrolled: 17-line block ×5, first 2 shown]
	s_and_not1_b32 exec_lo, exec_lo, s10
	s_cbranch_execnz .LBB35_23
; %bb.24:
	s_or_b32 exec_lo, exec_lo, s10
.LBB35_25:
	s_delay_alu instid0(SALU_CYCLE_1)
	s_or_b32 exec_lo, exec_lo, s7
.LBB35_26:
	s_delay_alu instid0(SALU_CYCLE_1)
	s_or_b32 exec_lo, exec_lo, s6
	s_cbranch_execz .LBB35_28
	s_branch .LBB35_39
.LBB35_27:
                                        ; implicit-def: $vgpr35_vgpr36
                                        ; implicit-def: $vgpr39_vgpr40
                                        ; implicit-def: $vgpr33_vgpr34
                                        ; implicit-def: $vgpr31_vgpr32
                                        ; implicit-def: $vgpr41_vgpr42
                                        ; implicit-def: $vgpr43_vgpr44
                                        ; implicit-def: $vgpr45_vgpr46
                                        ; implicit-def: $vgpr37_vgpr38
.LBB35_28:
	v_mov_b32_e32 v35, 0
	v_mov_b32_e32 v36, 0
	s_delay_alu instid0(VALU_DEP_2) | instskip(NEXT) | instid1(VALU_DEP_2)
	v_mov_b32_e32 v33, v35
	v_dual_mov_b32 v31, v35 :: v_dual_mov_b32 v32, v36
	v_dual_mov_b32 v40, v36 :: v_dual_mov_b32 v39, v35
	v_mov_b32_e32 v34, v36
	v_dual_mov_b32 v42, v36 :: v_dual_mov_b32 v41, v35
	v_dual_mov_b32 v44, v36 :: v_dual_mov_b32 v43, v35
	;; [unrolled: 1-line block ×4, first 2 shown]
	s_and_saveexec_b32 s1, s0
	s_cbranch_execz .LBB35_38
; %bb.29:
	v_or_b32_e32 v0, 4, v55
	v_not_b32_e32 v3, v47
	v_not_b32_e32 v2, v48
	s_mov_b32 s7, 0
	s_mov_b32 s6, exec_lo
	v_sub_co_u32 v0, s0, v0, s12
	s_delay_alu instid0(VALU_DEP_1) | instskip(SKIP_1) | instid1(VALU_DEP_3)
	v_sub_co_ci_u32_e64 v1, null, 0, 0, s0
	v_sub_co_u32 v4, s0, s12, v55
	v_add_co_u32 v0, vcc_lo, v0, v47
	s_delay_alu instid0(VALU_DEP_3) | instskip(SKIP_1) | instid1(VALU_DEP_2)
	v_add_co_ci_u32_e32 v1, vcc_lo, v1, v48, vcc_lo
	v_sub_co_ci_u32_e64 v5, null, 0, 0, s0
	v_cmp_gt_i64_e32 vcc_lo, v[0:1], v[27:28]
	v_dual_cndmask_b32 v1, v28, v1 :: v_dual_cndmask_b32 v0, v27, v0
	v_add_co_u32 v3, vcc_lo, v4, v3
	s_delay_alu instid0(VALU_DEP_4) | instskip(NEXT) | instid1(VALU_DEP_2)
	v_add_co_ci_u32_e32 v2, vcc_lo, v5, v2, vcc_lo
	v_add_co_u32 v0, vcc_lo, v3, v0
	s_delay_alu instid0(VALU_DEP_2) | instskip(NEXT) | instid1(VALU_DEP_2)
	v_add_co_ci_u32_e32 v1, vcc_lo, v2, v1, vcc_lo
	v_lshrrev_b32_e32 v2, 2, v0
	v_mov_b32_e32 v37, 0
	v_mov_b32_e32 v38, 0
	s_delay_alu instid0(VALU_DEP_2) | instskip(NEXT) | instid1(VALU_DEP_4)
	v_mov_b32_e32 v31, v37
	v_dual_mov_b32 v33, v37 :: v_dual_add_nc_u32 v2, 1, v2
	s_delay_alu instid0(VALU_DEP_3)
	v_dual_mov_b32 v35, v37 :: v_dual_mov_b32 v42, v38
	v_mov_b32_e32 v32, v38
	v_mov_b32_e32 v40, v38
	v_dual_mov_b32 v46, v38 :: v_dual_mov_b32 v45, v37
	v_dual_mov_b32 v44, v38 :: v_dual_mov_b32 v43, v37
	v_dual_mov_b32 v41, v37 :: v_dual_and_b32 v2, 3, v2
	v_dual_mov_b32 v34, v38 :: v_dual_mov_b32 v39, v37
	v_mov_b32_e32 v36, v38
	s_delay_alu instid0(VALU_DEP_3)
	v_cmpx_ne_u32_e32 0, v2
	s_cbranch_execz .LBB35_33
; %bb.30:
	v_lshlrev_b64 v[4:5], 2, v[25:26]
	v_dual_mov_b32 v35, 0 :: v_dual_lshlrev_b32 v2, 2, v2
	v_dual_mov_b32 v3, 0 :: v_dual_mov_b32 v36, 0
	s_delay_alu instid0(VALU_DEP_2) | instskip(NEXT) | instid1(VALU_DEP_4)
	v_mov_b32_e32 v33, v35
	v_add_co_u32 v4, vcc_lo, s8, v4
	v_add_co_ci_u32_e32 v5, vcc_lo, s9, v5, vcc_lo
	s_delay_alu instid0(VALU_DEP_4)
	v_mov_b32_e32 v34, v36
	v_dual_mov_b32 v40, v36 :: v_dual_mov_b32 v39, v35
	v_dual_mov_b32 v31, v35 :: v_dual_mov_b32 v32, v36
	;; [unrolled: 1-line block ×6, first 2 shown]
.LBB35_31:                              ; =>This Inner Loop Header: Depth=1
	global_load_b32 v14, v[4:5], off
	s_clause 0x3
	global_load_b128 v[6:9], v[29:30], off offset:48
	global_load_b128 v[10:13], v[29:30], off offset:32
	;; [unrolled: 1-line block ×3, first 2 shown]
	global_load_b128 v[51:54], v[29:30], off
	v_add_co_u32 v4, s0, v4, 16
	s_delay_alu instid0(VALU_DEP_1) | instskip(SKIP_2) | instid1(VALU_DEP_1)
	v_add_co_ci_u32_e64 v5, s0, 0, v5, s0
	s_waitcnt vmcnt(4)
	v_subrev_nc_u32_e32 v14, s12, v14
	v_lshlrev_b32_e32 v14, 2, v14
	s_delay_alu instid0(VALU_DEP_1) | instskip(NEXT) | instid1(VALU_DEP_1)
	v_ashrrev_i32_e32 v15, 31, v14
	v_lshlrev_b64 v[14:15], 4, v[14:15]
	s_waitcnt lgkmcnt(0)
	s_delay_alu instid0(VALU_DEP_1) | instskip(NEXT) | instid1(VALU_DEP_2)
	v_add_co_u32 v14, vcc_lo, s4, v14
	v_add_co_ci_u32_e32 v15, vcc_lo, s5, v15, vcc_lo
	s_clause 0x1
	global_load_b128 v[56:59], v[14:15], off
	global_load_b128 v[60:63], v[14:15], off offset:16
	s_clause 0x7
	global_load_b128 v[64:67], v[29:30], off offset:64
	global_load_b128 v[68:71], v[29:30], off offset:80
	;; [unrolled: 1-line block ×8, first 2 shown]
	s_clause 0x1
	global_load_b128 v[96:99], v[14:15], off offset:32
	global_load_b128 v[100:103], v[14:15], off offset:48
	s_clause 0x3
	global_load_b128 v[104:107], v[29:30], off offset:192
	global_load_b128 v[108:111], v[29:30], off offset:208
	;; [unrolled: 1-line block ×4, first 2 shown]
	v_add_co_u32 v29, vcc_lo, 0x400, v29
	v_add_co_ci_u32_e32 v30, vcc_lo, 0, v30, vcc_lo
	v_add_co_u32 v2, vcc_lo, v2, -4
	v_add_co_ci_u32_e32 v3, vcc_lo, -1, v3, vcc_lo
	v_add_co_u32 v25, vcc_lo, v25, 4
	v_add_co_ci_u32_e32 v26, vcc_lo, 0, v26, vcc_lo
	s_delay_alu instid0(VALU_DEP_3)
	v_cmp_eq_u64_e32 vcc_lo, 0, v[2:3]
	s_or_b32 s7, vcc_lo, s7
	s_waitcnt vmcnt(15)
	v_fma_f64 v[14:15], v[51:52], v[56:57], v[39:40]
	v_fma_f64 v[35:36], v[53:54], v[56:57], v[35:36]
	;; [unrolled: 1-line block ×8, first 2 shown]
	v_fma_f64 v[14:15], -v[53:54], v[58:59], v[14:15]
	v_fma_f64 v[35:36], v[51:52], v[58:59], v[35:36]
	v_fma_f64 v[39:40], -v[49:50], v[58:59], v[39:40]
	v_fma_f64 v[37:38], v[47:48], v[58:59], v[37:38]
	;; [unrolled: 2-line block ×4, first 2 shown]
	s_waitcnt vmcnt(13)
	v_fma_f64 v[14:15], v[64:65], v[60:61], v[14:15]
	v_fma_f64 v[31:32], v[66:67], v[60:61], v[35:36]
	s_waitcnt vmcnt(12)
	v_fma_f64 v[33:34], v[68:69], v[60:61], v[39:40]
	v_fma_f64 v[35:36], v[70:71], v[60:61], v[37:38]
	;; [unrolled: 3-line block ×4, first 2 shown]
	v_fma_f64 v[14:15], -v[66:67], v[62:63], v[14:15]
	v_fma_f64 v[31:32], v[64:65], v[62:63], v[31:32]
	v_fma_f64 v[33:34], -v[70:71], v[62:63], v[33:34]
	v_fma_f64 v[35:36], v[68:69], v[62:63], v[35:36]
	;; [unrolled: 2-line block ×4, first 2 shown]
	s_waitcnt vmcnt(5)
	v_fma_f64 v[14:15], v[92:93], v[96:97], v[14:15]
	v_fma_f64 v[31:32], v[94:95], v[96:97], v[31:32]
	;; [unrolled: 1-line block ×8, first 2 shown]
	v_fma_f64 v[14:15], -v[94:95], v[98:99], v[14:15]
	v_fma_f64 v[31:32], v[92:93], v[98:99], v[31:32]
	v_fma_f64 v[33:34], -v[90:91], v[98:99], v[33:34]
	v_fma_f64 v[35:36], v[88:89], v[98:99], v[35:36]
	;; [unrolled: 2-line block ×4, first 2 shown]
	s_waitcnt vmcnt(3)
	v_fma_f64 v[14:15], v[104:105], v[100:101], v[14:15]
	v_fma_f64 v[31:32], v[106:107], v[100:101], v[31:32]
	s_waitcnt vmcnt(2)
	v_fma_f64 v[33:34], v[108:109], v[100:101], v[33:34]
	v_fma_f64 v[37:38], v[110:111], v[100:101], v[35:36]
	;; [unrolled: 3-line block ×4, first 2 shown]
	v_fma_f64 v[39:40], -v[106:107], v[102:103], v[14:15]
	v_fma_f64 v[35:36], v[104:105], v[102:103], v[31:32]
	v_fma_f64 v[45:46], -v[110:111], v[102:103], v[33:34]
	v_fma_f64 v[37:38], v[108:109], v[102:103], v[37:38]
	;; [unrolled: 2-line block ×4, first 2 shown]
	s_and_not1_b32 exec_lo, exec_lo, s7
	s_cbranch_execnz .LBB35_31
; %bb.32:
	s_or_b32 exec_lo, exec_lo, s7
.LBB35_33:
	s_delay_alu instid0(SALU_CYCLE_1) | instskip(NEXT) | instid1(SALU_CYCLE_1)
	s_or_b32 exec_lo, exec_lo, s6
	s_mov_b32 s6, exec_lo
	v_cmpx_lt_u64_e32 11, v[0:1]
	s_cbranch_execz .LBB35_37
; %bb.34:
	v_lshlrev_b64 v[0:1], 2, v[25:26]
	s_mov_b32 s7, 0
	s_delay_alu instid0(VALU_DEP_1) | instskip(NEXT) | instid1(VALU_DEP_2)
	v_add_co_u32 v0, vcc_lo, v0, s8
	v_add_co_ci_u32_e32 v1, vcc_lo, s9, v1, vcc_lo
	s_delay_alu instid0(VALU_DEP_2) | instskip(NEXT) | instid1(VALU_DEP_2)
	v_add_co_u32 v47, vcc_lo, v0, 32
	v_add_co_ci_u32_e32 v48, vcc_lo, 0, v1, vcc_lo
.LBB35_35:                              ; =>This Inner Loop Header: Depth=1
	s_clause 0x1
	global_load_b32 v49, v[47:48], off offset:-32
	global_load_b32 v51, v[47:48], off offset:-16
	s_clause 0x3
	global_load_b128 v[0:3], v[29:30], off offset:48
	global_load_b128 v[4:7], v[29:30], off offset:32
	global_load_b128 v[8:11], v[29:30], off offset:16
	global_load_b128 v[12:15], v[29:30], off
	s_clause 0x1
	global_load_b32 v50, v[47:48], off
	global_load_b32 v52, v[47:48], off offset:16
	v_add_co_u32 v47, s0, v47, 64
	s_delay_alu instid0(VALU_DEP_1) | instskip(SKIP_2) | instid1(VALU_DEP_1)
	v_add_co_ci_u32_e64 v48, s0, 0, v48, s0
	s_waitcnt vmcnt(7)
	v_subrev_nc_u32_e32 v49, s12, v49
	v_lshlrev_b32_e32 v53, 2, v49
	s_waitcnt vmcnt(6)
	v_subrev_nc_u32_e32 v49, s12, v51
	s_waitcnt vmcnt(0)
	v_subrev_nc_u32_e32 v51, s12, v52
	v_ashrrev_i32_e32 v54, 31, v53
	s_delay_alu instid0(VALU_DEP_2) | instskip(NEXT) | instid1(VALU_DEP_2)
	v_lshlrev_b32_e32 v51, 2, v51
	v_lshlrev_b64 v[53:54], 4, v[53:54]
	s_delay_alu instid0(VALU_DEP_2) | instskip(SKIP_1) | instid1(VALU_DEP_2)
	v_ashrrev_i32_e32 v52, 31, v51
	s_waitcnt lgkmcnt(0)
	v_add_co_u32 v53, vcc_lo, s4, v53
	s_delay_alu instid0(VALU_DEP_3)
	v_add_co_ci_u32_e32 v54, vcc_lo, s5, v54, vcc_lo
	global_load_b128 v[56:59], v[53:54], off
	s_clause 0x3
	global_load_b128 v[60:63], v[29:30], off offset:112
	global_load_b128 v[64:67], v[29:30], off offset:96
	global_load_b128 v[68:71], v[29:30], off offset:80
	global_load_b128 v[72:75], v[29:30], off offset:64
	global_load_b128 v[76:79], v[53:54], off offset:16
	s_clause 0x3
	global_load_b128 v[80:83], v[29:30], off offset:176
	global_load_b128 v[84:87], v[29:30], off offset:160
	global_load_b128 v[88:91], v[29:30], off offset:144
	global_load_b128 v[92:95], v[29:30], off offset:128
	global_load_b128 v[96:99], v[53:54], off offset:32
	;; [unrolled: 6-line block ×3, first 2 shown]
	s_clause 0x3
	global_load_b128 v[120:123], v[29:30], off offset:1072
	global_load_b128 v[124:127], v[29:30], off offset:1056
	;; [unrolled: 1-line block ×4, first 2 shown]
	v_lshlrev_b32_e32 v53, 2, v49
	v_subrev_nc_u32_e32 v49, s12, v50
	s_delay_alu instid0(VALU_DEP_2) | instskip(NEXT) | instid1(VALU_DEP_2)
	v_ashrrev_i32_e32 v54, 31, v53
	v_lshlrev_b32_e32 v49, 2, v49
	s_delay_alu instid0(VALU_DEP_2) | instskip(NEXT) | instid1(VALU_DEP_2)
	v_lshlrev_b64 v[53:54], 4, v[53:54]
	v_ashrrev_i32_e32 v50, 31, v49
	s_delay_alu instid0(VALU_DEP_1) | instskip(NEXT) | instid1(VALU_DEP_3)
	v_lshlrev_b64 v[49:50], 4, v[49:50]
	v_add_co_u32 v53, vcc_lo, s4, v53
	s_delay_alu instid0(VALU_DEP_4) | instskip(NEXT) | instid1(VALU_DEP_3)
	v_add_co_ci_u32_e32 v54, vcc_lo, s5, v54, vcc_lo
	v_add_co_u32 v49, vcc_lo, s4, v49
	global_load_b128 v[136:139], v[53:54], off
	v_add_co_ci_u32_e32 v50, vcc_lo, s5, v50, vcc_lo
	s_waitcnt vmcnt(20)
	v_fma_f64 v[39:40], v[12:13], v[56:57], v[39:40]
	v_fma_f64 v[35:36], v[14:15], v[56:57], v[35:36]
	v_fma_f64 v[45:46], v[8:9], v[56:57], v[45:46]
	v_fma_f64 v[37:38], v[10:11], v[56:57], v[37:38]
	v_fma_f64 v[41:42], v[4:5], v[56:57], v[41:42]
	v_fma_f64 v[43:44], v[6:7], v[56:57], v[43:44]
	v_fma_f64 v[33:34], v[0:1], v[56:57], v[33:34]
	v_fma_f64 v[31:32], v[2:3], v[56:57], v[31:32]
	v_fma_f64 v[39:40], -v[14:15], v[58:59], v[39:40]
	v_fma_f64 v[35:36], v[12:13], v[58:59], v[35:36]
	v_fma_f64 v[45:46], -v[10:11], v[58:59], v[45:46]
	v_fma_f64 v[37:38], v[8:9], v[58:59], v[37:38]
	v_fma_f64 v[41:42], -v[6:7], v[58:59], v[41:42]
	v_fma_f64 v[43:44], v[4:5], v[58:59], v[43:44]
	v_fma_f64 v[56:57], -v[2:3], v[58:59], v[33:34]
	v_fma_f64 v[58:59], v[0:1], v[58:59], v[31:32]
	s_clause 0x3
	global_load_b128 v[0:3], v[29:30], off offset:1136
	global_load_b128 v[4:7], v[29:30], off offset:1120
	global_load_b128 v[8:11], v[29:30], off offset:1104
	global_load_b128 v[12:15], v[29:30], off offset:1088
	global_load_b128 v[31:34], v[53:54], off offset:16
	s_waitcnt vmcnt(20)
	v_fma_f64 v[39:40], v[72:73], v[76:77], v[39:40]
	v_fma_f64 v[35:36], v[74:75], v[76:77], v[35:36]
	v_fma_f64 v[45:46], v[68:69], v[76:77], v[45:46]
	v_fma_f64 v[37:38], v[70:71], v[76:77], v[37:38]
	v_fma_f64 v[41:42], v[64:65], v[76:77], v[41:42]
	v_fma_f64 v[43:44], v[66:67], v[76:77], v[43:44]
	v_fma_f64 v[56:57], v[60:61], v[76:77], v[56:57]
	v_fma_f64 v[58:59], v[62:63], v[76:77], v[58:59]
	v_fma_f64 v[74:75], -v[74:75], v[78:79], v[39:40]
	v_fma_f64 v[72:73], v[72:73], v[78:79], v[35:36]
	v_fma_f64 v[70:71], -v[70:71], v[78:79], v[45:46]
	v_fma_f64 v[68:69], v[68:69], v[78:79], v[37:38]
	v_fma_f64 v[66:67], -v[66:67], v[78:79], v[41:42]
	v_fma_f64 v[64:65], v[64:65], v[78:79], v[43:44]
	v_fma_f64 v[76:77], -v[62:63], v[78:79], v[56:57]
	v_fma_f64 v[78:79], v[60:61], v[78:79], v[58:59]
	s_clause 0x3
	global_load_b128 v[35:38], v[29:30], off offset:1200
	global_load_b128 v[39:42], v[29:30], off offset:1184
	global_load_b128 v[43:46], v[29:30], off offset:1168
	global_load_b128 v[56:59], v[29:30], off offset:1152
	global_load_b128 v[60:63], v[53:54], off offset:32
	;; [unrolled: 23-line block ×3, first 2 shown]
	s_waitcnt vmcnt(20)
	v_fma_f64 v[53:54], v[112:113], v[116:117], v[94:95]
	v_fma_f64 v[140:141], v[114:115], v[116:117], v[92:93]
	;; [unrolled: 1-line block ×8, first 2 shown]
	s_clause 0x3
	global_load_b128 v[84:87], v[29:30], off offset:2096
	global_load_b128 v[88:91], v[29:30], off offset:2080
	;; [unrolled: 1-line block ×4, first 2 shown]
	v_fma_f64 v[53:54], -v[114:115], v[118:119], v[53:54]
	v_fma_f64 v[112:113], v[112:113], v[118:119], v[140:141]
	v_fma_f64 v[110:111], -v[110:111], v[118:119], v[142:143]
	v_fma_f64 v[108:109], v[108:109], v[118:119], v[144:145]
	;; [unrolled: 2-line block ×4, first 2 shown]
	global_load_b128 v[100:103], v[49:50], off
	s_waitcnt vmcnt(20)
	v_fma_f64 v[53:54], v[132:133], v[136:137], v[53:54]
	v_fma_f64 v[112:113], v[134:135], v[136:137], v[112:113]
	v_fma_f64 v[110:111], v[128:129], v[136:137], v[110:111]
	v_fma_f64 v[108:109], v[130:131], v[136:137], v[108:109]
	v_fma_f64 v[106:107], v[124:125], v[136:137], v[106:107]
	v_fma_f64 v[104:105], v[126:127], v[136:137], v[104:105]
	v_fma_f64 v[114:115], v[120:121], v[136:137], v[114:115]
	v_fma_f64 v[116:117], v[122:123], v[136:137], v[116:117]
	v_fma_f64 v[53:54], -v[134:135], v[138:139], v[53:54]
	v_fma_f64 v[132:133], v[132:133], v[138:139], v[112:113]
	v_fma_f64 v[130:131], -v[130:131], v[138:139], v[110:111]
	v_fma_f64 v[128:129], v[128:129], v[138:139], v[108:109]
	v_fma_f64 v[126:127], -v[126:127], v[138:139], v[106:107]
	v_fma_f64 v[124:125], v[124:125], v[138:139], v[104:105]
	v_fma_f64 v[134:135], -v[122:123], v[138:139], v[114:115]
	v_fma_f64 v[136:137], v[120:121], v[138:139], v[116:117]
	s_clause 0x3
	global_load_b128 v[104:107], v[29:30], off offset:2160
	global_load_b128 v[108:111], v[29:30], off offset:2144
	global_load_b128 v[112:115], v[29:30], off offset:2128
	global_load_b128 v[116:119], v[29:30], off offset:2112
	global_load_b128 v[120:123], v[49:50], off offset:16
	s_waitcnt vmcnt(20)
	v_fma_f64 v[53:54], v[12:13], v[31:32], v[53:54]
	v_fma_f64 v[132:133], v[14:15], v[31:32], v[132:133]
	v_fma_f64 v[130:131], v[8:9], v[31:32], v[130:131]
	v_fma_f64 v[128:129], v[10:11], v[31:32], v[128:129]
	v_fma_f64 v[126:127], v[4:5], v[31:32], v[126:127]
	v_fma_f64 v[124:125], v[6:7], v[31:32], v[124:125]
	v_fma_f64 v[134:135], v[0:1], v[31:32], v[134:135]
	v_fma_f64 v[31:32], v[2:3], v[31:32], v[136:137]
	v_fma_f64 v[53:54], -v[14:15], v[33:34], v[53:54]
	v_fma_f64 v[132:133], v[12:13], v[33:34], v[132:133]
	v_fma_f64 v[130:131], -v[10:11], v[33:34], v[130:131]
	v_fma_f64 v[128:129], v[8:9], v[33:34], v[128:129]
	v_fma_f64 v[126:127], -v[6:7], v[33:34], v[126:127]
	v_fma_f64 v[124:125], v[4:5], v[33:34], v[124:125]
	v_fma_f64 v[134:135], -v[2:3], v[33:34], v[134:135]
	v_fma_f64 v[136:137], v[0:1], v[33:34], v[31:32]
	s_clause 0x3
	global_load_b128 v[0:3], v[29:30], off offset:2224
	global_load_b128 v[4:7], v[29:30], off offset:2208
	global_load_b128 v[8:11], v[29:30], off offset:2192
	global_load_b128 v[12:15], v[29:30], off offset:2176
	global_load_b128 v[31:34], v[49:50], off offset:32
	;; [unrolled: 23-line block ×3, first 2 shown]
	s_waitcnt vmcnt(20)
	v_fma_f64 v[49:50], v[76:77], v[80:81], v[53:54]
	v_fma_f64 v[53:54], v[78:79], v[80:81], v[132:133]
	;; [unrolled: 1-line block ×8, first 2 shown]
	s_clause 0x3
	global_load_b128 v[124:127], v[29:30], off offset:3120
	global_load_b128 v[128:131], v[29:30], off offset:3104
	;; [unrolled: 1-line block ×4, first 2 shown]
	v_fma_f64 v[78:79], -v[78:79], v[82:83], v[49:50]
	v_fma_f64 v[53:54], v[76:77], v[82:83], v[53:54]
	v_fma_f64 v[74:75], -v[74:75], v[82:83], v[140:141]
	v_fma_f64 v[72:73], v[72:73], v[82:83], v[142:143]
	v_fma_f64 v[70:71], -v[70:71], v[82:83], v[144:145]
	v_fma_f64 v[68:69], v[68:69], v[82:83], v[146:147]
	v_fma_f64 v[76:77], -v[66:67], v[82:83], v[148:149]
	v_fma_f64 v[80:81], v[64:65], v[82:83], v[80:81]
	v_lshlrev_b64 v[49:50], 4, v[51:52]
	s_delay_alu instid0(VALU_DEP_1) | instskip(NEXT) | instid1(VALU_DEP_2)
	v_add_co_u32 v140, vcc_lo, s4, v49
	v_add_co_ci_u32_e32 v141, vcc_lo, s5, v50, vcc_lo
	s_clause 0x1
	global_load_b128 v[49:52], v[140:141], off
	global_load_b128 v[64:67], v[140:141], off offset:16
	v_add_co_u32 v25, vcc_lo, v25, 16
	v_add_co_ci_u32_e32 v26, vcc_lo, 0, v26, vcc_lo
	s_waitcnt vmcnt(21)
	v_fma_f64 v[78:79], v[96:97], v[100:101], v[78:79]
	v_fma_f64 v[53:54], v[98:99], v[100:101], v[53:54]
	;; [unrolled: 1-line block ×8, first 2 shown]
	v_fma_f64 v[98:99], -v[98:99], v[102:103], v[78:79]
	v_fma_f64 v[53:54], v[96:97], v[102:103], v[53:54]
	v_fma_f64 v[94:95], -v[94:95], v[102:103], v[74:75]
	v_fma_f64 v[92:93], v[92:93], v[102:103], v[72:73]
	;; [unrolled: 2-line block ×4, first 2 shown]
	s_clause 0x3
	global_load_b128 v[68:71], v[29:30], off offset:3136
	global_load_b128 v[72:75], v[29:30], off offset:3152
	;; [unrolled: 1-line block ×4, first 2 shown]
	s_waitcnt vmcnt(20)
	v_fma_f64 v[96:97], v[116:117], v[120:121], v[98:99]
	v_fma_f64 v[53:54], v[118:119], v[120:121], v[53:54]
	;; [unrolled: 1-line block ×8, first 2 shown]
	v_fma_f64 v[118:119], -v[118:119], v[122:123], v[96:97]
	v_fma_f64 v[53:54], v[116:117], v[122:123], v[53:54]
	v_fma_f64 v[114:115], -v[114:115], v[122:123], v[94:95]
	v_fma_f64 v[112:113], v[112:113], v[122:123], v[92:93]
	;; [unrolled: 2-line block ×4, first 2 shown]
	s_clause 0x3
	global_load_b128 v[84:87], v[29:30], off offset:3248
	global_load_b128 v[88:91], v[29:30], off offset:3232
	;; [unrolled: 1-line block ×4, first 2 shown]
	s_clause 0x1
	global_load_b128 v[100:103], v[140:141], off offset:32
	global_load_b128 v[104:107], v[140:141], off offset:48
	s_waitcnt vmcnt(21)
	v_fma_f64 v[118:119], v[12:13], v[31:32], v[118:119]
	v_fma_f64 v[53:54], v[14:15], v[31:32], v[53:54]
	;; [unrolled: 1-line block ×8, first 2 shown]
	v_fma_f64 v[118:119], -v[14:15], v[33:34], v[118:119]
	v_fma_f64 v[53:54], v[12:13], v[33:34], v[53:54]
	v_fma_f64 v[114:115], -v[10:11], v[33:34], v[114:115]
	v_fma_f64 v[112:113], v[8:9], v[33:34], v[112:113]
	;; [unrolled: 2-line block ×4, first 2 shown]
	s_clause 0x3
	global_load_b128 v[0:3], v[29:30], off offset:3264
	global_load_b128 v[4:7], v[29:30], off offset:3280
	;; [unrolled: 1-line block ×4, first 2 shown]
	v_add_co_u32 v29, vcc_lo, 0x1000, v29
	v_add_co_ci_u32_e32 v30, vcc_lo, 0, v30, vcc_lo
	v_cmp_ge_i64_e32 vcc_lo, v[25:26], v[27:28]
	s_or_b32 s7, vcc_lo, s7
	s_waitcnt vmcnt(20)
	v_fma_f64 v[33:34], v[56:57], v[60:61], v[118:119]
	v_fma_f64 v[53:54], v[58:59], v[60:61], v[53:54]
	;; [unrolled: 1-line block ×8, first 2 shown]
	v_fma_f64 v[33:34], -v[58:59], v[62:63], v[33:34]
	v_fma_f64 v[53:54], v[56:57], v[62:63], v[53:54]
	v_fma_f64 v[45:46], -v[45:46], v[62:63], v[114:115]
	v_fma_f64 v[43:44], v[43:44], v[62:63], v[112:113]
	v_fma_f64 v[41:42], -v[41:42], v[62:63], v[110:111]
	v_fma_f64 v[39:40], v[39:40], v[62:63], v[108:109]
	v_fma_f64 v[37:38], -v[37:38], v[62:63], v[116:117]
	v_fma_f64 v[31:32], v[35:36], v[62:63], v[31:32]
	s_waitcnt vmcnt(15)
	v_fma_f64 v[33:34], v[136:137], v[49:50], v[33:34]
	v_fma_f64 v[35:36], v[138:139], v[49:50], v[53:54]
	;; [unrolled: 1-line block ×8, first 2 shown]
	v_fma_f64 v[33:34], -v[138:139], v[51:52], v[33:34]
	v_fma_f64 v[35:36], v[136:137], v[51:52], v[35:36]
	v_fma_f64 v[45:46], -v[134:135], v[51:52], v[45:46]
	v_fma_f64 v[43:44], v[132:133], v[51:52], v[43:44]
	;; [unrolled: 2-line block ×4, first 2 shown]
	s_waitcnt vmcnt(13)
	v_fma_f64 v[33:34], v[68:69], v[64:65], v[33:34]
	v_fma_f64 v[35:36], v[70:71], v[64:65], v[35:36]
	s_waitcnt vmcnt(12)
	v_fma_f64 v[45:46], v[72:73], v[64:65], v[45:46]
	v_fma_f64 v[43:44], v[74:75], v[64:65], v[43:44]
	;; [unrolled: 3-line block ×4, first 2 shown]
	v_fma_f64 v[33:34], -v[70:71], v[66:67], v[33:34]
	v_fma_f64 v[35:36], v[68:69], v[66:67], v[35:36]
	v_fma_f64 v[45:46], -v[74:75], v[66:67], v[45:46]
	v_fma_f64 v[43:44], v[72:73], v[66:67], v[43:44]
	;; [unrolled: 2-line block ×4, first 2 shown]
	s_waitcnt vmcnt(5)
	v_fma_f64 v[33:34], v[96:97], v[100:101], v[33:34]
	v_fma_f64 v[35:36], v[98:99], v[100:101], v[35:36]
	v_fma_f64 v[45:46], v[92:93], v[100:101], v[45:46]
	v_fma_f64 v[43:44], v[94:95], v[100:101], v[43:44]
	v_fma_f64 v[41:42], v[88:89], v[100:101], v[41:42]
	v_fma_f64 v[39:40], v[90:91], v[100:101], v[39:40]
	v_fma_f64 v[37:38], v[84:85], v[100:101], v[37:38]
	v_fma_f64 v[31:32], v[86:87], v[100:101], v[31:32]
	v_fma_f64 v[33:34], -v[98:99], v[102:103], v[33:34]
	v_fma_f64 v[35:36], v[96:97], v[102:103], v[35:36]
	v_fma_f64 v[45:46], -v[94:95], v[102:103], v[45:46]
	v_fma_f64 v[43:44], v[92:93], v[102:103], v[43:44]
	;; [unrolled: 2-line block ×4, first 2 shown]
	s_waitcnt vmcnt(3)
	v_fma_f64 v[33:34], v[0:1], v[104:105], v[33:34]
	v_fma_f64 v[35:36], v[2:3], v[104:105], v[35:36]
	s_waitcnt vmcnt(2)
	v_fma_f64 v[45:46], v[4:5], v[104:105], v[45:46]
	v_fma_f64 v[43:44], v[6:7], v[104:105], v[43:44]
	;; [unrolled: 3-line block ×4, first 2 shown]
	v_fma_f64 v[39:40], -v[2:3], v[106:107], v[33:34]
	v_fma_f64 v[35:36], v[0:1], v[106:107], v[35:36]
	v_fma_f64 v[45:46], -v[6:7], v[106:107], v[45:46]
	v_fma_f64 v[37:38], v[4:5], v[106:107], v[43:44]
	;; [unrolled: 2-line block ×4, first 2 shown]
	s_and_not1_b32 exec_lo, exec_lo, s7
	s_cbranch_execnz .LBB35_35
; %bb.36:
	s_or_b32 exec_lo, exec_lo, s7
.LBB35_37:
	s_delay_alu instid0(SALU_CYCLE_1)
	s_or_b32 exec_lo, exec_lo, s6
.LBB35_38:
	s_delay_alu instid0(SALU_CYCLE_1)
	s_or_b32 exec_lo, exec_lo, s1
.LBB35_39:
	v_mbcnt_lo_u32_b32 v29, -1, 0
	s_delay_alu instid0(VALU_DEP_1) | instskip(NEXT) | instid1(VALU_DEP_1)
	v_xor_b32_e32 v0, 2, v29
	v_cmp_gt_i32_e32 vcc_lo, 32, v0
	v_cndmask_b32_e32 v0, v29, v0, vcc_lo
	s_delay_alu instid0(VALU_DEP_1)
	v_lshlrev_b32_e32 v14, 2, v0
	ds_bpermute_b32 v0, v14, v39
	ds_bpermute_b32 v1, v14, v40
	;; [unrolled: 1-line block ×16, first 2 shown]
	s_waitcnt lgkmcnt(0)
	v_add_f64 v[0:1], v[39:40], v[0:1]
	v_add_f64 v[27:28], v[35:36], v[2:3]
	;; [unrolled: 1-line block ×7, first 2 shown]
	v_xor_b32_e32 v12, 1, v29
	v_add_f64 v[8:9], v[31:32], v[25:26]
	s_delay_alu instid0(VALU_DEP_2) | instskip(SKIP_2) | instid1(VALU_DEP_2)
	v_cmp_gt_i32_e32 vcc_lo, 32, v12
	v_cndmask_b32_e32 v12, v29, v12, vcc_lo
	v_cmp_eq_u32_e32 vcc_lo, 3, v55
	v_lshlrev_b32_e32 v34, 2, v12
	ds_bpermute_b32 v12, v34, v0
	ds_bpermute_b32 v13, v34, v1
	;; [unrolled: 1-line block ×16, first 2 shown]
	s_and_b32 exec_lo, exec_lo, vcc_lo
	s_cbranch_execz .LBB35_12
; %bb.40:
	s_waitcnt lgkmcnt(12)
	v_add_f64 v[27:28], v[27:28], v[39:40]
	s_waitcnt lgkmcnt(8)
	v_add_f64 v[14:15], v[14:15], v[37:38]
	;; [unrolled: 2-line block ×4, first 2 shown]
	v_add_f64 v[0:1], v[0:1], v[12:13]
	v_add_f64 v[2:3], v[2:3], v[25:26]
	;; [unrolled: 1-line block ×4, first 2 shown]
	v_cmp_eq_f64_e32 vcc_lo, 0, v[16:17]
	v_cmp_eq_f64_e64 s0, 0, v[18:19]
	s_load_b64 s[2:3], s[2:3], 0x60
	v_mul_f64 v[4:5], v[27:28], -v[22:23]
	v_mul_f64 v[6:7], v[20:21], v[27:28]
	v_mul_f64 v[27:28], v[14:15], -v[22:23]
	v_mul_f64 v[31:32], v[20:21], v[14:15]
	;; [unrolled: 2-line block ×4, first 2 shown]
	s_and_b32 s0, vcc_lo, s0
	v_fma_f64 v[12:13], v[20:21], v[0:1], v[4:5]
	v_fma_f64 v[14:15], v[22:23], v[0:1], v[6:7]
	;; [unrolled: 1-line block ×8, first 2 shown]
	v_lshlrev_b32_e32 v20, 2, v24
	s_and_saveexec_b32 s1, s0
	s_delay_alu instid0(SALU_CYCLE_1)
	s_xor_b32 s0, exec_lo, s1
	s_cbranch_execz .LBB35_42
; %bb.41:
	s_delay_alu instid0(VALU_DEP_1) | instskip(NEXT) | instid1(VALU_DEP_1)
	v_ashrrev_i32_e32 v21, 31, v20
                                        ; implicit-def: $vgpr18_vgpr19
	v_lshlrev_b64 v[16:17], 4, v[20:21]
                                        ; implicit-def: $vgpr20
	s_waitcnt lgkmcnt(0)
	s_delay_alu instid0(VALU_DEP_1) | instskip(NEXT) | instid1(VALU_DEP_2)
	v_add_co_u32 v16, vcc_lo, s2, v16
	v_add_co_ci_u32_e32 v17, vcc_lo, s3, v17, vcc_lo
	s_clause 0x3
	global_store_b128 v[16:17], v[12:15], off
	global_store_b128 v[16:17], v[8:11], off offset:16
	global_store_b128 v[16:17], v[4:7], off offset:32
	;; [unrolled: 1-line block ×3, first 2 shown]
                                        ; implicit-def: $vgpr16_vgpr17
                                        ; implicit-def: $vgpr12_vgpr13
                                        ; implicit-def: $vgpr8_vgpr9
                                        ; implicit-def: $vgpr4_vgpr5
                                        ; implicit-def: $vgpr0_vgpr1
.LBB35_42:
	s_and_not1_saveexec_b32 s0, s0
	s_cbranch_execz .LBB35_12
; %bb.43:
	v_ashrrev_i32_e32 v21, 31, v20
	s_delay_alu instid0(VALU_DEP_1) | instskip(SKIP_1) | instid1(VALU_DEP_1)
	v_lshlrev_b64 v[20:21], 4, v[20:21]
	s_waitcnt lgkmcnt(0)
	v_add_co_u32 v36, vcc_lo, s2, v20
	s_delay_alu instid0(VALU_DEP_2)
	v_add_co_ci_u32_e32 v37, vcc_lo, s3, v21, vcc_lo
	s_clause 0x3
	global_load_b128 v[20:23], v[36:37], off
	global_load_b128 v[24:27], v[36:37], off offset:16
	global_load_b128 v[28:31], v[36:37], off offset:32
	;; [unrolled: 1-line block ×3, first 2 shown]
	s_waitcnt vmcnt(3)
	v_fma_f64 v[12:13], v[16:17], v[20:21], v[12:13]
	v_fma_f64 v[14:15], v[18:19], v[20:21], v[14:15]
	s_waitcnt vmcnt(2)
	v_fma_f64 v[8:9], v[16:17], v[24:25], v[8:9]
	v_fma_f64 v[10:11], v[18:19], v[24:25], v[10:11]
	;; [unrolled: 3-line block ×4, first 2 shown]
	v_fma_f64 v[0:1], -v[18:19], v[22:23], v[12:13]
	v_fma_f64 v[2:3], v[16:17], v[22:23], v[14:15]
	v_fma_f64 v[4:5], -v[18:19], v[26:27], v[8:9]
	v_fma_f64 v[6:7], v[16:17], v[26:27], v[10:11]
	;; [unrolled: 2-line block ×4, first 2 shown]
	s_clause 0x3
	global_store_b128 v[36:37], v[0:3], off
	global_store_b128 v[36:37], v[4:7], off offset:16
	global_store_b128 v[36:37], v[8:11], off offset:32
	;; [unrolled: 1-line block ×3, first 2 shown]
	s_nop 0
	s_sendmsg sendmsg(MSG_DEALLOC_VGPRS)
	s_endpgm
	.section	.rodata,"a",@progbits
	.p2align	6, 0x0
	.amdhsa_kernel _ZN9rocsparseL18bsrxmvn_4x4_kernelILj128ELj4E21rocsparse_complex_numIdEliS2_S2_S2_EEvT3_20rocsparse_direction_NS_24const_host_device_scalarIT1_EES3_PKS3_PKT2_SC_S9_PKT4_PKT5_S7_PT6_21rocsparse_index_base_b
		.amdhsa_group_segment_fixed_size 2048
		.amdhsa_private_segment_fixed_size 0
		.amdhsa_kernarg_size 112
		.amdhsa_user_sgpr_count 15
		.amdhsa_user_sgpr_dispatch_ptr 1
		.amdhsa_user_sgpr_queue_ptr 0
		.amdhsa_user_sgpr_kernarg_segment_ptr 1
		.amdhsa_user_sgpr_dispatch_id 0
		.amdhsa_user_sgpr_private_segment_size 0
		.amdhsa_wavefront_size32 1
		.amdhsa_uses_dynamic_stack 0
		.amdhsa_enable_private_segment 0
		.amdhsa_system_sgpr_workgroup_id_x 1
		.amdhsa_system_sgpr_workgroup_id_y 0
		.amdhsa_system_sgpr_workgroup_id_z 0
		.amdhsa_system_sgpr_workgroup_info 0
		.amdhsa_system_vgpr_workitem_id 2
		.amdhsa_next_free_vgpr 157
		.amdhsa_next_free_sgpr 18
		.amdhsa_reserve_vcc 1
		.amdhsa_float_round_mode_32 0
		.amdhsa_float_round_mode_16_64 0
		.amdhsa_float_denorm_mode_32 3
		.amdhsa_float_denorm_mode_16_64 3
		.amdhsa_dx10_clamp 1
		.amdhsa_ieee_mode 1
		.amdhsa_fp16_overflow 0
		.amdhsa_workgroup_processor_mode 1
		.amdhsa_memory_ordered 1
		.amdhsa_forward_progress 0
		.amdhsa_shared_vgpr_count 0
		.amdhsa_exception_fp_ieee_invalid_op 0
		.amdhsa_exception_fp_denorm_src 0
		.amdhsa_exception_fp_ieee_div_zero 0
		.amdhsa_exception_fp_ieee_overflow 0
		.amdhsa_exception_fp_ieee_underflow 0
		.amdhsa_exception_fp_ieee_inexact 0
		.amdhsa_exception_int_div_zero 0
	.end_amdhsa_kernel
	.section	.text._ZN9rocsparseL18bsrxmvn_4x4_kernelILj128ELj4E21rocsparse_complex_numIdEliS2_S2_S2_EEvT3_20rocsparse_direction_NS_24const_host_device_scalarIT1_EES3_PKS3_PKT2_SC_S9_PKT4_PKT5_S7_PT6_21rocsparse_index_base_b,"axG",@progbits,_ZN9rocsparseL18bsrxmvn_4x4_kernelILj128ELj4E21rocsparse_complex_numIdEliS2_S2_S2_EEvT3_20rocsparse_direction_NS_24const_host_device_scalarIT1_EES3_PKS3_PKT2_SC_S9_PKT4_PKT5_S7_PT6_21rocsparse_index_base_b,comdat
.Lfunc_end35:
	.size	_ZN9rocsparseL18bsrxmvn_4x4_kernelILj128ELj4E21rocsparse_complex_numIdEliS2_S2_S2_EEvT3_20rocsparse_direction_NS_24const_host_device_scalarIT1_EES3_PKS3_PKT2_SC_S9_PKT4_PKT5_S7_PT6_21rocsparse_index_base_b, .Lfunc_end35-_ZN9rocsparseL18bsrxmvn_4x4_kernelILj128ELj4E21rocsparse_complex_numIdEliS2_S2_S2_EEvT3_20rocsparse_direction_NS_24const_host_device_scalarIT1_EES3_PKS3_PKT2_SC_S9_PKT4_PKT5_S7_PT6_21rocsparse_index_base_b
                                        ; -- End function
	.section	.AMDGPU.csdata,"",@progbits
; Kernel info:
; codeLenInByte = 10652
; NumSgprs: 20
; NumVgprs: 157
; ScratchSize: 0
; MemoryBound: 1
; FloatMode: 240
; IeeeMode: 1
; LDSByteSize: 2048 bytes/workgroup (compile time only)
; SGPRBlocks: 2
; VGPRBlocks: 19
; NumSGPRsForWavesPerEU: 20
; NumVGPRsForWavesPerEU: 157
; Occupancy: 9
; WaveLimiterHint : 1
; COMPUTE_PGM_RSRC2:SCRATCH_EN: 0
; COMPUTE_PGM_RSRC2:USER_SGPR: 15
; COMPUTE_PGM_RSRC2:TRAP_HANDLER: 0
; COMPUTE_PGM_RSRC2:TGID_X_EN: 1
; COMPUTE_PGM_RSRC2:TGID_Y_EN: 0
; COMPUTE_PGM_RSRC2:TGID_Z_EN: 0
; COMPUTE_PGM_RSRC2:TIDIG_COMP_CNT: 2
	.section	.text._ZN9rocsparseL18bsrxmvn_4x4_kernelILj128ELj8E21rocsparse_complex_numIdEliS2_S2_S2_EEvT3_20rocsparse_direction_NS_24const_host_device_scalarIT1_EES3_PKS3_PKT2_SC_S9_PKT4_PKT5_S7_PT6_21rocsparse_index_base_b,"axG",@progbits,_ZN9rocsparseL18bsrxmvn_4x4_kernelILj128ELj8E21rocsparse_complex_numIdEliS2_S2_S2_EEvT3_20rocsparse_direction_NS_24const_host_device_scalarIT1_EES3_PKS3_PKT2_SC_S9_PKT4_PKT5_S7_PT6_21rocsparse_index_base_b,comdat
	.globl	_ZN9rocsparseL18bsrxmvn_4x4_kernelILj128ELj8E21rocsparse_complex_numIdEliS2_S2_S2_EEvT3_20rocsparse_direction_NS_24const_host_device_scalarIT1_EES3_PKS3_PKT2_SC_S9_PKT4_PKT5_S7_PT6_21rocsparse_index_base_b ; -- Begin function _ZN9rocsparseL18bsrxmvn_4x4_kernelILj128ELj8E21rocsparse_complex_numIdEliS2_S2_S2_EEvT3_20rocsparse_direction_NS_24const_host_device_scalarIT1_EES3_PKS3_PKT2_SC_S9_PKT4_PKT5_S7_PT6_21rocsparse_index_base_b
	.p2align	8
	.type	_ZN9rocsparseL18bsrxmvn_4x4_kernelILj128ELj8E21rocsparse_complex_numIdEliS2_S2_S2_EEvT3_20rocsparse_direction_NS_24const_host_device_scalarIT1_EES3_PKS3_PKT2_SC_S9_PKT4_PKT5_S7_PT6_21rocsparse_index_base_b,@function
_ZN9rocsparseL18bsrxmvn_4x4_kernelILj128ELj8E21rocsparse_complex_numIdEliS2_S2_S2_EEvT3_20rocsparse_direction_NS_24const_host_device_scalarIT1_EES3_PKS3_PKT2_SC_S9_PKT4_PKT5_S7_PT6_21rocsparse_index_base_b: ; @_ZN9rocsparseL18bsrxmvn_4x4_kernelILj128ELj8E21rocsparse_complex_numIdEliS2_S2_S2_EEvT3_20rocsparse_direction_NS_24const_host_device_scalarIT1_EES3_PKS3_PKT2_SC_S9_PKT4_PKT5_S7_PT6_21rocsparse_index_base_b
; %bb.0:
	s_load_b64 s[12:13], s[2:3], 0x68
	s_load_b64 s[16:17], s[0:1], 0x4
	s_load_b128 s[8:11], s[2:3], 0x8
	v_bfe_u32 v2, v0, 10, 10
	s_mov_b64 s[0:1], src_shared_base
	s_load_b128 s[4:7], s[2:3], 0x50
	v_and_b32_e32 v1, 0x3ff, v0
	v_bfe_u32 v0, v0, 20, 10
	s_waitcnt lgkmcnt(0)
	s_bitcmp1_b32 s13, 0
	v_mul_u32_u24_e32 v2, s17, v2
	s_cselect_b32 s0, -1, 0
	v_mov_b32_e32 v23, s11
	s_and_b32 vcc_lo, s0, exec_lo
	s_cselect_b32 s13, s1, s9
	s_lshr_b32 s14, s16, 16
	v_dual_mov_b32 v4, s4 :: v_dual_mov_b32 v5, s5
	s_mul_i32 s14, s14, s17
	v_dual_mov_b32 v7, s13 :: v_dual_mov_b32 v22, s10
	v_mad_u32_u24 v2, s14, v1, v2
	s_xor_b32 s10, s0, -1
	s_delay_alu instid0(VALU_DEP_1) | instskip(SKIP_1) | instid1(VALU_DEP_2)
	v_add_lshl_u32 v0, v2, v0, 3
	v_dual_mov_b32 v2, s8 :: v_dual_mov_b32 v3, s9
	v_add_nc_u32_e32 v6, 0x400, v0
	ds_store_2addr_stride64_b64 v0, v[4:5], v[2:3] offset1:2
	v_cndmask_b32_e64 v6, s8, v6, s0
	flat_load_b64 v[20:21], v[6:7]
	s_cbranch_vccnz .LBB36_2
; %bb.1:
	v_dual_mov_b32 v2, s8 :: v_dual_mov_b32 v3, s9
	flat_load_b64 v[22:23], v[2:3] offset:8
.LBB36_2:
	s_and_b32 s8, s0, exec_lo
	s_cselect_b32 s1, s1, s5
	v_cndmask_b32_e64 v2, s4, v0, s0
	v_mov_b32_e32 v3, s1
	v_dual_mov_b32 v19, s7 :: v_dual_mov_b32 v18, s6
	s_and_not1_b32 vcc_lo, exec_lo, s10
	flat_load_b64 v[16:17], v[2:3]
	s_cbranch_vccnz .LBB36_4
; %bb.3:
	v_dual_mov_b32 v2, s4 :: v_dual_mov_b32 v3, s5
	flat_load_b64 v[18:19], v[2:3] offset:8
.LBB36_4:
	s_waitcnt vmcnt(1) lgkmcnt(1)
	v_cmp_eq_f64_e32 vcc_lo, 0, v[20:21]
	v_cmp_eq_f64_e64 s0, 0, v[22:23]
	s_delay_alu instid0(VALU_DEP_1)
	s_and_b32 s4, vcc_lo, s0
	s_mov_b32 s0, -1
	s_and_saveexec_b32 s1, s4
	s_cbranch_execz .LBB36_6
; %bb.5:
	s_waitcnt vmcnt(0) lgkmcnt(0)
	v_cmp_neq_f64_e32 vcc_lo, 1.0, v[16:17]
	v_cmp_neq_f64_e64 s0, 0, v[18:19]
	s_delay_alu instid0(VALU_DEP_1) | instskip(NEXT) | instid1(SALU_CYCLE_1)
	s_or_b32 s0, vcc_lo, s0
	s_or_not1_b32 s0, s0, exec_lo
.LBB36_6:
	s_or_b32 exec_lo, exec_lo, s1
	s_and_saveexec_b32 s1, s0
	s_cbranch_execz .LBB36_12
; %bb.7:
	s_clause 0x1
	s_load_b64 s[4:5], s[2:3], 0x20
	s_load_b64 s[0:1], s[2:3], 0x0
	v_lshrrev_b32_e32 v0, 3, v1
	s_delay_alu instid0(VALU_DEP_1)
	v_lshl_or_b32 v24, s15, 4, v0
	s_waitcnt lgkmcnt(0)
	s_cmp_lg_u64 s[4:5], 0
	s_cbranch_scc0 .LBB36_13
; %bb.8:
	s_load_b32 s6, s[2:3], 0x18
	s_mov_b32 s7, 0
                                        ; implicit-def: $vgpr0
	s_waitcnt lgkmcnt(0)
	v_cmp_gt_i32_e32 vcc_lo, s6, v24
	s_mov_b32 s6, 0
	s_and_saveexec_b32 s8, vcc_lo
	s_delay_alu instid0(SALU_CYCLE_1)
	s_xor_b32 s8, exec_lo, s8
	s_cbranch_execz .LBB36_10
; %bb.9:
	v_ashrrev_i32_e32 v25, 31, v24
	s_mov_b32 s6, exec_lo
	s_delay_alu instid0(VALU_DEP_1) | instskip(NEXT) | instid1(VALU_DEP_1)
	v_lshlrev_b64 v[2:3], 2, v[24:25]
	v_add_co_u32 v2, vcc_lo, s4, v2
	s_delay_alu instid0(VALU_DEP_2)
	v_add_co_ci_u32_e32 v3, vcc_lo, s5, v3, vcc_lo
	global_load_b32 v0, v[2:3], off
	s_waitcnt vmcnt(0)
	v_subrev_nc_u32_e32 v0, s12, v0
.LBB36_10:
	s_or_b32 exec_lo, exec_lo, s8
	s_delay_alu instid0(SALU_CYCLE_1)
	s_and_b32 vcc_lo, exec_lo, s7
	s_cbranch_vccz .LBB36_14
.LBB36_11:
	v_cmp_gt_i32_e32 vcc_lo, s0, v24
	s_and_not1_b32 s0, s6, exec_lo
	s_and_b32 s4, vcc_lo, exec_lo
	s_delay_alu instid0(SALU_CYCLE_1) | instskip(NEXT) | instid1(SALU_CYCLE_1)
	s_or_b32 s6, s0, s4
	s_and_b32 exec_lo, exec_lo, s6
	s_cbranch_execnz .LBB36_15
.LBB36_12:
	s_nop 0
	s_sendmsg sendmsg(MSG_DEALLOC_VGPRS)
	s_endpgm
.LBB36_13:
	s_mov_b32 s6, 0
                                        ; implicit-def: $vgpr0
	s_cbranch_execnz .LBB36_11
.LBB36_14:
	s_delay_alu instid0(VALU_DEP_1)
	v_mov_b32_e32 v24, v0
	s_and_b32 exec_lo, exec_lo, s6
	s_cbranch_execz .LBB36_12
.LBB36_15:
	s_load_b256 s[4:11], s[2:3], 0x28
	s_delay_alu instid0(VALU_DEP_1) | instskip(SKIP_1) | instid1(VALU_DEP_2)
	v_ashrrev_i32_e32 v25, 31, v24
	v_and_b32_e32 v55, 7, v1
	v_lshlrev_b64 v[2:3], 3, v[24:25]
	s_waitcnt lgkmcnt(0)
	s_delay_alu instid0(VALU_DEP_1) | instskip(NEXT) | instid1(VALU_DEP_2)
	v_add_co_u32 v4, vcc_lo, s4, v2
	v_add_co_ci_u32_e32 v5, vcc_lo, s5, v3, vcc_lo
	v_add_co_u32 v0, vcc_lo, s6, v2
	v_add_co_ci_u32_e32 v2, vcc_lo, s7, v3, vcc_lo
	s_delay_alu instid0(VALU_DEP_4)
	v_add_co_u32 v6, vcc_lo, v4, 8
	global_load_b64 v[47:48], v[4:5], off
	v_add_co_ci_u32_e32 v3, vcc_lo, 0, v5, vcc_lo
	s_cmp_eq_u64 s[6:7], 0
	s_load_b64 s[4:5], s[2:3], 0x48
	s_cselect_b32 vcc_lo, -1, 0
	s_cmp_eq_u32 s1, 1
	v_dual_cndmask_b32 v3, v2, v3 :: v_dual_cndmask_b32 v2, v0, v6
	global_load_b64 v[2:3], v[2:3], off
	s_waitcnt vmcnt(1)
	v_sub_co_u32 v0, vcc_lo, v47, s12
	v_subrev_co_ci_u32_e32 v1, vcc_lo, 0, v48, vcc_lo
	s_delay_alu instid0(VALU_DEP_2) | instskip(NEXT) | instid1(VALU_DEP_2)
	v_add_co_u32 v25, vcc_lo, v0, v55
	v_add_co_ci_u32_e32 v26, vcc_lo, 0, v1, vcc_lo
	s_delay_alu instid0(VALU_DEP_1) | instskip(SKIP_3) | instid1(VALU_DEP_3)
	v_lshlrev_b64 v[0:1], 8, v[25:26]
	s_waitcnt vmcnt(0)
	v_sub_co_u32 v27, vcc_lo, v2, s12
	v_subrev_co_ci_u32_e32 v28, vcc_lo, 0, v3, vcc_lo
	v_add_co_u32 v29, vcc_lo, s10, v0
	s_delay_alu instid0(VALU_DEP_2)
	v_cmp_lt_i64_e64 s0, v[25:26], v[27:28]
	v_add_co_ci_u32_e32 v30, vcc_lo, s11, v1, vcc_lo
	s_cbranch_scc1 .LBB36_27
; %bb.16:
	v_mov_b32_e32 v35, 0
	v_mov_b32_e32 v36, 0
	s_delay_alu instid0(VALU_DEP_2) | instskip(NEXT) | instid1(VALU_DEP_2)
	v_mov_b32_e32 v33, v35
	v_dual_mov_b32 v31, v35 :: v_dual_mov_b32 v32, v36
	v_dual_mov_b32 v40, v36 :: v_dual_mov_b32 v39, v35
	v_mov_b32_e32 v34, v36
	v_dual_mov_b32 v42, v36 :: v_dual_mov_b32 v41, v35
	v_dual_mov_b32 v44, v36 :: v_dual_mov_b32 v43, v35
	;; [unrolled: 1-line block ×4, first 2 shown]
	s_and_saveexec_b32 s6, s0
	s_cbranch_execz .LBB36_26
; %bb.17:
	v_or_b32_e32 v0, 8, v55
	v_not_b32_e32 v3, v47
	v_not_b32_e32 v2, v48
	v_mov_b32_e32 v52, v26
	s_mov_b32 s10, 0
	v_sub_co_u32 v0, s1, v0, s12
	s_delay_alu instid0(VALU_DEP_1) | instskip(SKIP_1) | instid1(VALU_DEP_3)
	v_sub_co_ci_u32_e64 v1, null, 0, 0, s1
	v_sub_co_u32 v4, s1, s12, v55
	v_add_co_u32 v0, vcc_lo, v0, v47
	s_delay_alu instid0(VALU_DEP_3) | instskip(SKIP_2) | instid1(VALU_DEP_2)
	v_add_co_ci_u32_e32 v1, vcc_lo, v1, v48, vcc_lo
	v_sub_co_ci_u32_e64 v5, null, 0, 0, s1
	s_mov_b32 s7, exec_lo
	v_cmp_gt_i64_e32 vcc_lo, v[0:1], v[27:28]
	v_mov_b32_e32 v51, v25
	v_dual_cndmask_b32 v1, v28, v1 :: v_dual_cndmask_b32 v0, v27, v0
	v_add_co_u32 v3, vcc_lo, v4, v3
	v_add_co_ci_u32_e32 v2, vcc_lo, v5, v2, vcc_lo
	s_delay_alu instid0(VALU_DEP_2) | instskip(NEXT) | instid1(VALU_DEP_2)
	v_add_co_u32 v0, vcc_lo, v3, v0
	v_add_co_ci_u32_e32 v1, vcc_lo, v2, v1, vcc_lo
	s_delay_alu instid0(VALU_DEP_2) | instskip(SKIP_3) | instid1(VALU_DEP_3)
	v_lshrrev_b32_e32 v2, 3, v0
	v_mov_b32_e32 v37, 0
	v_mov_b32_e32 v38, 0
	v_dual_mov_b32 v50, v30 :: v_dual_mov_b32 v49, v29
	v_dual_mov_b32 v31, v37 :: v_dual_add_nc_u32 v2, 1, v2
	s_delay_alu instid0(VALU_DEP_3) | instskip(SKIP_1) | instid1(VALU_DEP_3)
	v_dual_mov_b32 v33, v37 :: v_dual_mov_b32 v46, v38
	v_mov_b32_e32 v44, v38
	v_and_b32_e32 v2, 3, v2
	v_mov_b32_e32 v42, v38
	v_dual_mov_b32 v34, v38 :: v_dual_mov_b32 v35, v37
	v_dual_mov_b32 v40, v38 :: v_dual_mov_b32 v45, v37
	v_mov_b32_e32 v43, v37
	v_dual_mov_b32 v41, v37 :: v_dual_mov_b32 v32, v38
	v_dual_mov_b32 v39, v37 :: v_dual_mov_b32 v36, v38
	v_cmpx_ne_u32_e32 0, v2
	s_cbranch_execz .LBB36_21
; %bb.18:
	v_lshlrev_b64 v[4:5], 2, v[25:26]
	v_dual_mov_b32 v35, 0 :: v_dual_lshlrev_b32 v2, 2, v2
	v_dual_mov_b32 v3, 0 :: v_dual_mov_b32 v36, 0
	v_dual_mov_b32 v52, v26 :: v_dual_mov_b32 v51, v25
	s_delay_alu instid0(VALU_DEP_4)
	v_add_co_u32 v4, vcc_lo, s8, v4
	v_add_co_ci_u32_e32 v5, vcc_lo, s9, v5, vcc_lo
	v_dual_mov_b32 v50, v30 :: v_dual_mov_b32 v49, v29
	v_dual_mov_b32 v40, v36 :: v_dual_mov_b32 v39, v35
	;; [unrolled: 1-line block ×8, first 2 shown]
.LBB36_19:                              ; =>This Inner Loop Header: Depth=1
	global_load_b32 v14, v[4:5], off
	s_clause 0x7
	global_load_b128 v[6:9], v[49:50], off offset:16
	global_load_b128 v[10:13], v[49:50], off
	global_load_b128 v[56:59], v[49:50], off offset:80
	global_load_b128 v[60:63], v[49:50], off offset:64
	;; [unrolled: 1-line block ×6, first 2 shown]
	v_add_co_u32 v4, s1, v4, 32
	s_delay_alu instid0(VALU_DEP_1) | instskip(SKIP_2) | instid1(VALU_DEP_1)
	v_add_co_ci_u32_e64 v5, s1, 0, v5, s1
	s_waitcnt vmcnt(8)
	v_subrev_nc_u32_e32 v14, s12, v14
	v_lshlrev_b32_e32 v14, 2, v14
	s_delay_alu instid0(VALU_DEP_1) | instskip(NEXT) | instid1(VALU_DEP_1)
	v_ashrrev_i32_e32 v15, 31, v14
	v_lshlrev_b64 v[14:15], 4, v[14:15]
	s_waitcnt lgkmcnt(0)
	s_delay_alu instid0(VALU_DEP_1) | instskip(NEXT) | instid1(VALU_DEP_2)
	v_add_co_u32 v14, vcc_lo, s4, v14
	v_add_co_ci_u32_e32 v15, vcc_lo, s5, v15, vcc_lo
	s_clause 0x1
	global_load_b128 v[80:83], v[14:15], off
	global_load_b128 v[84:87], v[14:15], off offset:16
	s_clause 0x7
	global_load_b128 v[88:91], v[49:50], off offset:48
	global_load_b128 v[92:95], v[49:50], off offset:32
	;; [unrolled: 1-line block ×8, first 2 shown]
	s_clause 0x1
	global_load_b128 v[120:123], v[14:15], off offset:32
	global_load_b128 v[124:127], v[14:15], off offset:48
	v_add_co_u32 v49, vcc_lo, 0x800, v49
	v_add_co_ci_u32_e32 v50, vcc_lo, 0, v50, vcc_lo
	v_add_co_u32 v2, vcc_lo, v2, -4
	v_add_co_ci_u32_e32 v3, vcc_lo, -1, v3, vcc_lo
	v_add_co_u32 v51, vcc_lo, v51, 8
	v_add_co_ci_u32_e32 v52, vcc_lo, 0, v52, vcc_lo
	s_delay_alu instid0(VALU_DEP_3)
	v_cmp_eq_u64_e32 vcc_lo, 0, v[2:3]
	s_or_b32 s10, vcc_lo, s10
	s_waitcnt vmcnt(11)
	v_fma_f64 v[14:15], v[10:11], v[80:81], v[39:40]
	v_fma_f64 v[35:36], v[12:13], v[80:81], v[35:36]
	v_fma_f64 v[39:40], v[60:61], v[80:81], v[45:46]
	v_fma_f64 v[37:38], v[62:63], v[80:81], v[37:38]
	v_fma_f64 v[41:42], v[68:69], v[80:81], v[41:42]
	v_fma_f64 v[43:44], v[70:71], v[80:81], v[43:44]
	v_fma_f64 v[33:34], v[76:77], v[80:81], v[33:34]
	v_fma_f64 v[31:32], v[78:79], v[80:81], v[31:32]
	v_fma_f64 v[12:13], -v[12:13], v[82:83], v[14:15]
	v_fma_f64 v[10:11], v[10:11], v[82:83], v[35:36]
	v_fma_f64 v[14:15], -v[62:63], v[82:83], v[39:40]
	v_fma_f64 v[35:36], v[60:61], v[82:83], v[37:38]
	v_fma_f64 v[37:38], -v[70:71], v[82:83], v[41:42]
	v_fma_f64 v[39:40], v[68:69], v[82:83], v[43:44]
	v_fma_f64 v[33:34], -v[78:79], v[82:83], v[33:34]
	v_fma_f64 v[31:32], v[76:77], v[82:83], v[31:32]
	s_waitcnt vmcnt(10)
	v_fma_f64 v[12:13], v[6:7], v[84:85], v[12:13]
	v_fma_f64 v[10:11], v[8:9], v[84:85], v[10:11]
	v_fma_f64 v[14:15], v[56:57], v[84:85], v[14:15]
	v_fma_f64 v[35:36], v[58:59], v[84:85], v[35:36]
	v_fma_f64 v[37:38], v[64:65], v[84:85], v[37:38]
	v_fma_f64 v[39:40], v[66:67], v[84:85], v[39:40]
	v_fma_f64 v[33:34], v[72:73], v[84:85], v[33:34]
	v_fma_f64 v[31:32], v[74:75], v[84:85], v[31:32]
	v_fma_f64 v[8:9], -v[8:9], v[86:87], v[12:13]
	v_fma_f64 v[6:7], v[6:7], v[86:87], v[10:11]
	v_fma_f64 v[10:11], -v[58:59], v[86:87], v[14:15]
	v_fma_f64 v[12:13], v[56:57], v[86:87], v[35:36]
	v_fma_f64 v[14:15], -v[66:67], v[86:87], v[37:38]
	v_fma_f64 v[35:36], v[64:65], v[86:87], v[39:40]
	v_fma_f64 v[33:34], -v[74:75], v[86:87], v[33:34]
	v_fma_f64 v[31:32], v[72:73], v[86:87], v[31:32]
	;; [unrolled: 17-line block ×4, first 2 shown]
	s_and_not1_b32 exec_lo, exec_lo, s10
	s_cbranch_execnz .LBB36_19
; %bb.20:
	s_or_b32 exec_lo, exec_lo, s10
.LBB36_21:
	s_delay_alu instid0(SALU_CYCLE_1) | instskip(NEXT) | instid1(SALU_CYCLE_1)
	s_or_b32 exec_lo, exec_lo, s7
	s_mov_b32 s7, exec_lo
	v_cmpx_lt_u64_e32 23, v[0:1]
	s_cbranch_execz .LBB36_25
; %bb.22:
	v_lshlrev_b64 v[0:1], 2, v[51:52]
	s_mov_b32 s10, 0
	s_delay_alu instid0(VALU_DEP_1) | instskip(NEXT) | instid1(VALU_DEP_2)
	v_add_co_u32 v0, vcc_lo, v0, s8
	v_add_co_ci_u32_e32 v1, vcc_lo, s9, v1, vcc_lo
	s_delay_alu instid0(VALU_DEP_2) | instskip(NEXT) | instid1(VALU_DEP_2)
	v_add_co_u32 v53, vcc_lo, v0, 64
	v_add_co_ci_u32_e32 v54, vcc_lo, 0, v1, vcc_lo
.LBB36_23:                              ; =>This Inner Loop Header: Depth=1
	s_clause 0x1
	global_load_b32 v56, v[53:54], off offset:-64
	global_load_b32 v57, v[53:54], off offset:-32
	s_clause 0x3
	global_load_b128 v[12:15], v[49:50], off
	global_load_b128 v[8:11], v[49:50], off offset:64
	global_load_b128 v[4:7], v[49:50], off offset:128
	;; [unrolled: 1-line block ×3, first 2 shown]
	s_clause 0x1
	global_load_b32 v156, v[53:54], off
	global_load_b32 v158, v[53:54], off offset:32
	s_waitcnt vmcnt(7)
	v_subrev_nc_u32_e32 v56, s12, v56
	s_delay_alu instid0(VALU_DEP_1)
	v_lshlrev_b32_e32 v58, 2, v56
	s_waitcnt vmcnt(6)
	v_subrev_nc_u32_e32 v56, s12, v57
	s_waitcnt vmcnt(1)
	v_subrev_nc_u32_e32 v156, s12, v156
	v_ashrrev_i32_e32 v59, 31, v58
	s_delay_alu instid0(VALU_DEP_3) | instskip(NEXT) | instid1(VALU_DEP_3)
	v_lshlrev_b32_e32 v56, 2, v56
	v_lshlrev_b32_e32 v156, 2, v156
	s_delay_alu instid0(VALU_DEP_3) | instskip(NEXT) | instid1(VALU_DEP_3)
	v_lshlrev_b64 v[58:59], 4, v[58:59]
	v_ashrrev_i32_e32 v57, 31, v56
	s_delay_alu instid0(VALU_DEP_3) | instskip(NEXT) | instid1(VALU_DEP_2)
	v_ashrrev_i32_e32 v157, 31, v156
	v_lshlrev_b64 v[56:57], 4, v[56:57]
	s_waitcnt lgkmcnt(0)
	s_delay_alu instid0(VALU_DEP_4)
	v_add_co_u32 v118, vcc_lo, s4, v58
	v_add_co_ci_u32_e32 v119, vcc_lo, s5, v59, vcc_lo
	global_load_b128 v[58:61], v[118:119], off
	s_clause 0x3
	global_load_b128 v[62:65], v[49:50], off offset:16
	global_load_b128 v[66:69], v[49:50], off offset:80
	global_load_b128 v[70:73], v[49:50], off offset:144
	global_load_b128 v[74:77], v[49:50], off offset:208
	global_load_b128 v[78:81], v[118:119], off offset:16
	s_clause 0x3
	global_load_b128 v[82:85], v[49:50], off offset:96
	global_load_b128 v[86:89], v[49:50], off offset:160
	global_load_b128 v[90:93], v[49:50], off offset:224
	global_load_b128 v[94:97], v[49:50], off offset:32
	global_load_b128 v[98:101], v[118:119], off offset:32
	;; [unrolled: 6-line block ×3, first 2 shown]
	s_clause 0x3
	global_load_b128 v[122:125], v[49:50], off offset:2048
	global_load_b128 v[126:129], v[49:50], off offset:2112
	;; [unrolled: 1-line block ×4, first 2 shown]
	v_add_co_u32 v142, vcc_lo, s4, v56
	v_add_co_ci_u32_e32 v143, vcc_lo, s5, v57, vcc_lo
	v_add_co_u32 v154, vcc_lo, 0x1000, v49
	v_add_co_ci_u32_e32 v155, vcc_lo, 0, v50, vcc_lo
	global_load_b128 v[138:141], v[142:143], off
	s_waitcnt vmcnt(20)
	v_fma_f64 v[39:40], v[12:13], v[58:59], v[39:40]
	v_fma_f64 v[35:36], v[14:15], v[58:59], v[35:36]
	v_fma_f64 v[45:46], v[8:9], v[58:59], v[45:46]
	v_fma_f64 v[37:38], v[10:11], v[58:59], v[37:38]
	v_fma_f64 v[41:42], v[4:5], v[58:59], v[41:42]
	v_fma_f64 v[43:44], v[6:7], v[58:59], v[43:44]
	v_fma_f64 v[33:34], v[0:1], v[58:59], v[33:34]
	v_fma_f64 v[31:32], v[2:3], v[58:59], v[31:32]
	v_fma_f64 v[39:40], -v[14:15], v[60:61], v[39:40]
	v_fma_f64 v[35:36], v[12:13], v[60:61], v[35:36]
	v_fma_f64 v[45:46], -v[10:11], v[60:61], v[45:46]
	v_fma_f64 v[37:38], v[8:9], v[60:61], v[37:38]
	v_fma_f64 v[41:42], -v[6:7], v[60:61], v[41:42]
	v_fma_f64 v[43:44], v[4:5], v[60:61], v[43:44]
	v_fma_f64 v[56:57], -v[2:3], v[60:61], v[33:34]
	v_fma_f64 v[58:59], v[0:1], v[60:61], v[31:32]
	s_clause 0x3
	global_load_b128 v[0:3], v[49:50], off offset:2064
	global_load_b128 v[4:7], v[49:50], off offset:2128
	global_load_b128 v[8:11], v[49:50], off offset:2192
	global_load_b128 v[12:15], v[49:50], off offset:2256
	global_load_b128 v[31:34], v[142:143], off offset:16
	s_waitcnt vmcnt(20)
	v_fma_f64 v[39:40], v[62:63], v[78:79], v[39:40]
	v_fma_f64 v[35:36], v[64:65], v[78:79], v[35:36]
	v_fma_f64 v[45:46], v[66:67], v[78:79], v[45:46]
	v_fma_f64 v[37:38], v[68:69], v[78:79], v[37:38]
	v_fma_f64 v[41:42], v[70:71], v[78:79], v[41:42]
	v_fma_f64 v[43:44], v[72:73], v[78:79], v[43:44]
	v_fma_f64 v[56:57], v[74:75], v[78:79], v[56:57]
	v_fma_f64 v[58:59], v[76:77], v[78:79], v[58:59]
	v_fma_f64 v[64:65], -v[64:65], v[80:81], v[39:40]
	v_fma_f64 v[78:79], v[62:63], v[80:81], v[35:36]
	v_fma_f64 v[68:69], -v[68:69], v[80:81], v[45:46]
	v_fma_f64 v[66:67], v[66:67], v[80:81], v[37:38]
	v_fma_f64 v[72:73], -v[72:73], v[80:81], v[41:42]
	v_fma_f64 v[70:71], v[70:71], v[80:81], v[43:44]
	v_fma_f64 v[76:77], -v[76:77], v[80:81], v[56:57]
	v_fma_f64 v[74:75], v[74:75], v[80:81], v[58:59]
	s_clause 0x3
	global_load_b128 v[35:38], v[49:50], off offset:2144
	global_load_b128 v[39:42], v[49:50], off offset:2208
	global_load_b128 v[43:46], v[49:50], off offset:2272
	global_load_b128 v[56:59], v[49:50], off offset:2080
	global_load_b128 v[60:63], v[142:143], off offset:32
	;; [unrolled: 23-line block ×3, first 2 shown]
	v_add_co_u32 v49, s1, 0x2000, v49
	s_delay_alu instid0(VALU_DEP_1)
	v_add_co_ci_u32_e64 v50, s1, 0, v50, s1
	s_waitcnt vmcnt(20)
	v_fma_f64 v[100:101], v[102:103], v[118:119], v[96:97]
	v_fma_f64 v[142:143], v[104:105], v[118:119], v[94:95]
	v_fma_f64 v[144:145], v[106:107], v[118:119], v[84:85]
	v_fma_f64 v[146:147], v[108:109], v[118:119], v[98:99]
	v_fma_f64 v[148:149], v[110:111], v[118:119], v[88:89]
	v_fma_f64 v[150:151], v[112:113], v[118:119], v[86:87]
	v_fma_f64 v[152:153], v[114:115], v[118:119], v[92:93]
	v_fma_f64 v[118:119], v[116:117], v[118:119], v[90:91]
	s_clause 0x3
	global_load_b128 v[84:87], v[154:155], off
	global_load_b128 v[88:91], v[154:155], off offset:64
	global_load_b128 v[92:95], v[154:155], off offset:128
	;; [unrolled: 1-line block ×3, first 2 shown]
	v_fma_f64 v[104:105], -v[104:105], v[120:121], v[100:101]
	v_fma_f64 v[142:143], v[102:103], v[120:121], v[142:143]
	v_fma_f64 v[108:109], -v[108:109], v[120:121], v[144:145]
	v_fma_f64 v[106:107], v[106:107], v[120:121], v[146:147]
	;; [unrolled: 2-line block ×4, first 2 shown]
	v_lshlrev_b64 v[100:101], 4, v[156:157]
	v_subrev_nc_u32_e32 v156, s12, v158
	s_delay_alu instid0(VALU_DEP_2) | instskip(NEXT) | instid1(VALU_DEP_3)
	v_add_co_u32 v144, vcc_lo, s4, v100
	v_add_co_ci_u32_e32 v145, vcc_lo, s5, v101, vcc_lo
	s_delay_alu instid0(VALU_DEP_3)
	v_lshlrev_b32_e32 v156, 2, v156
	global_load_b128 v[100:103], v[144:145], off
	v_ashrrev_i32_e32 v157, 31, v156
	s_waitcnt vmcnt(20)
	v_fma_f64 v[104:105], v[122:123], v[138:139], v[104:105]
	v_fma_f64 v[118:119], v[124:125], v[138:139], v[142:143]
	v_fma_f64 v[108:109], v[126:127], v[138:139], v[108:109]
	v_fma_f64 v[106:107], v[128:129], v[138:139], v[106:107]
	v_fma_f64 v[112:113], v[130:131], v[138:139], v[112:113]
	v_fma_f64 v[110:111], v[132:133], v[138:139], v[110:111]
	v_fma_f64 v[116:117], v[134:135], v[138:139], v[116:117]
	v_fma_f64 v[114:115], v[136:137], v[138:139], v[114:115]
	v_fma_f64 v[124:125], -v[124:125], v[140:141], v[104:105]
	v_fma_f64 v[138:139], v[122:123], v[140:141], v[118:119]
	v_fma_f64 v[128:129], -v[128:129], v[140:141], v[108:109]
	v_fma_f64 v[126:127], v[126:127], v[140:141], v[106:107]
	v_fma_f64 v[132:133], -v[132:133], v[140:141], v[112:113]
	v_fma_f64 v[130:131], v[130:131], v[140:141], v[110:111]
	v_fma_f64 v[136:137], -v[136:137], v[140:141], v[116:117]
	v_fma_f64 v[134:135], v[134:135], v[140:141], v[114:115]
	s_clause 0x3
	global_load_b128 v[104:107], v[154:155], off offset:16
	global_load_b128 v[108:111], v[154:155], off offset:80
	global_load_b128 v[112:115], v[154:155], off offset:144
	global_load_b128 v[116:119], v[154:155], off offset:208
	global_load_b128 v[120:123], v[144:145], off offset:16
	s_waitcnt vmcnt(20)
	v_fma_f64 v[124:125], v[0:1], v[31:32], v[124:125]
	v_fma_f64 v[138:139], v[2:3], v[31:32], v[138:139]
	v_fma_f64 v[128:129], v[4:5], v[31:32], v[128:129]
	v_fma_f64 v[126:127], v[6:7], v[31:32], v[126:127]
	v_fma_f64 v[132:133], v[8:9], v[31:32], v[132:133]
	v_fma_f64 v[130:131], v[10:11], v[31:32], v[130:131]
	v_fma_f64 v[136:137], v[12:13], v[31:32], v[136:137]
	v_fma_f64 v[31:32], v[14:15], v[31:32], v[134:135]
	v_fma_f64 v[124:125], -v[2:3], v[33:34], v[124:125]
	v_fma_f64 v[134:135], v[0:1], v[33:34], v[138:139]
	v_fma_f64 v[128:129], -v[6:7], v[33:34], v[128:129]
	v_fma_f64 v[126:127], v[4:5], v[33:34], v[126:127]
	v_fma_f64 v[132:133], -v[10:11], v[33:34], v[132:133]
	v_fma_f64 v[130:131], v[8:9], v[33:34], v[130:131]
	v_fma_f64 v[136:137], -v[14:15], v[33:34], v[136:137]
	v_fma_f64 v[138:139], v[12:13], v[33:34], v[31:32]
	s_clause 0x3
	global_load_b128 v[0:3], v[154:155], off offset:96
	global_load_b128 v[4:7], v[154:155], off offset:160
	global_load_b128 v[8:11], v[154:155], off offset:224
	global_load_b128 v[12:15], v[154:155], off offset:32
	global_load_b128 v[31:34], v[144:145], off offset:32
	;; [unrolled: 23-line block ×3, first 2 shown]
	s_waitcnt vmcnt(20)
	v_fma_f64 v[140:141], v[64:65], v[80:81], v[124:125]
	v_fma_f64 v[142:143], v[66:67], v[80:81], v[134:135]
	;; [unrolled: 1-line block ×8, first 2 shown]
	s_clause 0x3
	global_load_b128 v[124:127], v[154:155], off offset:2048
	global_load_b128 v[128:131], v[154:155], off offset:2112
	global_load_b128 v[132:135], v[154:155], off offset:2176
	global_load_b128 v[136:139], v[154:155], off offset:2240
	v_fma_f64 v[140:141], -v[66:67], v[82:83], v[140:141]
	v_fma_f64 v[142:143], v[64:65], v[82:83], v[142:143]
	v_fma_f64 v[70:71], -v[70:71], v[82:83], v[144:145]
	v_fma_f64 v[68:69], v[68:69], v[82:83], v[146:147]
	;; [unrolled: 2-line block ×4, first 2 shown]
	v_lshlrev_b64 v[64:65], 4, v[156:157]
	s_delay_alu instid0(VALU_DEP_1) | instskip(NEXT) | instid1(VALU_DEP_2)
	v_add_co_u32 v144, vcc_lo, s4, v64
	v_add_co_ci_u32_e32 v145, vcc_lo, s5, v65, vcc_lo
	v_add_co_u32 v51, vcc_lo, v51, 32
	v_add_co_ci_u32_e32 v52, vcc_lo, 0, v52, vcc_lo
	global_load_b128 v[64:67], v[144:145], off
	v_add_co_u32 v53, vcc_lo, 0x80, v53
	v_add_co_ci_u32_e32 v54, vcc_lo, 0, v54, vcc_lo
	v_cmp_ge_i64_e32 vcc_lo, v[51:52], v[27:28]
	s_or_b32 s10, vcc_lo, s10
	s_waitcnt vmcnt(20)
	v_fma_f64 v[80:81], v[84:85], v[100:101], v[140:141]
	v_fma_f64 v[82:83], v[86:87], v[100:101], v[142:143]
	v_fma_f64 v[70:71], v[88:89], v[100:101], v[70:71]
	v_fma_f64 v[68:69], v[90:91], v[100:101], v[68:69]
	v_fma_f64 v[74:75], v[92:93], v[100:101], v[74:75]
	v_fma_f64 v[72:73], v[94:95], v[100:101], v[72:73]
	v_fma_f64 v[78:79], v[96:97], v[100:101], v[78:79]
	v_fma_f64 v[76:77], v[98:99], v[100:101], v[76:77]
	v_fma_f64 v[100:101], -v[86:87], v[102:103], v[80:81]
	v_fma_f64 v[140:141], v[84:85], v[102:103], v[82:83]
	v_fma_f64 v[90:91], -v[90:91], v[102:103], v[70:71]
	v_fma_f64 v[88:89], v[88:89], v[102:103], v[68:69]
	v_fma_f64 v[94:95], -v[94:95], v[102:103], v[74:75]
	v_fma_f64 v[92:93], v[92:93], v[102:103], v[72:73]
	v_fma_f64 v[98:99], -v[98:99], v[102:103], v[78:79]
	v_fma_f64 v[96:97], v[96:97], v[102:103], v[76:77]
	s_clause 0x3
	global_load_b128 v[68:71], v[154:155], off offset:2064
	global_load_b128 v[72:75], v[154:155], off offset:2128
	global_load_b128 v[76:79], v[154:155], off offset:2192
	global_load_b128 v[80:83], v[154:155], off offset:2256
	global_load_b128 v[84:87], v[144:145], off offset:16
	s_waitcnt vmcnt(20)
	v_fma_f64 v[100:101], v[104:105], v[120:121], v[100:101]
	v_fma_f64 v[102:103], v[106:107], v[120:121], v[140:141]
	v_fma_f64 v[90:91], v[108:109], v[120:121], v[90:91]
	v_fma_f64 v[88:89], v[110:111], v[120:121], v[88:89]
	v_fma_f64 v[94:95], v[112:113], v[120:121], v[94:95]
	v_fma_f64 v[92:93], v[114:115], v[120:121], v[92:93]
	v_fma_f64 v[98:99], v[116:117], v[120:121], v[98:99]
	v_fma_f64 v[96:97], v[118:119], v[120:121], v[96:97]
	v_fma_f64 v[120:121], -v[106:107], v[122:123], v[100:101]
	v_fma_f64 v[140:141], v[104:105], v[122:123], v[102:103]
	v_fma_f64 v[110:111], -v[110:111], v[122:123], v[90:91]
	v_fma_f64 v[108:109], v[108:109], v[122:123], v[88:89]
	v_fma_f64 v[114:115], -v[114:115], v[122:123], v[94:95]
	v_fma_f64 v[112:113], v[112:113], v[122:123], v[92:93]
	v_fma_f64 v[118:119], -v[118:119], v[122:123], v[98:99]
	v_fma_f64 v[116:117], v[116:117], v[122:123], v[96:97]
	s_clause 0x3
	global_load_b128 v[88:91], v[154:155], off offset:2144
	global_load_b128 v[92:95], v[154:155], off offset:2208
	global_load_b128 v[96:99], v[154:155], off offset:2272
	global_load_b128 v[100:103], v[154:155], off offset:2080
	global_load_b128 v[104:107], v[144:145], off offset:32
	s_waitcnt vmcnt(20)
	v_fma_f64 v[120:121], v[12:13], v[31:32], v[120:121]
	v_fma_f64 v[122:123], v[14:15], v[31:32], v[140:141]
	v_fma_f64 v[110:111], v[0:1], v[31:32], v[110:111]
	v_fma_f64 v[108:109], v[2:3], v[31:32], v[108:109]
	v_fma_f64 v[114:115], v[4:5], v[31:32], v[114:115]
	v_fma_f64 v[112:113], v[6:7], v[31:32], v[112:113]
	v_fma_f64 v[118:119], v[8:9], v[31:32], v[118:119]
	v_fma_f64 v[31:32], v[10:11], v[31:32], v[116:117]
	v_fma_f64 v[116:117], -v[14:15], v[33:34], v[120:121]
	v_fma_f64 v[120:121], v[12:13], v[33:34], v[122:123]
	v_fma_f64 v[122:123], -v[2:3], v[33:34], v[110:111]
	v_fma_f64 v[140:141], v[0:1], v[33:34], v[108:109]
	v_fma_f64 v[114:115], -v[6:7], v[33:34], v[114:115]
	v_fma_f64 v[112:113], v[4:5], v[33:34], v[112:113]
	v_fma_f64 v[118:119], -v[10:11], v[33:34], v[118:119]
	v_fma_f64 v[31:32], v[8:9], v[33:34], v[31:32]
	s_clause 0x3
	global_load_b128 v[0:3], v[154:155], off offset:2096
	global_load_b128 v[4:7], v[154:155], off offset:2160
	global_load_b128 v[8:11], v[154:155], off offset:2224
	global_load_b128 v[12:15], v[154:155], off offset:2288
	global_load_b128 v[108:111], v[144:145], off offset:48
	s_waitcnt vmcnt(20)
	v_fma_f64 v[33:34], v[35:36], v[60:61], v[116:117]
	v_fma_f64 v[116:117], v[37:38], v[60:61], v[120:121]
	v_fma_f64 v[120:121], v[39:40], v[60:61], v[122:123]
	v_fma_f64 v[122:123], v[41:42], v[60:61], v[140:141]
	v_fma_f64 v[114:115], v[43:44], v[60:61], v[114:115]
	v_fma_f64 v[112:113], v[45:46], v[60:61], v[112:113]
	v_fma_f64 v[118:119], v[56:57], v[60:61], v[118:119]
	v_fma_f64 v[31:32], v[58:59], v[60:61], v[31:32]
	v_fma_f64 v[33:34], -v[37:38], v[62:63], v[33:34]
	v_fma_f64 v[35:36], v[35:36], v[62:63], v[116:117]
	v_fma_f64 v[37:38], -v[41:42], v[62:63], v[120:121]
	v_fma_f64 v[39:40], v[39:40], v[62:63], v[122:123]
	v_fma_f64 v[41:42], -v[45:46], v[62:63], v[114:115]
	v_fma_f64 v[43:44], v[43:44], v[62:63], v[112:113]
	v_fma_f64 v[45:46], -v[58:59], v[62:63], v[118:119]
	v_fma_f64 v[31:32], v[56:57], v[62:63], v[31:32]
	s_waitcnt vmcnt(15)
	v_fma_f64 v[33:34], v[124:125], v[64:65], v[33:34]
	v_fma_f64 v[35:36], v[126:127], v[64:65], v[35:36]
	v_fma_f64 v[37:38], v[128:129], v[64:65], v[37:38]
	v_fma_f64 v[39:40], v[130:131], v[64:65], v[39:40]
	v_fma_f64 v[41:42], v[132:133], v[64:65], v[41:42]
	v_fma_f64 v[43:44], v[134:135], v[64:65], v[43:44]
	v_fma_f64 v[45:46], v[136:137], v[64:65], v[45:46]
	v_fma_f64 v[31:32], v[138:139], v[64:65], v[31:32]
	v_fma_f64 v[33:34], -v[126:127], v[66:67], v[33:34]
	v_fma_f64 v[35:36], v[124:125], v[66:67], v[35:36]
	v_fma_f64 v[37:38], -v[130:131], v[66:67], v[37:38]
	v_fma_f64 v[39:40], v[128:129], v[66:67], v[39:40]
	v_fma_f64 v[41:42], -v[134:135], v[66:67], v[41:42]
	v_fma_f64 v[43:44], v[132:133], v[66:67], v[43:44]
	v_fma_f64 v[45:46], -v[138:139], v[66:67], v[45:46]
	v_fma_f64 v[31:32], v[136:137], v[66:67], v[31:32]
	;; [unrolled: 17-line block ×5, first 2 shown]
	s_and_not1_b32 exec_lo, exec_lo, s10
	s_cbranch_execnz .LBB36_23
; %bb.24:
	s_or_b32 exec_lo, exec_lo, s10
.LBB36_25:
	s_delay_alu instid0(SALU_CYCLE_1)
	s_or_b32 exec_lo, exec_lo, s7
.LBB36_26:
	s_delay_alu instid0(SALU_CYCLE_1)
	s_or_b32 exec_lo, exec_lo, s6
	s_cbranch_execz .LBB36_28
	s_branch .LBB36_39
.LBB36_27:
                                        ; implicit-def: $vgpr35_vgpr36
                                        ; implicit-def: $vgpr39_vgpr40
                                        ; implicit-def: $vgpr33_vgpr34
                                        ; implicit-def: $vgpr31_vgpr32
                                        ; implicit-def: $vgpr41_vgpr42
                                        ; implicit-def: $vgpr43_vgpr44
                                        ; implicit-def: $vgpr45_vgpr46
                                        ; implicit-def: $vgpr37_vgpr38
.LBB36_28:
	v_mov_b32_e32 v35, 0
	v_mov_b32_e32 v36, 0
	s_delay_alu instid0(VALU_DEP_2) | instskip(NEXT) | instid1(VALU_DEP_2)
	v_mov_b32_e32 v33, v35
	v_dual_mov_b32 v31, v35 :: v_dual_mov_b32 v32, v36
	v_dual_mov_b32 v40, v36 :: v_dual_mov_b32 v39, v35
	v_mov_b32_e32 v34, v36
	v_dual_mov_b32 v42, v36 :: v_dual_mov_b32 v41, v35
	v_dual_mov_b32 v44, v36 :: v_dual_mov_b32 v43, v35
	;; [unrolled: 1-line block ×4, first 2 shown]
	s_and_saveexec_b32 s1, s0
	s_cbranch_execz .LBB36_38
; %bb.29:
	v_or_b32_e32 v0, 8, v55
	v_not_b32_e32 v3, v47
	v_not_b32_e32 v2, v48
	s_mov_b32 s7, 0
	s_mov_b32 s6, exec_lo
	v_sub_co_u32 v0, s0, v0, s12
	s_delay_alu instid0(VALU_DEP_1) | instskip(SKIP_1) | instid1(VALU_DEP_3)
	v_sub_co_ci_u32_e64 v1, null, 0, 0, s0
	v_sub_co_u32 v4, s0, s12, v55
	v_add_co_u32 v0, vcc_lo, v0, v47
	s_delay_alu instid0(VALU_DEP_3) | instskip(SKIP_1) | instid1(VALU_DEP_2)
	v_add_co_ci_u32_e32 v1, vcc_lo, v1, v48, vcc_lo
	v_sub_co_ci_u32_e64 v5, null, 0, 0, s0
	v_cmp_gt_i64_e32 vcc_lo, v[0:1], v[27:28]
	v_dual_cndmask_b32 v1, v28, v1 :: v_dual_cndmask_b32 v0, v27, v0
	v_add_co_u32 v3, vcc_lo, v4, v3
	s_delay_alu instid0(VALU_DEP_4) | instskip(NEXT) | instid1(VALU_DEP_2)
	v_add_co_ci_u32_e32 v2, vcc_lo, v5, v2, vcc_lo
	v_add_co_u32 v0, vcc_lo, v3, v0
	s_delay_alu instid0(VALU_DEP_2) | instskip(NEXT) | instid1(VALU_DEP_2)
	v_add_co_ci_u32_e32 v1, vcc_lo, v2, v1, vcc_lo
	v_lshrrev_b32_e32 v2, 3, v0
	v_mov_b32_e32 v37, 0
	v_mov_b32_e32 v38, 0
	s_delay_alu instid0(VALU_DEP_2) | instskip(NEXT) | instid1(VALU_DEP_4)
	v_mov_b32_e32 v31, v37
	v_dual_mov_b32 v33, v37 :: v_dual_add_nc_u32 v2, 1, v2
	s_delay_alu instid0(VALU_DEP_3)
	v_dual_mov_b32 v35, v37 :: v_dual_mov_b32 v42, v38
	v_mov_b32_e32 v32, v38
	v_mov_b32_e32 v40, v38
	v_dual_mov_b32 v46, v38 :: v_dual_mov_b32 v45, v37
	v_dual_mov_b32 v44, v38 :: v_dual_mov_b32 v43, v37
	v_dual_mov_b32 v41, v37 :: v_dual_and_b32 v2, 3, v2
	v_dual_mov_b32 v34, v38 :: v_dual_mov_b32 v39, v37
	v_mov_b32_e32 v36, v38
	s_delay_alu instid0(VALU_DEP_3)
	v_cmpx_ne_u32_e32 0, v2
	s_cbranch_execz .LBB36_33
; %bb.30:
	v_lshlrev_b64 v[4:5], 2, v[25:26]
	v_dual_mov_b32 v35, 0 :: v_dual_lshlrev_b32 v2, 2, v2
	v_dual_mov_b32 v3, 0 :: v_dual_mov_b32 v36, 0
	s_delay_alu instid0(VALU_DEP_2) | instskip(NEXT) | instid1(VALU_DEP_4)
	v_mov_b32_e32 v33, v35
	v_add_co_u32 v4, vcc_lo, s8, v4
	v_add_co_ci_u32_e32 v5, vcc_lo, s9, v5, vcc_lo
	s_delay_alu instid0(VALU_DEP_4)
	v_mov_b32_e32 v34, v36
	v_dual_mov_b32 v40, v36 :: v_dual_mov_b32 v39, v35
	v_dual_mov_b32 v31, v35 :: v_dual_mov_b32 v32, v36
	;; [unrolled: 1-line block ×6, first 2 shown]
.LBB36_31:                              ; =>This Inner Loop Header: Depth=1
	global_load_b32 v14, v[4:5], off
	s_clause 0x3
	global_load_b128 v[6:9], v[29:30], off offset:48
	global_load_b128 v[10:13], v[29:30], off offset:32
	;; [unrolled: 1-line block ×3, first 2 shown]
	global_load_b128 v[51:54], v[29:30], off
	v_add_co_u32 v4, s0, v4, 32
	s_delay_alu instid0(VALU_DEP_1) | instskip(SKIP_2) | instid1(VALU_DEP_1)
	v_add_co_ci_u32_e64 v5, s0, 0, v5, s0
	s_waitcnt vmcnt(4)
	v_subrev_nc_u32_e32 v14, s12, v14
	v_lshlrev_b32_e32 v14, 2, v14
	s_delay_alu instid0(VALU_DEP_1) | instskip(NEXT) | instid1(VALU_DEP_1)
	v_ashrrev_i32_e32 v15, 31, v14
	v_lshlrev_b64 v[14:15], 4, v[14:15]
	s_waitcnt lgkmcnt(0)
	s_delay_alu instid0(VALU_DEP_1) | instskip(NEXT) | instid1(VALU_DEP_2)
	v_add_co_u32 v14, vcc_lo, s4, v14
	v_add_co_ci_u32_e32 v15, vcc_lo, s5, v15, vcc_lo
	s_clause 0x1
	global_load_b128 v[56:59], v[14:15], off
	global_load_b128 v[60:63], v[14:15], off offset:16
	s_clause 0x7
	global_load_b128 v[64:67], v[29:30], off offset:64
	global_load_b128 v[68:71], v[29:30], off offset:80
	;; [unrolled: 1-line block ×8, first 2 shown]
	s_clause 0x1
	global_load_b128 v[96:99], v[14:15], off offset:32
	global_load_b128 v[100:103], v[14:15], off offset:48
	s_clause 0x3
	global_load_b128 v[104:107], v[29:30], off offset:192
	global_load_b128 v[108:111], v[29:30], off offset:208
	;; [unrolled: 1-line block ×4, first 2 shown]
	v_add_co_u32 v29, vcc_lo, 0x800, v29
	v_add_co_ci_u32_e32 v30, vcc_lo, 0, v30, vcc_lo
	v_add_co_u32 v2, vcc_lo, v2, -4
	v_add_co_ci_u32_e32 v3, vcc_lo, -1, v3, vcc_lo
	v_add_co_u32 v25, vcc_lo, v25, 8
	v_add_co_ci_u32_e32 v26, vcc_lo, 0, v26, vcc_lo
	s_delay_alu instid0(VALU_DEP_3)
	v_cmp_eq_u64_e32 vcc_lo, 0, v[2:3]
	s_or_b32 s7, vcc_lo, s7
	s_waitcnt vmcnt(15)
	v_fma_f64 v[14:15], v[51:52], v[56:57], v[39:40]
	v_fma_f64 v[35:36], v[53:54], v[56:57], v[35:36]
	v_fma_f64 v[39:40], v[47:48], v[56:57], v[45:46]
	v_fma_f64 v[37:38], v[49:50], v[56:57], v[37:38]
	v_fma_f64 v[41:42], v[10:11], v[56:57], v[41:42]
	v_fma_f64 v[43:44], v[12:13], v[56:57], v[43:44]
	v_fma_f64 v[33:34], v[6:7], v[56:57], v[33:34]
	v_fma_f64 v[31:32], v[8:9], v[56:57], v[31:32]
	v_fma_f64 v[14:15], -v[53:54], v[58:59], v[14:15]
	v_fma_f64 v[35:36], v[51:52], v[58:59], v[35:36]
	v_fma_f64 v[39:40], -v[49:50], v[58:59], v[39:40]
	v_fma_f64 v[37:38], v[47:48], v[58:59], v[37:38]
	;; [unrolled: 2-line block ×4, first 2 shown]
	s_waitcnt vmcnt(13)
	v_fma_f64 v[14:15], v[64:65], v[60:61], v[14:15]
	v_fma_f64 v[31:32], v[66:67], v[60:61], v[35:36]
	s_waitcnt vmcnt(12)
	v_fma_f64 v[33:34], v[68:69], v[60:61], v[39:40]
	v_fma_f64 v[35:36], v[70:71], v[60:61], v[37:38]
	;; [unrolled: 3-line block ×4, first 2 shown]
	v_fma_f64 v[14:15], -v[66:67], v[62:63], v[14:15]
	v_fma_f64 v[31:32], v[64:65], v[62:63], v[31:32]
	v_fma_f64 v[33:34], -v[70:71], v[62:63], v[33:34]
	v_fma_f64 v[35:36], v[68:69], v[62:63], v[35:36]
	v_fma_f64 v[12:13], -v[74:75], v[62:63], v[12:13]
	v_fma_f64 v[10:11], v[72:73], v[62:63], v[10:11]
	v_fma_f64 v[8:9], -v[78:79], v[62:63], v[8:9]
	v_fma_f64 v[6:7], v[76:77], v[62:63], v[6:7]
	s_waitcnt vmcnt(5)
	v_fma_f64 v[14:15], v[92:93], v[96:97], v[14:15]
	v_fma_f64 v[31:32], v[94:95], v[96:97], v[31:32]
	;; [unrolled: 1-line block ×8, first 2 shown]
	v_fma_f64 v[14:15], -v[94:95], v[98:99], v[14:15]
	v_fma_f64 v[31:32], v[92:93], v[98:99], v[31:32]
	v_fma_f64 v[33:34], -v[90:91], v[98:99], v[33:34]
	v_fma_f64 v[35:36], v[88:89], v[98:99], v[35:36]
	;; [unrolled: 2-line block ×4, first 2 shown]
	s_waitcnt vmcnt(3)
	v_fma_f64 v[14:15], v[104:105], v[100:101], v[14:15]
	v_fma_f64 v[31:32], v[106:107], v[100:101], v[31:32]
	s_waitcnt vmcnt(2)
	v_fma_f64 v[33:34], v[108:109], v[100:101], v[33:34]
	v_fma_f64 v[37:38], v[110:111], v[100:101], v[35:36]
	;; [unrolled: 3-line block ×4, first 2 shown]
	v_fma_f64 v[39:40], -v[106:107], v[102:103], v[14:15]
	v_fma_f64 v[35:36], v[104:105], v[102:103], v[31:32]
	v_fma_f64 v[45:46], -v[110:111], v[102:103], v[33:34]
	v_fma_f64 v[37:38], v[108:109], v[102:103], v[37:38]
	;; [unrolled: 2-line block ×4, first 2 shown]
	s_and_not1_b32 exec_lo, exec_lo, s7
	s_cbranch_execnz .LBB36_31
; %bb.32:
	s_or_b32 exec_lo, exec_lo, s7
.LBB36_33:
	s_delay_alu instid0(SALU_CYCLE_1) | instskip(NEXT) | instid1(SALU_CYCLE_1)
	s_or_b32 exec_lo, exec_lo, s6
	s_mov_b32 s6, exec_lo
	v_cmpx_lt_u64_e32 23, v[0:1]
	s_cbranch_execz .LBB36_37
; %bb.34:
	v_lshlrev_b64 v[0:1], 2, v[25:26]
	s_mov_b32 s7, 0
	s_delay_alu instid0(VALU_DEP_1) | instskip(NEXT) | instid1(VALU_DEP_2)
	v_add_co_u32 v0, vcc_lo, v0, s8
	v_add_co_ci_u32_e32 v1, vcc_lo, s9, v1, vcc_lo
	s_delay_alu instid0(VALU_DEP_2) | instskip(NEXT) | instid1(VALU_DEP_2)
	v_add_co_u32 v47, vcc_lo, v0, 64
	v_add_co_ci_u32_e32 v48, vcc_lo, 0, v1, vcc_lo
.LBB36_35:                              ; =>This Inner Loop Header: Depth=1
	s_clause 0x1
	global_load_b32 v49, v[47:48], off offset:-64
	global_load_b32 v50, v[47:48], off offset:-32
	s_clause 0x3
	global_load_b128 v[0:3], v[29:30], off offset:48
	global_load_b128 v[4:7], v[29:30], off offset:32
	;; [unrolled: 1-line block ×3, first 2 shown]
	global_load_b128 v[12:15], v[29:30], off
	s_clause 0x1
	global_load_b32 v51, v[47:48], off
	global_load_b32 v152, v[47:48], off offset:32
	s_waitcnt vmcnt(7)
	v_subrev_nc_u32_e32 v49, s12, v49
	s_delay_alu instid0(VALU_DEP_1)
	v_lshlrev_b32_e32 v52, 2, v49
	s_waitcnt vmcnt(6)
	v_subrev_nc_u32_e32 v49, s12, v50
	s_waitcnt vmcnt(1)
	v_subrev_nc_u32_e32 v51, s12, v51
	v_ashrrev_i32_e32 v53, 31, v52
	s_delay_alu instid0(VALU_DEP_3) | instskip(NEXT) | instid1(VALU_DEP_3)
	v_lshlrev_b32_e32 v49, 2, v49
	v_lshlrev_b32_e32 v51, 2, v51
	s_delay_alu instid0(VALU_DEP_3) | instskip(NEXT) | instid1(VALU_DEP_3)
	v_lshlrev_b64 v[52:53], 4, v[52:53]
	v_ashrrev_i32_e32 v50, 31, v49
	s_delay_alu instid0(VALU_DEP_1) | instskip(SKIP_1) | instid1(VALU_DEP_3)
	v_lshlrev_b64 v[49:50], 4, v[49:50]
	s_waitcnt lgkmcnt(0)
	v_add_co_u32 v52, vcc_lo, s4, v52
	s_delay_alu instid0(VALU_DEP_4)
	v_add_co_ci_u32_e32 v53, vcc_lo, s5, v53, vcc_lo
	global_load_b128 v[56:59], v[52:53], off
	s_clause 0x3
	global_load_b128 v[60:63], v[29:30], off offset:112
	global_load_b128 v[64:67], v[29:30], off offset:96
	global_load_b128 v[68:71], v[29:30], off offset:80
	global_load_b128 v[72:75], v[29:30], off offset:64
	global_load_b128 v[76:79], v[52:53], off offset:16
	s_clause 0x3
	global_load_b128 v[80:83], v[29:30], off offset:176
	global_load_b128 v[84:87], v[29:30], off offset:160
	global_load_b128 v[88:91], v[29:30], off offset:144
	global_load_b128 v[92:95], v[29:30], off offset:128
	global_load_b128 v[96:99], v[52:53], off offset:32
	;; [unrolled: 6-line block ×3, first 2 shown]
	s_clause 0x3
	global_load_b128 v[120:123], v[29:30], off offset:2096
	global_load_b128 v[124:127], v[29:30], off offset:2080
	;; [unrolled: 1-line block ×4, first 2 shown]
	v_add_co_u32 v49, vcc_lo, s4, v49
	v_add_co_ci_u32_e32 v50, vcc_lo, s5, v50, vcc_lo
	v_add_co_u32 v150, vcc_lo, 0x1000, v29
	v_add_co_ci_u32_e32 v151, vcc_lo, 0, v30, vcc_lo
	global_load_b128 v[136:139], v[49:50], off
	s_waitcnt vmcnt(20)
	v_fma_f64 v[39:40], v[12:13], v[56:57], v[39:40]
	v_fma_f64 v[35:36], v[14:15], v[56:57], v[35:36]
	v_fma_f64 v[45:46], v[8:9], v[56:57], v[45:46]
	v_fma_f64 v[37:38], v[10:11], v[56:57], v[37:38]
	v_fma_f64 v[41:42], v[4:5], v[56:57], v[41:42]
	v_fma_f64 v[43:44], v[6:7], v[56:57], v[43:44]
	v_fma_f64 v[33:34], v[0:1], v[56:57], v[33:34]
	v_fma_f64 v[31:32], v[2:3], v[56:57], v[31:32]
	v_fma_f64 v[39:40], -v[14:15], v[58:59], v[39:40]
	v_fma_f64 v[35:36], v[12:13], v[58:59], v[35:36]
	v_fma_f64 v[45:46], -v[10:11], v[58:59], v[45:46]
	v_fma_f64 v[37:38], v[8:9], v[58:59], v[37:38]
	v_fma_f64 v[41:42], -v[6:7], v[58:59], v[41:42]
	v_fma_f64 v[43:44], v[4:5], v[58:59], v[43:44]
	v_fma_f64 v[52:53], -v[2:3], v[58:59], v[33:34]
	v_fma_f64 v[56:57], v[0:1], v[58:59], v[31:32]
	s_clause 0x3
	global_load_b128 v[0:3], v[29:30], off offset:2160
	global_load_b128 v[4:7], v[29:30], off offset:2144
	global_load_b128 v[8:11], v[29:30], off offset:2128
	global_load_b128 v[12:15], v[29:30], off offset:2112
	global_load_b128 v[31:34], v[49:50], off offset:16
	s_waitcnt vmcnt(20)
	v_fma_f64 v[39:40], v[72:73], v[76:77], v[39:40]
	v_fma_f64 v[35:36], v[74:75], v[76:77], v[35:36]
	v_fma_f64 v[45:46], v[68:69], v[76:77], v[45:46]
	v_fma_f64 v[37:38], v[70:71], v[76:77], v[37:38]
	v_fma_f64 v[41:42], v[64:65], v[76:77], v[41:42]
	v_fma_f64 v[43:44], v[66:67], v[76:77], v[43:44]
	v_fma_f64 v[52:53], v[60:61], v[76:77], v[52:53]
	v_fma_f64 v[56:57], v[62:63], v[76:77], v[56:57]
	v_fma_f64 v[74:75], -v[74:75], v[78:79], v[39:40]
	v_fma_f64 v[72:73], v[72:73], v[78:79], v[35:36]
	v_fma_f64 v[70:71], -v[70:71], v[78:79], v[45:46]
	v_fma_f64 v[68:69], v[68:69], v[78:79], v[37:38]
	v_fma_f64 v[66:67], -v[66:67], v[78:79], v[41:42]
	v_fma_f64 v[64:65], v[64:65], v[78:79], v[43:44]
	v_fma_f64 v[52:53], -v[62:63], v[78:79], v[52:53]
	v_fma_f64 v[76:77], v[60:61], v[78:79], v[56:57]
	s_clause 0x3
	global_load_b128 v[35:38], v[29:30], off offset:2224
	global_load_b128 v[39:42], v[29:30], off offset:2208
	global_load_b128 v[43:46], v[29:30], off offset:2192
	global_load_b128 v[56:59], v[29:30], off offset:2176
	global_load_b128 v[60:63], v[49:50], off offset:32
	;; [unrolled: 23-line block ×3, first 2 shown]
	v_add_co_u32 v29, s0, 0x2000, v29
	s_delay_alu instid0(VALU_DEP_1)
	v_add_co_ci_u32_e64 v30, s0, 0, v30, s0
	s_waitcnt vmcnt(20)
	v_fma_f64 v[49:50], v[112:113], v[116:117], v[94:95]
	v_fma_f64 v[140:141], v[114:115], v[116:117], v[92:93]
	;; [unrolled: 1-line block ×8, first 2 shown]
	s_clause 0x3
	global_load_b128 v[84:87], v[150:151], off offset:48
	global_load_b128 v[88:91], v[150:151], off offset:32
	global_load_b128 v[92:95], v[150:151], off
	global_load_b128 v[96:99], v[150:151], off offset:16
	v_fma_f64 v[114:115], -v[114:115], v[118:119], v[49:50]
	v_fma_f64 v[112:113], v[112:113], v[118:119], v[140:141]
	v_fma_f64 v[110:111], -v[110:111], v[118:119], v[142:143]
	v_fma_f64 v[108:109], v[108:109], v[118:119], v[144:145]
	;; [unrolled: 2-line block ×4, first 2 shown]
	v_ashrrev_i32_e32 v52, 31, v51
	v_subrev_nc_u32_e32 v148, s12, v152
	s_delay_alu instid0(VALU_DEP_2) | instskip(NEXT) | instid1(VALU_DEP_2)
	v_lshlrev_b64 v[49:50], 4, v[51:52]
	v_lshlrev_b32_e32 v148, 2, v148
	s_delay_alu instid0(VALU_DEP_2) | instskip(NEXT) | instid1(VALU_DEP_3)
	v_add_co_u32 v140, vcc_lo, s4, v49
	v_add_co_ci_u32_e32 v141, vcc_lo, s5, v50, vcc_lo
	s_delay_alu instid0(VALU_DEP_3)
	v_ashrrev_i32_e32 v149, 31, v148
	global_load_b128 v[49:52], v[140:141], off
	s_waitcnt vmcnt(20)
	v_fma_f64 v[102:103], v[132:133], v[136:137], v[114:115]
	v_fma_f64 v[112:113], v[134:135], v[136:137], v[112:113]
	v_fma_f64 v[110:111], v[128:129], v[136:137], v[110:111]
	v_fma_f64 v[108:109], v[130:131], v[136:137], v[108:109]
	v_fma_f64 v[106:107], v[124:125], v[136:137], v[106:107]
	v_fma_f64 v[104:105], v[126:127], v[136:137], v[104:105]
	v_fma_f64 v[53:54], v[120:121], v[136:137], v[53:54]
	v_fma_f64 v[100:101], v[122:123], v[136:137], v[100:101]
	v_fma_f64 v[134:135], -v[134:135], v[138:139], v[102:103]
	v_fma_f64 v[132:133], v[132:133], v[138:139], v[112:113]
	v_fma_f64 v[130:131], -v[130:131], v[138:139], v[110:111]
	v_fma_f64 v[128:129], v[128:129], v[138:139], v[108:109]
	v_fma_f64 v[126:127], -v[126:127], v[138:139], v[106:107]
	v_fma_f64 v[124:125], v[124:125], v[138:139], v[104:105]
	v_fma_f64 v[53:54], -v[122:123], v[138:139], v[53:54]
	v_fma_f64 v[120:121], v[120:121], v[138:139], v[100:101]
	s_clause 0x3
	global_load_b128 v[100:103], v[150:151], off offset:112
	global_load_b128 v[104:107], v[150:151], off offset:96
	global_load_b128 v[108:111], v[150:151], off offset:80
	global_load_b128 v[112:115], v[150:151], off offset:64
	global_load_b128 v[116:119], v[140:141], off offset:16
	s_waitcnt vmcnt(20)
	v_fma_f64 v[122:123], v[12:13], v[31:32], v[134:135]
	v_fma_f64 v[132:133], v[14:15], v[31:32], v[132:133]
	v_fma_f64 v[130:131], v[8:9], v[31:32], v[130:131]
	v_fma_f64 v[128:129], v[10:11], v[31:32], v[128:129]
	v_fma_f64 v[126:127], v[4:5], v[31:32], v[126:127]
	v_fma_f64 v[124:125], v[6:7], v[31:32], v[124:125]
	v_fma_f64 v[53:54], v[0:1], v[31:32], v[53:54]
	v_fma_f64 v[31:32], v[2:3], v[31:32], v[120:121]
	v_fma_f64 v[120:121], -v[14:15], v[33:34], v[122:123]
	v_fma_f64 v[122:123], v[12:13], v[33:34], v[132:133]
	v_fma_f64 v[130:131], -v[10:11], v[33:34], v[130:131]
	v_fma_f64 v[128:129], v[8:9], v[33:34], v[128:129]
	v_fma_f64 v[126:127], -v[6:7], v[33:34], v[126:127]
	v_fma_f64 v[124:125], v[4:5], v[33:34], v[124:125]
	v_fma_f64 v[53:54], -v[2:3], v[33:34], v[53:54]
	v_fma_f64 v[132:133], v[0:1], v[33:34], v[31:32]
	s_clause 0x3
	global_load_b128 v[0:3], v[150:151], off offset:176
	global_load_b128 v[4:7], v[150:151], off offset:160
	global_load_b128 v[8:11], v[150:151], off offset:144
	global_load_b128 v[12:15], v[150:151], off offset:128
	global_load_b128 v[31:34], v[140:141], off offset:32
	;; [unrolled: 23-line block ×3, first 2 shown]
	s_waitcnt vmcnt(20)
	v_fma_f64 v[136:137], v[76:77], v[80:81], v[120:121]
	v_fma_f64 v[138:139], v[78:79], v[80:81], v[122:123]
	;; [unrolled: 1-line block ×8, first 2 shown]
	s_clause 0x3
	global_load_b128 v[120:123], v[150:151], off offset:2096
	global_load_b128 v[124:127], v[150:151], off offset:2080
	;; [unrolled: 1-line block ×4, first 2 shown]
	v_fma_f64 v[78:79], -v[78:79], v[82:83], v[136:137]
	v_fma_f64 v[76:77], v[76:77], v[82:83], v[138:139]
	v_fma_f64 v[74:75], -v[74:75], v[82:83], v[140:141]
	v_fma_f64 v[72:73], v[72:73], v[82:83], v[142:143]
	;; [unrolled: 2-line block ×4, first 2 shown]
	v_lshlrev_b64 v[64:65], 4, v[148:149]
	s_delay_alu instid0(VALU_DEP_1) | instskip(NEXT) | instid1(VALU_DEP_2)
	v_add_co_u32 v140, vcc_lo, s4, v64
	v_add_co_ci_u32_e32 v141, vcc_lo, s5, v65, vcc_lo
	s_clause 0x1
	global_load_b128 v[64:67], v[140:141], off
	global_load_b128 v[68:71], v[140:141], off offset:16
	v_add_co_u32 v25, vcc_lo, v25, 32
	v_add_co_ci_u32_e32 v26, vcc_lo, 0, v26, vcc_lo
	v_add_co_u32 v47, vcc_lo, 0x80, v47
	v_add_co_ci_u32_e32 v48, vcc_lo, 0, v48, vcc_lo
	s_delay_alu instid0(VALU_DEP_3)
	v_cmp_ge_i64_e32 vcc_lo, v[25:26], v[27:28]
	s_or_b32 s7, vcc_lo, s7
	s_waitcnt vmcnt(21)
	v_fma_f64 v[78:79], v[92:93], v[49:50], v[78:79]
	v_fma_f64 v[76:77], v[94:95], v[49:50], v[76:77]
	;; [unrolled: 1-line block ×8, first 2 shown]
	v_fma_f64 v[94:95], -v[94:95], v[51:52], v[78:79]
	v_fma_f64 v[92:93], v[92:93], v[51:52], v[76:77]
	v_fma_f64 v[98:99], -v[98:99], v[51:52], v[74:75]
	v_fma_f64 v[96:97], v[96:97], v[51:52], v[72:73]
	;; [unrolled: 2-line block ×4, first 2 shown]
	s_clause 0x3
	global_load_b128 v[49:52], v[150:151], off offset:2112
	global_load_b128 v[72:75], v[150:151], off offset:2128
	global_load_b128 v[76:79], v[150:151], off offset:2144
	global_load_b128 v[80:83], v[150:151], off offset:2160
	s_waitcnt vmcnt(20)
	v_fma_f64 v[86:87], v[112:113], v[116:117], v[94:95]
	v_fma_f64 v[92:93], v[114:115], v[116:117], v[92:93]
	;; [unrolled: 1-line block ×8, first 2 shown]
	v_fma_f64 v[114:115], -v[114:115], v[118:119], v[86:87]
	v_fma_f64 v[112:113], v[112:113], v[118:119], v[92:93]
	v_fma_f64 v[110:111], -v[110:111], v[118:119], v[94:95]
	v_fma_f64 v[108:109], v[108:109], v[118:119], v[96:97]
	;; [unrolled: 2-line block ×4, first 2 shown]
	s_clause 0x3
	global_load_b128 v[84:87], v[150:151], off offset:2224
	global_load_b128 v[88:91], v[150:151], off offset:2208
	;; [unrolled: 1-line block ×4, first 2 shown]
	s_clause 0x1
	global_load_b128 v[100:103], v[140:141], off offset:32
	global_load_b128 v[104:107], v[140:141], off offset:48
	s_waitcnt vmcnt(21)
	v_fma_f64 v[114:115], v[12:13], v[31:32], v[114:115]
	v_fma_f64 v[112:113], v[14:15], v[31:32], v[112:113]
	;; [unrolled: 1-line block ×8, first 2 shown]
	v_fma_f64 v[114:115], -v[14:15], v[33:34], v[114:115]
	v_fma_f64 v[112:113], v[12:13], v[33:34], v[112:113]
	v_fma_f64 v[110:111], -v[10:11], v[33:34], v[110:111]
	v_fma_f64 v[108:109], v[8:9], v[33:34], v[108:109]
	;; [unrolled: 2-line block ×4, first 2 shown]
	s_clause 0x3
	global_load_b128 v[0:3], v[150:151], off offset:2240
	global_load_b128 v[4:7], v[150:151], off offset:2256
	global_load_b128 v[8:11], v[150:151], off offset:2272
	global_load_b128 v[12:15], v[150:151], off offset:2288
	s_waitcnt vmcnt(20)
	v_fma_f64 v[33:34], v[56:57], v[60:61], v[114:115]
	v_fma_f64 v[112:113], v[58:59], v[60:61], v[112:113]
	;; [unrolled: 1-line block ×8, first 2 shown]
	v_fma_f64 v[33:34], -v[58:59], v[62:63], v[33:34]
	v_fma_f64 v[56:57], v[56:57], v[62:63], v[112:113]
	v_fma_f64 v[45:46], -v[45:46], v[62:63], v[110:111]
	v_fma_f64 v[43:44], v[43:44], v[62:63], v[108:109]
	;; [unrolled: 2-line block ×4, first 2 shown]
	s_waitcnt vmcnt(15)
	v_fma_f64 v[33:34], v[132:133], v[64:65], v[33:34]
	v_fma_f64 v[35:36], v[134:135], v[64:65], v[56:57]
	v_fma_f64 v[45:46], v[128:129], v[64:65], v[45:46]
	v_fma_f64 v[43:44], v[130:131], v[64:65], v[43:44]
	v_fma_f64 v[41:42], v[124:125], v[64:65], v[41:42]
	v_fma_f64 v[39:40], v[126:127], v[64:65], v[39:40]
	v_fma_f64 v[37:38], v[120:121], v[64:65], v[37:38]
	v_fma_f64 v[31:32], v[122:123], v[64:65], v[31:32]
	v_fma_f64 v[33:34], -v[134:135], v[66:67], v[33:34]
	v_fma_f64 v[35:36], v[132:133], v[66:67], v[35:36]
	v_fma_f64 v[45:46], -v[130:131], v[66:67], v[45:46]
	v_fma_f64 v[43:44], v[128:129], v[66:67], v[43:44]
	;; [unrolled: 2-line block ×4, first 2 shown]
	s_waitcnt vmcnt(13)
	v_fma_f64 v[33:34], v[49:50], v[68:69], v[33:34]
	v_fma_f64 v[35:36], v[51:52], v[68:69], v[35:36]
	s_waitcnt vmcnt(12)
	v_fma_f64 v[45:46], v[72:73], v[68:69], v[45:46]
	v_fma_f64 v[43:44], v[74:75], v[68:69], v[43:44]
	;; [unrolled: 3-line block ×4, first 2 shown]
	v_fma_f64 v[33:34], -v[51:52], v[70:71], v[33:34]
	v_fma_f64 v[35:36], v[49:50], v[70:71], v[35:36]
	v_fma_f64 v[45:46], -v[74:75], v[70:71], v[45:46]
	v_fma_f64 v[43:44], v[72:73], v[70:71], v[43:44]
	;; [unrolled: 2-line block ×4, first 2 shown]
	s_waitcnt vmcnt(5)
	v_fma_f64 v[33:34], v[96:97], v[100:101], v[33:34]
	v_fma_f64 v[35:36], v[98:99], v[100:101], v[35:36]
	;; [unrolled: 1-line block ×8, first 2 shown]
	v_fma_f64 v[33:34], -v[98:99], v[102:103], v[33:34]
	v_fma_f64 v[35:36], v[96:97], v[102:103], v[35:36]
	v_fma_f64 v[45:46], -v[94:95], v[102:103], v[45:46]
	v_fma_f64 v[43:44], v[92:93], v[102:103], v[43:44]
	;; [unrolled: 2-line block ×4, first 2 shown]
	s_waitcnt vmcnt(3)
	v_fma_f64 v[33:34], v[0:1], v[104:105], v[33:34]
	v_fma_f64 v[35:36], v[2:3], v[104:105], v[35:36]
	s_waitcnt vmcnt(2)
	v_fma_f64 v[45:46], v[4:5], v[104:105], v[45:46]
	v_fma_f64 v[43:44], v[6:7], v[104:105], v[43:44]
	;; [unrolled: 3-line block ×4, first 2 shown]
	v_fma_f64 v[39:40], -v[2:3], v[106:107], v[33:34]
	v_fma_f64 v[35:36], v[0:1], v[106:107], v[35:36]
	v_fma_f64 v[45:46], -v[6:7], v[106:107], v[45:46]
	v_fma_f64 v[37:38], v[4:5], v[106:107], v[43:44]
	v_fma_f64 v[41:42], -v[10:11], v[106:107], v[41:42]
	v_fma_f64 v[43:44], v[8:9], v[106:107], v[49:50]
	v_fma_f64 v[33:34], -v[14:15], v[106:107], v[51:52]
	v_fma_f64 v[31:32], v[12:13], v[106:107], v[31:32]
	s_and_not1_b32 exec_lo, exec_lo, s7
	s_cbranch_execnz .LBB36_35
; %bb.36:
	s_or_b32 exec_lo, exec_lo, s7
.LBB36_37:
	s_delay_alu instid0(SALU_CYCLE_1)
	s_or_b32 exec_lo, exec_lo, s6
.LBB36_38:
	s_delay_alu instid0(SALU_CYCLE_1)
	s_or_b32 exec_lo, exec_lo, s1
.LBB36_39:
	v_mbcnt_lo_u32_b32 v47, -1, 0
	s_delay_alu instid0(VALU_DEP_1) | instskip(NEXT) | instid1(VALU_DEP_1)
	v_xor_b32_e32 v0, 4, v47
	v_cmp_gt_i32_e32 vcc_lo, 32, v0
	v_cndmask_b32_e32 v0, v47, v0, vcc_lo
	s_delay_alu instid0(VALU_DEP_1)
	v_lshlrev_b32_e32 v15, 2, v0
	ds_bpermute_b32 v0, v15, v39
	ds_bpermute_b32 v1, v15, v40
	ds_bpermute_b32 v2, v15, v35
	ds_bpermute_b32 v3, v15, v36
	ds_bpermute_b32 v4, v15, v45
	ds_bpermute_b32 v5, v15, v46
	ds_bpermute_b32 v6, v15, v37
	ds_bpermute_b32 v7, v15, v38
	ds_bpermute_b32 v8, v15, v41
	ds_bpermute_b32 v9, v15, v42
	ds_bpermute_b32 v10, v15, v43
	ds_bpermute_b32 v11, v15, v44
	ds_bpermute_b32 v12, v15, v33
	ds_bpermute_b32 v13, v15, v34
	ds_bpermute_b32 v14, v15, v31
	ds_bpermute_b32 v15, v15, v32
	s_waitcnt lgkmcnt(0)
	v_add_f64 v[0:1], v[39:40], v[0:1]
	v_add_f64 v[2:3], v[35:36], v[2:3]
	;; [unrolled: 1-line block ×8, first 2 shown]
	v_xor_b32_e32 v14, 2, v47
	s_delay_alu instid0(VALU_DEP_1) | instskip(SKIP_1) | instid1(VALU_DEP_1)
	v_cmp_gt_i32_e32 vcc_lo, 32, v14
	v_cndmask_b32_e32 v14, v47, v14, vcc_lo
	v_lshlrev_b32_e32 v40, 2, v14
	ds_bpermute_b32 v14, v40, v0
	ds_bpermute_b32 v15, v40, v1
	;; [unrolled: 1-line block ×16, first 2 shown]
	s_waitcnt lgkmcnt(14)
	v_add_f64 v[0:1], v[0:1], v[14:15]
	s_waitcnt lgkmcnt(12)
	v_add_f64 v[27:28], v[2:3], v[27:28]
	;; [unrolled: 2-line block ×7, first 2 shown]
	v_xor_b32_e32 v12, 1, v47
	s_waitcnt lgkmcnt(0)
	v_add_f64 v[8:9], v[25:26], v[39:40]
	s_delay_alu instid0(VALU_DEP_2) | instskip(SKIP_2) | instid1(VALU_DEP_2)
	v_cmp_gt_i32_e32 vcc_lo, 32, v12
	v_cndmask_b32_e32 v12, v47, v12, vcc_lo
	v_cmp_eq_u32_e32 vcc_lo, 7, v55
	v_lshlrev_b32_e32 v34, 2, v12
	ds_bpermute_b32 v12, v34, v0
	ds_bpermute_b32 v13, v34, v1
	;; [unrolled: 1-line block ×16, first 2 shown]
	s_and_b32 exec_lo, exec_lo, vcc_lo
	s_cbranch_execz .LBB36_12
; %bb.40:
	s_waitcnt lgkmcnt(12)
	v_add_f64 v[27:28], v[27:28], v[39:40]
	s_waitcnt lgkmcnt(8)
	v_add_f64 v[14:15], v[14:15], v[37:38]
	;; [unrolled: 2-line block ×4, first 2 shown]
	v_add_f64 v[0:1], v[0:1], v[12:13]
	v_add_f64 v[2:3], v[2:3], v[25:26]
	;; [unrolled: 1-line block ×4, first 2 shown]
	v_cmp_eq_f64_e32 vcc_lo, 0, v[16:17]
	v_cmp_eq_f64_e64 s0, 0, v[18:19]
	s_load_b64 s[2:3], s[2:3], 0x60
	v_mul_f64 v[4:5], v[27:28], -v[22:23]
	v_mul_f64 v[6:7], v[20:21], v[27:28]
	v_mul_f64 v[27:28], v[14:15], -v[22:23]
	v_mul_f64 v[31:32], v[20:21], v[14:15]
	;; [unrolled: 2-line block ×4, first 2 shown]
	s_and_b32 s0, vcc_lo, s0
	v_fma_f64 v[12:13], v[20:21], v[0:1], v[4:5]
	v_fma_f64 v[14:15], v[22:23], v[0:1], v[6:7]
	v_fma_f64 v[8:9], v[20:21], v[2:3], v[27:28]
	v_fma_f64 v[10:11], v[22:23], v[2:3], v[31:32]
	v_fma_f64 v[4:5], v[20:21], v[25:26], v[33:34]
	v_fma_f64 v[6:7], v[22:23], v[25:26], v[35:36]
	v_fma_f64 v[0:1], v[20:21], v[29:30], v[37:38]
	v_fma_f64 v[2:3], v[22:23], v[29:30], v[39:40]
	v_lshlrev_b32_e32 v20, 2, v24
	s_and_saveexec_b32 s1, s0
	s_delay_alu instid0(SALU_CYCLE_1)
	s_xor_b32 s0, exec_lo, s1
	s_cbranch_execz .LBB36_42
; %bb.41:
	s_delay_alu instid0(VALU_DEP_1) | instskip(NEXT) | instid1(VALU_DEP_1)
	v_ashrrev_i32_e32 v21, 31, v20
                                        ; implicit-def: $vgpr18_vgpr19
	v_lshlrev_b64 v[16:17], 4, v[20:21]
                                        ; implicit-def: $vgpr20
	s_waitcnt lgkmcnt(0)
	s_delay_alu instid0(VALU_DEP_1) | instskip(NEXT) | instid1(VALU_DEP_2)
	v_add_co_u32 v16, vcc_lo, s2, v16
	v_add_co_ci_u32_e32 v17, vcc_lo, s3, v17, vcc_lo
	s_clause 0x3
	global_store_b128 v[16:17], v[12:15], off
	global_store_b128 v[16:17], v[8:11], off offset:16
	global_store_b128 v[16:17], v[4:7], off offset:32
	;; [unrolled: 1-line block ×3, first 2 shown]
                                        ; implicit-def: $vgpr16_vgpr17
                                        ; implicit-def: $vgpr12_vgpr13
                                        ; implicit-def: $vgpr8_vgpr9
                                        ; implicit-def: $vgpr4_vgpr5
                                        ; implicit-def: $vgpr0_vgpr1
.LBB36_42:
	s_and_not1_saveexec_b32 s0, s0
	s_cbranch_execz .LBB36_12
; %bb.43:
	v_ashrrev_i32_e32 v21, 31, v20
	s_delay_alu instid0(VALU_DEP_1) | instskip(SKIP_1) | instid1(VALU_DEP_1)
	v_lshlrev_b64 v[20:21], 4, v[20:21]
	s_waitcnt lgkmcnt(0)
	v_add_co_u32 v36, vcc_lo, s2, v20
	s_delay_alu instid0(VALU_DEP_2)
	v_add_co_ci_u32_e32 v37, vcc_lo, s3, v21, vcc_lo
	s_clause 0x3
	global_load_b128 v[20:23], v[36:37], off
	global_load_b128 v[24:27], v[36:37], off offset:16
	global_load_b128 v[28:31], v[36:37], off offset:32
	;; [unrolled: 1-line block ×3, first 2 shown]
	s_waitcnt vmcnt(3)
	v_fma_f64 v[12:13], v[16:17], v[20:21], v[12:13]
	v_fma_f64 v[14:15], v[18:19], v[20:21], v[14:15]
	s_waitcnt vmcnt(2)
	v_fma_f64 v[8:9], v[16:17], v[24:25], v[8:9]
	v_fma_f64 v[10:11], v[18:19], v[24:25], v[10:11]
	;; [unrolled: 3-line block ×4, first 2 shown]
	v_fma_f64 v[0:1], -v[18:19], v[22:23], v[12:13]
	v_fma_f64 v[2:3], v[16:17], v[22:23], v[14:15]
	v_fma_f64 v[4:5], -v[18:19], v[26:27], v[8:9]
	v_fma_f64 v[6:7], v[16:17], v[26:27], v[10:11]
	;; [unrolled: 2-line block ×4, first 2 shown]
	s_clause 0x3
	global_store_b128 v[36:37], v[0:3], off
	global_store_b128 v[36:37], v[4:7], off offset:16
	global_store_b128 v[36:37], v[8:11], off offset:32
	;; [unrolled: 1-line block ×3, first 2 shown]
	s_nop 0
	s_sendmsg sendmsg(MSG_DEALLOC_VGPRS)
	s_endpgm
	.section	.rodata,"a",@progbits
	.p2align	6, 0x0
	.amdhsa_kernel _ZN9rocsparseL18bsrxmvn_4x4_kernelILj128ELj8E21rocsparse_complex_numIdEliS2_S2_S2_EEvT3_20rocsparse_direction_NS_24const_host_device_scalarIT1_EES3_PKS3_PKT2_SC_S9_PKT4_PKT5_S7_PT6_21rocsparse_index_base_b
		.amdhsa_group_segment_fixed_size 2048
		.amdhsa_private_segment_fixed_size 0
		.amdhsa_kernarg_size 112
		.amdhsa_user_sgpr_count 15
		.amdhsa_user_sgpr_dispatch_ptr 1
		.amdhsa_user_sgpr_queue_ptr 0
		.amdhsa_user_sgpr_kernarg_segment_ptr 1
		.amdhsa_user_sgpr_dispatch_id 0
		.amdhsa_user_sgpr_private_segment_size 0
		.amdhsa_wavefront_size32 1
		.amdhsa_uses_dynamic_stack 0
		.amdhsa_enable_private_segment 0
		.amdhsa_system_sgpr_workgroup_id_x 1
		.amdhsa_system_sgpr_workgroup_id_y 0
		.amdhsa_system_sgpr_workgroup_id_z 0
		.amdhsa_system_sgpr_workgroup_info 0
		.amdhsa_system_vgpr_workitem_id 2
		.amdhsa_next_free_vgpr 159
		.amdhsa_next_free_sgpr 18
		.amdhsa_reserve_vcc 1
		.amdhsa_float_round_mode_32 0
		.amdhsa_float_round_mode_16_64 0
		.amdhsa_float_denorm_mode_32 3
		.amdhsa_float_denorm_mode_16_64 3
		.amdhsa_dx10_clamp 1
		.amdhsa_ieee_mode 1
		.amdhsa_fp16_overflow 0
		.amdhsa_workgroup_processor_mode 1
		.amdhsa_memory_ordered 1
		.amdhsa_forward_progress 0
		.amdhsa_shared_vgpr_count 0
		.amdhsa_exception_fp_ieee_invalid_op 0
		.amdhsa_exception_fp_denorm_src 0
		.amdhsa_exception_fp_ieee_div_zero 0
		.amdhsa_exception_fp_ieee_overflow 0
		.amdhsa_exception_fp_ieee_underflow 0
		.amdhsa_exception_fp_ieee_inexact 0
		.amdhsa_exception_int_div_zero 0
	.end_amdhsa_kernel
	.section	.text._ZN9rocsparseL18bsrxmvn_4x4_kernelILj128ELj8E21rocsparse_complex_numIdEliS2_S2_S2_EEvT3_20rocsparse_direction_NS_24const_host_device_scalarIT1_EES3_PKS3_PKT2_SC_S9_PKT4_PKT5_S7_PT6_21rocsparse_index_base_b,"axG",@progbits,_ZN9rocsparseL18bsrxmvn_4x4_kernelILj128ELj8E21rocsparse_complex_numIdEliS2_S2_S2_EEvT3_20rocsparse_direction_NS_24const_host_device_scalarIT1_EES3_PKS3_PKT2_SC_S9_PKT4_PKT5_S7_PT6_21rocsparse_index_base_b,comdat
.Lfunc_end36:
	.size	_ZN9rocsparseL18bsrxmvn_4x4_kernelILj128ELj8E21rocsparse_complex_numIdEliS2_S2_S2_EEvT3_20rocsparse_direction_NS_24const_host_device_scalarIT1_EES3_PKS3_PKT2_SC_S9_PKT4_PKT5_S7_PT6_21rocsparse_index_base_b, .Lfunc_end36-_ZN9rocsparseL18bsrxmvn_4x4_kernelILj128ELj8E21rocsparse_complex_numIdEliS2_S2_S2_EEvT3_20rocsparse_direction_NS_24const_host_device_scalarIT1_EES3_PKS3_PKT2_SC_S9_PKT4_PKT5_S7_PT6_21rocsparse_index_base_b
                                        ; -- End function
	.section	.AMDGPU.csdata,"",@progbits
; Kernel info:
; codeLenInByte = 10948
; NumSgprs: 20
; NumVgprs: 159
; ScratchSize: 0
; MemoryBound: 1
; FloatMode: 240
; IeeeMode: 1
; LDSByteSize: 2048 bytes/workgroup (compile time only)
; SGPRBlocks: 2
; VGPRBlocks: 19
; NumSGPRsForWavesPerEU: 20
; NumVGPRsForWavesPerEU: 159
; Occupancy: 9
; WaveLimiterHint : 1
; COMPUTE_PGM_RSRC2:SCRATCH_EN: 0
; COMPUTE_PGM_RSRC2:USER_SGPR: 15
; COMPUTE_PGM_RSRC2:TRAP_HANDLER: 0
; COMPUTE_PGM_RSRC2:TGID_X_EN: 1
; COMPUTE_PGM_RSRC2:TGID_Y_EN: 0
; COMPUTE_PGM_RSRC2:TGID_Z_EN: 0
; COMPUTE_PGM_RSRC2:TIDIG_COMP_CNT: 2
	.section	.text._ZN9rocsparseL18bsrxmvn_4x4_kernelILj128ELj16E21rocsparse_complex_numIdEliS2_S2_S2_EEvT3_20rocsparse_direction_NS_24const_host_device_scalarIT1_EES3_PKS3_PKT2_SC_S9_PKT4_PKT5_S7_PT6_21rocsparse_index_base_b,"axG",@progbits,_ZN9rocsparseL18bsrxmvn_4x4_kernelILj128ELj16E21rocsparse_complex_numIdEliS2_S2_S2_EEvT3_20rocsparse_direction_NS_24const_host_device_scalarIT1_EES3_PKS3_PKT2_SC_S9_PKT4_PKT5_S7_PT6_21rocsparse_index_base_b,comdat
	.globl	_ZN9rocsparseL18bsrxmvn_4x4_kernelILj128ELj16E21rocsparse_complex_numIdEliS2_S2_S2_EEvT3_20rocsparse_direction_NS_24const_host_device_scalarIT1_EES3_PKS3_PKT2_SC_S9_PKT4_PKT5_S7_PT6_21rocsparse_index_base_b ; -- Begin function _ZN9rocsparseL18bsrxmvn_4x4_kernelILj128ELj16E21rocsparse_complex_numIdEliS2_S2_S2_EEvT3_20rocsparse_direction_NS_24const_host_device_scalarIT1_EES3_PKS3_PKT2_SC_S9_PKT4_PKT5_S7_PT6_21rocsparse_index_base_b
	.p2align	8
	.type	_ZN9rocsparseL18bsrxmvn_4x4_kernelILj128ELj16E21rocsparse_complex_numIdEliS2_S2_S2_EEvT3_20rocsparse_direction_NS_24const_host_device_scalarIT1_EES3_PKS3_PKT2_SC_S9_PKT4_PKT5_S7_PT6_21rocsparse_index_base_b,@function
_ZN9rocsparseL18bsrxmvn_4x4_kernelILj128ELj16E21rocsparse_complex_numIdEliS2_S2_S2_EEvT3_20rocsparse_direction_NS_24const_host_device_scalarIT1_EES3_PKS3_PKT2_SC_S9_PKT4_PKT5_S7_PT6_21rocsparse_index_base_b: ; @_ZN9rocsparseL18bsrxmvn_4x4_kernelILj128ELj16E21rocsparse_complex_numIdEliS2_S2_S2_EEvT3_20rocsparse_direction_NS_24const_host_device_scalarIT1_EES3_PKS3_PKT2_SC_S9_PKT4_PKT5_S7_PT6_21rocsparse_index_base_b
; %bb.0:
	s_load_b64 s[12:13], s[2:3], 0x68
	s_load_b64 s[16:17], s[0:1], 0x4
	s_load_b128 s[8:11], s[2:3], 0x8
	v_bfe_u32 v2, v0, 10, 10
	s_mov_b64 s[0:1], src_shared_base
	s_load_b128 s[4:7], s[2:3], 0x50
	v_and_b32_e32 v1, 0x3ff, v0
	v_bfe_u32 v0, v0, 20, 10
	s_waitcnt lgkmcnt(0)
	s_bitcmp1_b32 s13, 0
	v_mul_u32_u24_e32 v2, s17, v2
	s_cselect_b32 s0, -1, 0
	v_mov_b32_e32 v23, s11
	s_and_b32 vcc_lo, s0, exec_lo
	s_cselect_b32 s13, s1, s9
	s_lshr_b32 s14, s16, 16
	v_dual_mov_b32 v4, s4 :: v_dual_mov_b32 v5, s5
	s_mul_i32 s14, s14, s17
	v_dual_mov_b32 v7, s13 :: v_dual_mov_b32 v22, s10
	v_mad_u32_u24 v2, s14, v1, v2
	s_xor_b32 s10, s0, -1
	s_delay_alu instid0(VALU_DEP_1) | instskip(SKIP_1) | instid1(VALU_DEP_2)
	v_add_lshl_u32 v0, v2, v0, 3
	v_dual_mov_b32 v2, s8 :: v_dual_mov_b32 v3, s9
	v_add_nc_u32_e32 v6, 0x400, v0
	ds_store_2addr_stride64_b64 v0, v[4:5], v[2:3] offset1:2
	v_cndmask_b32_e64 v6, s8, v6, s0
	flat_load_b64 v[20:21], v[6:7]
	s_cbranch_vccnz .LBB37_2
; %bb.1:
	v_dual_mov_b32 v2, s8 :: v_dual_mov_b32 v3, s9
	flat_load_b64 v[22:23], v[2:3] offset:8
.LBB37_2:
	s_and_b32 s8, s0, exec_lo
	s_cselect_b32 s1, s1, s5
	v_cndmask_b32_e64 v2, s4, v0, s0
	v_mov_b32_e32 v3, s1
	v_dual_mov_b32 v19, s7 :: v_dual_mov_b32 v18, s6
	s_and_not1_b32 vcc_lo, exec_lo, s10
	flat_load_b64 v[16:17], v[2:3]
	s_cbranch_vccnz .LBB37_4
; %bb.3:
	v_dual_mov_b32 v2, s4 :: v_dual_mov_b32 v3, s5
	flat_load_b64 v[18:19], v[2:3] offset:8
.LBB37_4:
	s_waitcnt vmcnt(1) lgkmcnt(1)
	v_cmp_eq_f64_e32 vcc_lo, 0, v[20:21]
	v_cmp_eq_f64_e64 s0, 0, v[22:23]
	s_delay_alu instid0(VALU_DEP_1)
	s_and_b32 s4, vcc_lo, s0
	s_mov_b32 s0, -1
	s_and_saveexec_b32 s1, s4
	s_cbranch_execz .LBB37_6
; %bb.5:
	s_waitcnt vmcnt(0) lgkmcnt(0)
	v_cmp_neq_f64_e32 vcc_lo, 1.0, v[16:17]
	v_cmp_neq_f64_e64 s0, 0, v[18:19]
	s_delay_alu instid0(VALU_DEP_1) | instskip(NEXT) | instid1(SALU_CYCLE_1)
	s_or_b32 s0, vcc_lo, s0
	s_or_not1_b32 s0, s0, exec_lo
.LBB37_6:
	s_or_b32 exec_lo, exec_lo, s1
	s_and_saveexec_b32 s1, s0
	s_cbranch_execz .LBB37_12
; %bb.7:
	s_clause 0x1
	s_load_b64 s[4:5], s[2:3], 0x20
	s_load_b64 s[0:1], s[2:3], 0x0
	v_lshrrev_b32_e32 v0, 4, v1
	s_delay_alu instid0(VALU_DEP_1)
	v_lshl_or_b32 v24, s15, 3, v0
	s_waitcnt lgkmcnt(0)
	s_cmp_lg_u64 s[4:5], 0
	s_cbranch_scc0 .LBB37_13
; %bb.8:
	s_load_b32 s6, s[2:3], 0x18
	s_mov_b32 s7, 0
                                        ; implicit-def: $vgpr0
	s_waitcnt lgkmcnt(0)
	v_cmp_gt_i32_e32 vcc_lo, s6, v24
	s_mov_b32 s6, 0
	s_and_saveexec_b32 s8, vcc_lo
	s_delay_alu instid0(SALU_CYCLE_1)
	s_xor_b32 s8, exec_lo, s8
	s_cbranch_execz .LBB37_10
; %bb.9:
	v_ashrrev_i32_e32 v25, 31, v24
	s_mov_b32 s6, exec_lo
	s_delay_alu instid0(VALU_DEP_1) | instskip(NEXT) | instid1(VALU_DEP_1)
	v_lshlrev_b64 v[2:3], 2, v[24:25]
	v_add_co_u32 v2, vcc_lo, s4, v2
	s_delay_alu instid0(VALU_DEP_2)
	v_add_co_ci_u32_e32 v3, vcc_lo, s5, v3, vcc_lo
	global_load_b32 v0, v[2:3], off
	s_waitcnt vmcnt(0)
	v_subrev_nc_u32_e32 v0, s12, v0
.LBB37_10:
	s_or_b32 exec_lo, exec_lo, s8
	s_delay_alu instid0(SALU_CYCLE_1)
	s_and_b32 vcc_lo, exec_lo, s7
	s_cbranch_vccz .LBB37_14
.LBB37_11:
	v_cmp_gt_i32_e32 vcc_lo, s0, v24
	s_and_not1_b32 s0, s6, exec_lo
	s_and_b32 s4, vcc_lo, exec_lo
	s_delay_alu instid0(SALU_CYCLE_1) | instskip(NEXT) | instid1(SALU_CYCLE_1)
	s_or_b32 s6, s0, s4
	s_and_b32 exec_lo, exec_lo, s6
	s_cbranch_execnz .LBB37_15
.LBB37_12:
	s_nop 0
	s_sendmsg sendmsg(MSG_DEALLOC_VGPRS)
	s_endpgm
.LBB37_13:
	s_mov_b32 s6, 0
                                        ; implicit-def: $vgpr0
	s_cbranch_execnz .LBB37_11
.LBB37_14:
	s_delay_alu instid0(VALU_DEP_1)
	v_mov_b32_e32 v24, v0
	s_and_b32 exec_lo, exec_lo, s6
	s_cbranch_execz .LBB37_12
.LBB37_15:
	s_load_b256 s[4:11], s[2:3], 0x28
	s_delay_alu instid0(VALU_DEP_1) | instskip(SKIP_1) | instid1(VALU_DEP_2)
	v_ashrrev_i32_e32 v25, 31, v24
	v_and_b32_e32 v55, 15, v1
	v_lshlrev_b64 v[2:3], 3, v[24:25]
	s_waitcnt lgkmcnt(0)
	s_delay_alu instid0(VALU_DEP_1) | instskip(NEXT) | instid1(VALU_DEP_2)
	v_add_co_u32 v4, vcc_lo, s4, v2
	v_add_co_ci_u32_e32 v5, vcc_lo, s5, v3, vcc_lo
	v_add_co_u32 v0, vcc_lo, s6, v2
	v_add_co_ci_u32_e32 v2, vcc_lo, s7, v3, vcc_lo
	s_delay_alu instid0(VALU_DEP_4)
	v_add_co_u32 v6, vcc_lo, v4, 8
	global_load_b64 v[47:48], v[4:5], off
	v_add_co_ci_u32_e32 v3, vcc_lo, 0, v5, vcc_lo
	s_cmp_eq_u64 s[6:7], 0
	s_load_b64 s[4:5], s[2:3], 0x48
	s_cselect_b32 vcc_lo, -1, 0
	s_cmp_eq_u32 s1, 1
	v_dual_cndmask_b32 v3, v2, v3 :: v_dual_cndmask_b32 v2, v0, v6
	global_load_b64 v[2:3], v[2:3], off
	s_waitcnt vmcnt(1)
	v_sub_co_u32 v0, vcc_lo, v47, s12
	v_subrev_co_ci_u32_e32 v1, vcc_lo, 0, v48, vcc_lo
	s_delay_alu instid0(VALU_DEP_2) | instskip(NEXT) | instid1(VALU_DEP_2)
	v_add_co_u32 v25, vcc_lo, v0, v55
	v_add_co_ci_u32_e32 v26, vcc_lo, 0, v1, vcc_lo
	s_delay_alu instid0(VALU_DEP_1) | instskip(SKIP_3) | instid1(VALU_DEP_3)
	v_lshlrev_b64 v[0:1], 8, v[25:26]
	s_waitcnt vmcnt(0)
	v_sub_co_u32 v27, vcc_lo, v2, s12
	v_subrev_co_ci_u32_e32 v28, vcc_lo, 0, v3, vcc_lo
	v_add_co_u32 v29, vcc_lo, s10, v0
	s_delay_alu instid0(VALU_DEP_2)
	v_cmp_lt_i64_e64 s0, v[25:26], v[27:28]
	v_add_co_ci_u32_e32 v30, vcc_lo, s11, v1, vcc_lo
	s_cbranch_scc1 .LBB37_27
; %bb.16:
	v_mov_b32_e32 v35, 0
	v_mov_b32_e32 v36, 0
	s_delay_alu instid0(VALU_DEP_2) | instskip(NEXT) | instid1(VALU_DEP_2)
	v_mov_b32_e32 v33, v35
	v_dual_mov_b32 v31, v35 :: v_dual_mov_b32 v32, v36
	v_dual_mov_b32 v40, v36 :: v_dual_mov_b32 v39, v35
	v_mov_b32_e32 v34, v36
	v_dual_mov_b32 v42, v36 :: v_dual_mov_b32 v41, v35
	v_dual_mov_b32 v44, v36 :: v_dual_mov_b32 v43, v35
	;; [unrolled: 1-line block ×4, first 2 shown]
	s_and_saveexec_b32 s6, s0
	s_cbranch_execz .LBB37_26
; %bb.17:
	v_or_b32_e32 v0, 16, v55
	v_not_b32_e32 v3, v47
	v_not_b32_e32 v2, v48
	v_mov_b32_e32 v52, v26
	s_mov_b32 s10, 0
	v_sub_co_u32 v0, s1, v0, s12
	s_delay_alu instid0(VALU_DEP_1) | instskip(SKIP_1) | instid1(VALU_DEP_3)
	v_sub_co_ci_u32_e64 v1, null, 0, 0, s1
	v_sub_co_u32 v4, s1, s12, v55
	v_add_co_u32 v0, vcc_lo, v0, v47
	s_delay_alu instid0(VALU_DEP_3) | instskip(SKIP_2) | instid1(VALU_DEP_2)
	v_add_co_ci_u32_e32 v1, vcc_lo, v1, v48, vcc_lo
	v_sub_co_ci_u32_e64 v5, null, 0, 0, s1
	s_mov_b32 s7, exec_lo
	v_cmp_gt_i64_e32 vcc_lo, v[0:1], v[27:28]
	v_mov_b32_e32 v51, v25
	v_dual_cndmask_b32 v1, v28, v1 :: v_dual_cndmask_b32 v0, v27, v0
	v_add_co_u32 v3, vcc_lo, v4, v3
	v_add_co_ci_u32_e32 v2, vcc_lo, v5, v2, vcc_lo
	s_delay_alu instid0(VALU_DEP_2) | instskip(NEXT) | instid1(VALU_DEP_2)
	v_add_co_u32 v0, vcc_lo, v3, v0
	v_add_co_ci_u32_e32 v1, vcc_lo, v2, v1, vcc_lo
	s_delay_alu instid0(VALU_DEP_2) | instskip(SKIP_3) | instid1(VALU_DEP_3)
	v_lshrrev_b32_e32 v2, 4, v0
	v_mov_b32_e32 v37, 0
	v_mov_b32_e32 v38, 0
	v_dual_mov_b32 v50, v30 :: v_dual_mov_b32 v49, v29
	v_dual_mov_b32 v31, v37 :: v_dual_add_nc_u32 v2, 1, v2
	s_delay_alu instid0(VALU_DEP_3) | instskip(SKIP_1) | instid1(VALU_DEP_3)
	v_dual_mov_b32 v33, v37 :: v_dual_mov_b32 v46, v38
	v_mov_b32_e32 v44, v38
	v_and_b32_e32 v2, 3, v2
	v_mov_b32_e32 v42, v38
	v_dual_mov_b32 v34, v38 :: v_dual_mov_b32 v35, v37
	v_dual_mov_b32 v40, v38 :: v_dual_mov_b32 v45, v37
	v_mov_b32_e32 v43, v37
	v_dual_mov_b32 v41, v37 :: v_dual_mov_b32 v32, v38
	v_dual_mov_b32 v39, v37 :: v_dual_mov_b32 v36, v38
	v_cmpx_ne_u32_e32 0, v2
	s_cbranch_execz .LBB37_21
; %bb.18:
	v_lshlrev_b64 v[4:5], 2, v[25:26]
	v_dual_mov_b32 v35, 0 :: v_dual_lshlrev_b32 v2, 2, v2
	v_dual_mov_b32 v3, 0 :: v_dual_mov_b32 v36, 0
	v_dual_mov_b32 v52, v26 :: v_dual_mov_b32 v51, v25
	s_delay_alu instid0(VALU_DEP_4)
	v_add_co_u32 v4, vcc_lo, s8, v4
	v_add_co_ci_u32_e32 v5, vcc_lo, s9, v5, vcc_lo
	v_dual_mov_b32 v50, v30 :: v_dual_mov_b32 v49, v29
	v_dual_mov_b32 v40, v36 :: v_dual_mov_b32 v39, v35
	;; [unrolled: 1-line block ×8, first 2 shown]
.LBB37_19:                              ; =>This Inner Loop Header: Depth=1
	global_load_b32 v14, v[4:5], off
	s_clause 0x7
	global_load_b128 v[6:9], v[49:50], off offset:16
	global_load_b128 v[10:13], v[49:50], off
	global_load_b128 v[56:59], v[49:50], off offset:80
	global_load_b128 v[60:63], v[49:50], off offset:64
	;; [unrolled: 1-line block ×6, first 2 shown]
	v_add_co_u32 v4, s1, v4, 64
	s_delay_alu instid0(VALU_DEP_1) | instskip(SKIP_2) | instid1(VALU_DEP_1)
	v_add_co_ci_u32_e64 v5, s1, 0, v5, s1
	s_waitcnt vmcnt(8)
	v_subrev_nc_u32_e32 v14, s12, v14
	v_lshlrev_b32_e32 v14, 2, v14
	s_delay_alu instid0(VALU_DEP_1) | instskip(NEXT) | instid1(VALU_DEP_1)
	v_ashrrev_i32_e32 v15, 31, v14
	v_lshlrev_b64 v[14:15], 4, v[14:15]
	s_waitcnt lgkmcnt(0)
	s_delay_alu instid0(VALU_DEP_1) | instskip(NEXT) | instid1(VALU_DEP_2)
	v_add_co_u32 v14, vcc_lo, s4, v14
	v_add_co_ci_u32_e32 v15, vcc_lo, s5, v15, vcc_lo
	s_clause 0x1
	global_load_b128 v[80:83], v[14:15], off
	global_load_b128 v[84:87], v[14:15], off offset:16
	s_clause 0x7
	global_load_b128 v[88:91], v[49:50], off offset:48
	global_load_b128 v[92:95], v[49:50], off offset:32
	;; [unrolled: 1-line block ×8, first 2 shown]
	s_clause 0x1
	global_load_b128 v[120:123], v[14:15], off offset:32
	global_load_b128 v[124:127], v[14:15], off offset:48
	v_add_co_u32 v49, vcc_lo, 0x1000, v49
	v_add_co_ci_u32_e32 v50, vcc_lo, 0, v50, vcc_lo
	v_add_co_u32 v2, vcc_lo, v2, -4
	v_add_co_ci_u32_e32 v3, vcc_lo, -1, v3, vcc_lo
	v_add_co_u32 v51, vcc_lo, v51, 16
	v_add_co_ci_u32_e32 v52, vcc_lo, 0, v52, vcc_lo
	s_delay_alu instid0(VALU_DEP_3)
	v_cmp_eq_u64_e32 vcc_lo, 0, v[2:3]
	s_or_b32 s10, vcc_lo, s10
	s_waitcnt vmcnt(11)
	v_fma_f64 v[14:15], v[10:11], v[80:81], v[39:40]
	v_fma_f64 v[35:36], v[12:13], v[80:81], v[35:36]
	v_fma_f64 v[39:40], v[60:61], v[80:81], v[45:46]
	v_fma_f64 v[37:38], v[62:63], v[80:81], v[37:38]
	v_fma_f64 v[41:42], v[68:69], v[80:81], v[41:42]
	v_fma_f64 v[43:44], v[70:71], v[80:81], v[43:44]
	v_fma_f64 v[33:34], v[76:77], v[80:81], v[33:34]
	v_fma_f64 v[31:32], v[78:79], v[80:81], v[31:32]
	v_fma_f64 v[12:13], -v[12:13], v[82:83], v[14:15]
	v_fma_f64 v[10:11], v[10:11], v[82:83], v[35:36]
	v_fma_f64 v[14:15], -v[62:63], v[82:83], v[39:40]
	v_fma_f64 v[35:36], v[60:61], v[82:83], v[37:38]
	v_fma_f64 v[37:38], -v[70:71], v[82:83], v[41:42]
	v_fma_f64 v[39:40], v[68:69], v[82:83], v[43:44]
	v_fma_f64 v[33:34], -v[78:79], v[82:83], v[33:34]
	v_fma_f64 v[31:32], v[76:77], v[82:83], v[31:32]
	s_waitcnt vmcnt(10)
	v_fma_f64 v[12:13], v[6:7], v[84:85], v[12:13]
	v_fma_f64 v[10:11], v[8:9], v[84:85], v[10:11]
	v_fma_f64 v[14:15], v[56:57], v[84:85], v[14:15]
	v_fma_f64 v[35:36], v[58:59], v[84:85], v[35:36]
	v_fma_f64 v[37:38], v[64:65], v[84:85], v[37:38]
	v_fma_f64 v[39:40], v[66:67], v[84:85], v[39:40]
	v_fma_f64 v[33:34], v[72:73], v[84:85], v[33:34]
	v_fma_f64 v[31:32], v[74:75], v[84:85], v[31:32]
	v_fma_f64 v[8:9], -v[8:9], v[86:87], v[12:13]
	v_fma_f64 v[6:7], v[6:7], v[86:87], v[10:11]
	v_fma_f64 v[10:11], -v[58:59], v[86:87], v[14:15]
	v_fma_f64 v[12:13], v[56:57], v[86:87], v[35:36]
	v_fma_f64 v[14:15], -v[66:67], v[86:87], v[37:38]
	v_fma_f64 v[35:36], v[64:65], v[86:87], v[39:40]
	v_fma_f64 v[33:34], -v[74:75], v[86:87], v[33:34]
	v_fma_f64 v[31:32], v[72:73], v[86:87], v[31:32]
	;; [unrolled: 17-line block ×4, first 2 shown]
	s_and_not1_b32 exec_lo, exec_lo, s10
	s_cbranch_execnz .LBB37_19
; %bb.20:
	s_or_b32 exec_lo, exec_lo, s10
.LBB37_21:
	s_delay_alu instid0(SALU_CYCLE_1) | instskip(NEXT) | instid1(SALU_CYCLE_1)
	s_or_b32 exec_lo, exec_lo, s7
	s_mov_b32 s7, exec_lo
	v_cmpx_lt_u64_e32 47, v[0:1]
	s_cbranch_execz .LBB37_25
; %bb.22:
	v_lshlrev_b64 v[0:1], 2, v[51:52]
	s_mov_b32 s10, 0
	s_delay_alu instid0(VALU_DEP_1) | instskip(NEXT) | instid1(VALU_DEP_2)
	v_add_co_u32 v0, vcc_lo, v0, s8
	v_add_co_ci_u32_e32 v1, vcc_lo, s9, v1, vcc_lo
	s_delay_alu instid0(VALU_DEP_2) | instskip(NEXT) | instid1(VALU_DEP_2)
	v_add_co_u32 v53, vcc_lo, 0x80, v0
	v_add_co_ci_u32_e32 v54, vcc_lo, 0, v1, vcc_lo
.LBB37_23:                              ; =>This Inner Loop Header: Depth=1
	s_clause 0x1
	global_load_b32 v56, v[53:54], off offset:-128
	global_load_b32 v57, v[53:54], off offset:-64
	s_clause 0x3
	global_load_b128 v[12:15], v[49:50], off
	global_load_b128 v[8:11], v[49:50], off offset:64
	global_load_b128 v[4:7], v[49:50], off offset:128
	;; [unrolled: 1-line block ×3, first 2 shown]
	s_clause 0x1
	global_load_b32 v158, v[53:54], off
	global_load_b32 v159, v[53:54], off offset:64
	s_waitcnt vmcnt(7)
	v_subrev_nc_u32_e32 v56, s12, v56
	s_delay_alu instid0(VALU_DEP_1) | instskip(SKIP_2) | instid1(VALU_DEP_2)
	v_lshlrev_b32_e32 v58, 2, v56
	s_waitcnt vmcnt(6)
	v_subrev_nc_u32_e32 v56, s12, v57
	v_ashrrev_i32_e32 v59, 31, v58
	s_delay_alu instid0(VALU_DEP_2) | instskip(NEXT) | instid1(VALU_DEP_2)
	v_lshlrev_b32_e32 v56, 2, v56
	v_lshlrev_b64 v[58:59], 4, v[58:59]
	s_delay_alu instid0(VALU_DEP_2) | instskip(NEXT) | instid1(VALU_DEP_1)
	v_ashrrev_i32_e32 v57, 31, v56
	v_lshlrev_b64 v[56:57], 4, v[56:57]
	s_waitcnt lgkmcnt(0)
	s_delay_alu instid0(VALU_DEP_3) | instskip(NEXT) | instid1(VALU_DEP_4)
	v_add_co_u32 v118, vcc_lo, s4, v58
	v_add_co_ci_u32_e32 v119, vcc_lo, s5, v59, vcc_lo
	v_add_co_u32 v142, vcc_lo, 0x1000, v49
	global_load_b128 v[58:61], v[118:119], off
	s_clause 0x3
	global_load_b128 v[62:65], v[49:50], off offset:16
	global_load_b128 v[66:69], v[49:50], off offset:80
	global_load_b128 v[70:73], v[49:50], off offset:144
	global_load_b128 v[74:77], v[49:50], off offset:208
	global_load_b128 v[78:81], v[118:119], off offset:16
	s_clause 0x3
	global_load_b128 v[82:85], v[49:50], off offset:96
	global_load_b128 v[86:89], v[49:50], off offset:160
	global_load_b128 v[90:93], v[49:50], off offset:224
	global_load_b128 v[94:97], v[49:50], off offset:32
	global_load_b128 v[98:101], v[118:119], off offset:32
	;; [unrolled: 6-line block ×3, first 2 shown]
	v_add_co_ci_u32_e32 v143, vcc_lo, 0, v50, vcc_lo
	v_add_co_u32 v144, vcc_lo, v49, 0x2000
	v_add_co_ci_u32_e32 v145, vcc_lo, 0, v50, vcc_lo
	v_add_co_u32 v146, vcc_lo, s4, v56
	v_add_co_ci_u32_e32 v147, vcc_lo, s5, v57, vcc_lo
	s_clause 0x3
	global_load_b128 v[122:125], v[142:143], off offset:64
	global_load_b128 v[126:129], v[142:143], off offset:128
	;; [unrolled: 1-line block ×3, first 2 shown]
	global_load_b128 v[134:137], v[144:145], off offset:-4096
	v_add_co_u32 v156, vcc_lo, 0x2000, v49
	global_load_b128 v[138:141], v[146:147], off
	v_add_co_ci_u32_e32 v157, vcc_lo, 0, v50, vcc_lo
	s_waitcnt vmcnt(20)
	v_fma_f64 v[39:40], v[12:13], v[58:59], v[39:40]
	v_fma_f64 v[35:36], v[14:15], v[58:59], v[35:36]
	v_fma_f64 v[45:46], v[8:9], v[58:59], v[45:46]
	v_fma_f64 v[37:38], v[10:11], v[58:59], v[37:38]
	v_fma_f64 v[41:42], v[4:5], v[58:59], v[41:42]
	v_fma_f64 v[43:44], v[6:7], v[58:59], v[43:44]
	v_fma_f64 v[33:34], v[0:1], v[58:59], v[33:34]
	v_fma_f64 v[31:32], v[2:3], v[58:59], v[31:32]
	v_fma_f64 v[39:40], -v[14:15], v[60:61], v[39:40]
	v_fma_f64 v[35:36], v[12:13], v[60:61], v[35:36]
	v_fma_f64 v[45:46], -v[10:11], v[60:61], v[45:46]
	v_fma_f64 v[37:38], v[8:9], v[60:61], v[37:38]
	v_fma_f64 v[41:42], -v[6:7], v[60:61], v[41:42]
	v_fma_f64 v[43:44], v[4:5], v[60:61], v[43:44]
	v_fma_f64 v[56:57], -v[2:3], v[60:61], v[33:34]
	v_fma_f64 v[58:59], v[0:1], v[60:61], v[31:32]
	s_clause 0x3
	global_load_b128 v[0:3], v[142:143], off offset:16
	global_load_b128 v[4:7], v[142:143], off offset:80
	global_load_b128 v[8:11], v[142:143], off offset:144
	global_load_b128 v[12:15], v[142:143], off offset:208
	global_load_b128 v[31:34], v[146:147], off offset:16
	s_waitcnt vmcnt(20)
	v_fma_f64 v[39:40], v[62:63], v[78:79], v[39:40]
	v_fma_f64 v[35:36], v[64:65], v[78:79], v[35:36]
	v_fma_f64 v[45:46], v[66:67], v[78:79], v[45:46]
	v_fma_f64 v[37:38], v[68:69], v[78:79], v[37:38]
	v_fma_f64 v[41:42], v[70:71], v[78:79], v[41:42]
	v_fma_f64 v[43:44], v[72:73], v[78:79], v[43:44]
	v_fma_f64 v[56:57], v[74:75], v[78:79], v[56:57]
	v_fma_f64 v[58:59], v[76:77], v[78:79], v[58:59]
	v_fma_f64 v[64:65], -v[64:65], v[80:81], v[39:40]
	v_fma_f64 v[78:79], v[62:63], v[80:81], v[35:36]
	v_fma_f64 v[68:69], -v[68:69], v[80:81], v[45:46]
	v_fma_f64 v[66:67], v[66:67], v[80:81], v[37:38]
	v_fma_f64 v[72:73], -v[72:73], v[80:81], v[41:42]
	v_fma_f64 v[70:71], v[70:71], v[80:81], v[43:44]
	v_fma_f64 v[76:77], -v[76:77], v[80:81], v[56:57]
	v_fma_f64 v[74:75], v[74:75], v[80:81], v[58:59]
	s_clause 0x3
	global_load_b128 v[35:38], v[142:143], off offset:32
	global_load_b128 v[39:42], v[142:143], off offset:96
	global_load_b128 v[43:46], v[142:143], off offset:160
	global_load_b128 v[56:59], v[142:143], off offset:224
	global_load_b128 v[60:63], v[146:147], off offset:32
	;; [unrolled: 23-line block ×3, first 2 shown]
	s_waitcnt vmcnt(20)
	v_fma_f64 v[100:101], v[102:103], v[118:119], v[96:97]
	v_fma_f64 v[142:143], v[104:105], v[118:119], v[94:95]
	;; [unrolled: 1-line block ×8, first 2 shown]
	s_clause 0x3
	global_load_b128 v[84:87], v[144:145], off
	global_load_b128 v[88:91], v[156:157], off offset:64
	global_load_b128 v[92:95], v[156:157], off offset:128
	;; [unrolled: 1-line block ×3, first 2 shown]
	v_subrev_nc_u32_e32 v144, s12, v158
	s_delay_alu instid0(VALU_DEP_1) | instskip(NEXT) | instid1(VALU_DEP_1)
	v_lshlrev_b32_e32 v144, 2, v144
	v_ashrrev_i32_e32 v145, 31, v144
	v_fma_f64 v[104:105], -v[104:105], v[120:121], v[100:101]
	v_fma_f64 v[142:143], v[102:103], v[120:121], v[142:143]
	v_fma_f64 v[108:109], -v[108:109], v[120:121], v[146:147]
	v_fma_f64 v[106:107], v[106:107], v[120:121], v[148:149]
	;; [unrolled: 2-line block ×4, first 2 shown]
	v_lshlrev_b64 v[100:101], 4, v[144:145]
	s_delay_alu instid0(VALU_DEP_1) | instskip(NEXT) | instid1(VALU_DEP_2)
	v_add_co_u32 v144, vcc_lo, s4, v100
	v_add_co_ci_u32_e32 v145, vcc_lo, s5, v101, vcc_lo
	v_add_co_u32 v154, vcc_lo, 0x3000, v49
	v_add_co_ci_u32_e32 v155, vcc_lo, 0, v50, vcc_lo
	global_load_b128 v[100:103], v[144:145], off
	v_add_co_u32 v49, s1, 0x4000, v49
	s_delay_alu instid0(VALU_DEP_1)
	v_add_co_ci_u32_e64 v50, s1, 0, v50, s1
	s_waitcnt vmcnt(20)
	v_fma_f64 v[104:105], v[134:135], v[138:139], v[104:105]
	v_fma_f64 v[118:119], v[136:137], v[138:139], v[142:143]
	v_fma_f64 v[108:109], v[122:123], v[138:139], v[108:109]
	v_fma_f64 v[106:107], v[124:125], v[138:139], v[106:107]
	v_fma_f64 v[112:113], v[126:127], v[138:139], v[112:113]
	v_fma_f64 v[110:111], v[128:129], v[138:139], v[110:111]
	v_fma_f64 v[116:117], v[130:131], v[138:139], v[116:117]
	v_fma_f64 v[114:115], v[132:133], v[138:139], v[114:115]
	v_fma_f64 v[136:137], -v[136:137], v[140:141], v[104:105]
	v_fma_f64 v[134:135], v[134:135], v[140:141], v[118:119]
	v_fma_f64 v[124:125], -v[124:125], v[140:141], v[108:109]
	v_fma_f64 v[138:139], v[122:123], v[140:141], v[106:107]
	v_fma_f64 v[128:129], -v[128:129], v[140:141], v[112:113]
	v_fma_f64 v[126:127], v[126:127], v[140:141], v[110:111]
	v_fma_f64 v[132:133], -v[132:133], v[140:141], v[116:117]
	v_fma_f64 v[130:131], v[130:131], v[140:141], v[114:115]
	s_clause 0x3
	global_load_b128 v[104:107], v[156:157], off offset:16
	global_load_b128 v[108:111], v[156:157], off offset:80
	global_load_b128 v[112:115], v[156:157], off offset:144
	global_load_b128 v[116:119], v[156:157], off offset:208
	global_load_b128 v[120:123], v[144:145], off offset:16
	s_waitcnt vmcnt(20)
	v_fma_f64 v[136:137], v[0:1], v[31:32], v[136:137]
	v_fma_f64 v[134:135], v[2:3], v[31:32], v[134:135]
	v_fma_f64 v[124:125], v[4:5], v[31:32], v[124:125]
	v_fma_f64 v[138:139], v[6:7], v[31:32], v[138:139]
	v_fma_f64 v[128:129], v[8:9], v[31:32], v[128:129]
	v_fma_f64 v[126:127], v[10:11], v[31:32], v[126:127]
	v_fma_f64 v[132:133], v[12:13], v[31:32], v[132:133]
	v_fma_f64 v[31:32], v[14:15], v[31:32], v[130:131]
	v_fma_f64 v[130:131], -v[2:3], v[33:34], v[136:137]
	v_fma_f64 v[134:135], v[0:1], v[33:34], v[134:135]
	v_fma_f64 v[124:125], -v[6:7], v[33:34], v[124:125]
	v_fma_f64 v[136:137], v[4:5], v[33:34], v[138:139]
	v_fma_f64 v[128:129], -v[10:11], v[33:34], v[128:129]
	v_fma_f64 v[126:127], v[8:9], v[33:34], v[126:127]
	v_fma_f64 v[132:133], -v[14:15], v[33:34], v[132:133]
	v_fma_f64 v[138:139], v[12:13], v[33:34], v[31:32]
	s_clause 0x3
	global_load_b128 v[0:3], v[156:157], off offset:32
	global_load_b128 v[4:7], v[156:157], off offset:96
	global_load_b128 v[8:11], v[156:157], off offset:160
	global_load_b128 v[12:15], v[156:157], off offset:224
	global_load_b128 v[31:34], v[144:145], off offset:32
	s_waitcnt vmcnt(20)
	v_fma_f64 v[130:131], v[35:36], v[60:61], v[130:131]
	v_fma_f64 v[134:135], v[37:38], v[60:61], v[134:135]
	v_fma_f64 v[124:125], v[39:40], v[60:61], v[124:125]
	v_fma_f64 v[136:137], v[41:42], v[60:61], v[136:137]
	v_fma_f64 v[128:129], v[43:44], v[60:61], v[128:129]
	v_fma_f64 v[126:127], v[45:46], v[60:61], v[126:127]
	v_fma_f64 v[132:133], v[56:57], v[60:61], v[132:133]
	v_fma_f64 v[60:61], v[58:59], v[60:61], v[138:139]
	v_fma_f64 v[130:131], -v[37:38], v[62:63], v[130:131]
	v_fma_f64 v[134:135], v[35:36], v[62:63], v[134:135]
	v_fma_f64 v[124:125], -v[41:42], v[62:63], v[124:125]
	v_fma_f64 v[136:137], v[39:40], v[62:63], v[136:137]
	v_fma_f64 v[128:129], -v[45:46], v[62:63], v[128:129]
	v_fma_f64 v[126:127], v[43:44], v[62:63], v[126:127]
	v_fma_f64 v[132:133], -v[58:59], v[62:63], v[132:133]
	v_fma_f64 v[138:139], v[56:57], v[62:63], v[60:61]
	s_clause 0x3
	global_load_b128 v[35:38], v[156:157], off offset:112
	global_load_b128 v[39:42], v[156:157], off offset:48
	global_load_b128 v[43:46], v[156:157], off offset:240
	global_load_b128 v[56:59], v[156:157], off offset:176
	global_load_b128 v[60:63], v[144:145], off offset:48
	v_subrev_nc_u32_e32 v156, s12, v159
	s_delay_alu instid0(VALU_DEP_1) | instskip(NEXT) | instid1(VALU_DEP_1)
	v_lshlrev_b32_e32 v156, 2, v156
	v_ashrrev_i32_e32 v157, 31, v156
	s_waitcnt vmcnt(20)
	v_fma_f64 v[140:141], v[64:65], v[80:81], v[130:131]
	v_fma_f64 v[142:143], v[66:67], v[80:81], v[134:135]
	;; [unrolled: 1-line block ×8, first 2 shown]
	s_clause 0x3
	global_load_b128 v[124:127], v[154:155], off
	global_load_b128 v[128:131], v[154:155], off offset:64
	global_load_b128 v[132:135], v[154:155], off offset:128
	;; [unrolled: 1-line block ×3, first 2 shown]
	v_fma_f64 v[140:141], -v[66:67], v[82:83], v[140:141]
	v_fma_f64 v[142:143], v[64:65], v[82:83], v[142:143]
	v_fma_f64 v[70:71], -v[70:71], v[82:83], v[144:145]
	v_fma_f64 v[68:69], v[68:69], v[82:83], v[146:147]
	;; [unrolled: 2-line block ×4, first 2 shown]
	v_lshlrev_b64 v[64:65], 4, v[156:157]
	s_delay_alu instid0(VALU_DEP_1) | instskip(NEXT) | instid1(VALU_DEP_2)
	v_add_co_u32 v144, vcc_lo, s4, v64
	v_add_co_ci_u32_e32 v145, vcc_lo, s5, v65, vcc_lo
	v_add_co_u32 v51, vcc_lo, v51, 64
	v_add_co_ci_u32_e32 v52, vcc_lo, 0, v52, vcc_lo
	global_load_b128 v[64:67], v[144:145], off
	v_add_co_u32 v53, vcc_lo, 0x100, v53
	v_add_co_ci_u32_e32 v54, vcc_lo, 0, v54, vcc_lo
	v_cmp_ge_i64_e32 vcc_lo, v[51:52], v[27:28]
	s_or_b32 s10, vcc_lo, s10
	s_waitcnt vmcnt(20)
	v_fma_f64 v[80:81], v[84:85], v[100:101], v[140:141]
	v_fma_f64 v[82:83], v[86:87], v[100:101], v[142:143]
	v_fma_f64 v[70:71], v[88:89], v[100:101], v[70:71]
	v_fma_f64 v[68:69], v[90:91], v[100:101], v[68:69]
	v_fma_f64 v[78:79], v[92:93], v[100:101], v[78:79]
	v_fma_f64 v[76:77], v[94:95], v[100:101], v[76:77]
	v_fma_f64 v[74:75], v[96:97], v[100:101], v[74:75]
	v_fma_f64 v[72:73], v[98:99], v[100:101], v[72:73]
	v_fma_f64 v[100:101], -v[86:87], v[102:103], v[80:81]
	v_fma_f64 v[140:141], v[84:85], v[102:103], v[82:83]
	v_fma_f64 v[90:91], -v[90:91], v[102:103], v[70:71]
	v_fma_f64 v[88:89], v[88:89], v[102:103], v[68:69]
	v_fma_f64 v[94:95], -v[94:95], v[102:103], v[78:79]
	v_fma_f64 v[92:93], v[92:93], v[102:103], v[76:77]
	v_fma_f64 v[98:99], -v[98:99], v[102:103], v[74:75]
	v_fma_f64 v[96:97], v[96:97], v[102:103], v[72:73]
	s_clause 0x3
	global_load_b128 v[68:71], v[154:155], off offset:80
	global_load_b128 v[72:75], v[154:155], off offset:144
	global_load_b128 v[76:79], v[154:155], off offset:208
	global_load_b128 v[80:83], v[154:155], off offset:16
	global_load_b128 v[84:87], v[144:145], off offset:16
	s_waitcnt vmcnt(20)
	v_fma_f64 v[100:101], v[104:105], v[120:121], v[100:101]
	v_fma_f64 v[102:103], v[106:107], v[120:121], v[140:141]
	v_fma_f64 v[90:91], v[108:109], v[120:121], v[90:91]
	v_fma_f64 v[88:89], v[110:111], v[120:121], v[88:89]
	v_fma_f64 v[94:95], v[112:113], v[120:121], v[94:95]
	v_fma_f64 v[92:93], v[114:115], v[120:121], v[92:93]
	v_fma_f64 v[98:99], v[116:117], v[120:121], v[98:99]
	v_fma_f64 v[96:97], v[118:119], v[120:121], v[96:97]
	v_fma_f64 v[120:121], -v[106:107], v[122:123], v[100:101]
	v_fma_f64 v[140:141], v[104:105], v[122:123], v[102:103]
	v_fma_f64 v[110:111], -v[110:111], v[122:123], v[90:91]
	v_fma_f64 v[108:109], v[108:109], v[122:123], v[88:89]
	v_fma_f64 v[114:115], -v[114:115], v[122:123], v[94:95]
	v_fma_f64 v[112:113], v[112:113], v[122:123], v[92:93]
	v_fma_f64 v[118:119], -v[118:119], v[122:123], v[98:99]
	v_fma_f64 v[116:117], v[116:117], v[122:123], v[96:97]
	s_clause 0x3
	global_load_b128 v[88:91], v[154:155], off offset:96
	global_load_b128 v[92:95], v[154:155], off offset:160
	global_load_b128 v[96:99], v[154:155], off offset:224
	global_load_b128 v[100:103], v[154:155], off offset:32
	global_load_b128 v[104:107], v[144:145], off offset:32
	;; [unrolled: 23-line block ×3, first 2 shown]
	s_waitcnt vmcnt(20)
	v_fma_f64 v[33:34], v[39:40], v[60:61], v[116:117]
	v_fma_f64 v[116:117], v[41:42], v[60:61], v[120:121]
	v_fma_f64 v[120:121], v[35:36], v[60:61], v[122:123]
	v_fma_f64 v[122:123], v[37:38], v[60:61], v[140:141]
	v_fma_f64 v[114:115], v[56:57], v[60:61], v[114:115]
	v_fma_f64 v[112:113], v[58:59], v[60:61], v[112:113]
	v_fma_f64 v[118:119], v[43:44], v[60:61], v[118:119]
	v_fma_f64 v[31:32], v[45:46], v[60:61], v[31:32]
	v_fma_f64 v[33:34], -v[41:42], v[62:63], v[33:34]
	v_fma_f64 v[39:40], v[39:40], v[62:63], v[116:117]
	v_fma_f64 v[37:38], -v[37:38], v[62:63], v[120:121]
	v_fma_f64 v[35:36], v[35:36], v[62:63], v[122:123]
	v_fma_f64 v[41:42], -v[58:59], v[62:63], v[114:115]
	v_fma_f64 v[56:57], v[56:57], v[62:63], v[112:113]
	v_fma_f64 v[45:46], -v[45:46], v[62:63], v[118:119]
	v_fma_f64 v[31:32], v[43:44], v[62:63], v[31:32]
	s_waitcnt vmcnt(15)
	v_fma_f64 v[33:34], v[124:125], v[64:65], v[33:34]
	v_fma_f64 v[39:40], v[126:127], v[64:65], v[39:40]
	v_fma_f64 v[37:38], v[128:129], v[64:65], v[37:38]
	v_fma_f64 v[35:36], v[130:131], v[64:65], v[35:36]
	v_fma_f64 v[41:42], v[132:133], v[64:65], v[41:42]
	v_fma_f64 v[43:44], v[134:135], v[64:65], v[56:57]
	v_fma_f64 v[45:46], v[136:137], v[64:65], v[45:46]
	v_fma_f64 v[31:32], v[138:139], v[64:65], v[31:32]
	v_fma_f64 v[33:34], -v[126:127], v[66:67], v[33:34]
	v_fma_f64 v[39:40], v[124:125], v[66:67], v[39:40]
	v_fma_f64 v[37:38], -v[130:131], v[66:67], v[37:38]
	v_fma_f64 v[35:36], v[128:129], v[66:67], v[35:36]
	v_fma_f64 v[41:42], -v[134:135], v[66:67], v[41:42]
	v_fma_f64 v[43:44], v[132:133], v[66:67], v[43:44]
	v_fma_f64 v[45:46], -v[138:139], v[66:67], v[45:46]
	v_fma_f64 v[31:32], v[136:137], v[66:67], v[31:32]
	;; [unrolled: 17-line block ×5, first 2 shown]
	s_and_not1_b32 exec_lo, exec_lo, s10
	s_cbranch_execnz .LBB37_23
; %bb.24:
	s_or_b32 exec_lo, exec_lo, s10
.LBB37_25:
	s_delay_alu instid0(SALU_CYCLE_1)
	s_or_b32 exec_lo, exec_lo, s7
.LBB37_26:
	s_delay_alu instid0(SALU_CYCLE_1)
	s_or_b32 exec_lo, exec_lo, s6
	s_cbranch_execz .LBB37_28
	s_branch .LBB37_39
.LBB37_27:
                                        ; implicit-def: $vgpr35_vgpr36
                                        ; implicit-def: $vgpr39_vgpr40
                                        ; implicit-def: $vgpr33_vgpr34
                                        ; implicit-def: $vgpr31_vgpr32
                                        ; implicit-def: $vgpr41_vgpr42
                                        ; implicit-def: $vgpr43_vgpr44
                                        ; implicit-def: $vgpr45_vgpr46
                                        ; implicit-def: $vgpr37_vgpr38
.LBB37_28:
	v_mov_b32_e32 v35, 0
	v_mov_b32_e32 v36, 0
	s_delay_alu instid0(VALU_DEP_2) | instskip(NEXT) | instid1(VALU_DEP_2)
	v_mov_b32_e32 v33, v35
	v_dual_mov_b32 v31, v35 :: v_dual_mov_b32 v32, v36
	v_dual_mov_b32 v40, v36 :: v_dual_mov_b32 v39, v35
	v_mov_b32_e32 v34, v36
	v_dual_mov_b32 v42, v36 :: v_dual_mov_b32 v41, v35
	v_dual_mov_b32 v44, v36 :: v_dual_mov_b32 v43, v35
	;; [unrolled: 1-line block ×4, first 2 shown]
	s_and_saveexec_b32 s1, s0
	s_cbranch_execz .LBB37_38
; %bb.29:
	v_or_b32_e32 v0, 16, v55
	v_not_b32_e32 v3, v47
	v_not_b32_e32 v2, v48
	s_mov_b32 s7, 0
	s_mov_b32 s6, exec_lo
	v_sub_co_u32 v0, s0, v0, s12
	s_delay_alu instid0(VALU_DEP_1) | instskip(SKIP_1) | instid1(VALU_DEP_3)
	v_sub_co_ci_u32_e64 v1, null, 0, 0, s0
	v_sub_co_u32 v4, s0, s12, v55
	v_add_co_u32 v0, vcc_lo, v0, v47
	s_delay_alu instid0(VALU_DEP_3) | instskip(SKIP_1) | instid1(VALU_DEP_2)
	v_add_co_ci_u32_e32 v1, vcc_lo, v1, v48, vcc_lo
	v_sub_co_ci_u32_e64 v5, null, 0, 0, s0
	v_cmp_gt_i64_e32 vcc_lo, v[0:1], v[27:28]
	v_dual_cndmask_b32 v1, v28, v1 :: v_dual_cndmask_b32 v0, v27, v0
	v_add_co_u32 v3, vcc_lo, v4, v3
	s_delay_alu instid0(VALU_DEP_4) | instskip(NEXT) | instid1(VALU_DEP_2)
	v_add_co_ci_u32_e32 v2, vcc_lo, v5, v2, vcc_lo
	v_add_co_u32 v0, vcc_lo, v3, v0
	s_delay_alu instid0(VALU_DEP_2) | instskip(NEXT) | instid1(VALU_DEP_2)
	v_add_co_ci_u32_e32 v1, vcc_lo, v2, v1, vcc_lo
	v_lshrrev_b32_e32 v2, 4, v0
	v_mov_b32_e32 v37, 0
	v_mov_b32_e32 v38, 0
	s_delay_alu instid0(VALU_DEP_2) | instskip(NEXT) | instid1(VALU_DEP_4)
	v_mov_b32_e32 v31, v37
	v_dual_mov_b32 v33, v37 :: v_dual_add_nc_u32 v2, 1, v2
	s_delay_alu instid0(VALU_DEP_3)
	v_dual_mov_b32 v35, v37 :: v_dual_mov_b32 v42, v38
	v_mov_b32_e32 v32, v38
	v_mov_b32_e32 v40, v38
	v_dual_mov_b32 v46, v38 :: v_dual_mov_b32 v45, v37
	v_dual_mov_b32 v44, v38 :: v_dual_mov_b32 v43, v37
	v_dual_mov_b32 v41, v37 :: v_dual_and_b32 v2, 3, v2
	v_dual_mov_b32 v34, v38 :: v_dual_mov_b32 v39, v37
	v_mov_b32_e32 v36, v38
	s_delay_alu instid0(VALU_DEP_3)
	v_cmpx_ne_u32_e32 0, v2
	s_cbranch_execz .LBB37_33
; %bb.30:
	v_lshlrev_b64 v[4:5], 2, v[25:26]
	v_dual_mov_b32 v35, 0 :: v_dual_lshlrev_b32 v2, 2, v2
	v_dual_mov_b32 v3, 0 :: v_dual_mov_b32 v36, 0
	s_delay_alu instid0(VALU_DEP_2) | instskip(NEXT) | instid1(VALU_DEP_4)
	v_mov_b32_e32 v33, v35
	v_add_co_u32 v4, vcc_lo, s8, v4
	v_add_co_ci_u32_e32 v5, vcc_lo, s9, v5, vcc_lo
	s_delay_alu instid0(VALU_DEP_4)
	v_mov_b32_e32 v34, v36
	v_dual_mov_b32 v40, v36 :: v_dual_mov_b32 v39, v35
	v_dual_mov_b32 v31, v35 :: v_dual_mov_b32 v32, v36
	;; [unrolled: 1-line block ×6, first 2 shown]
.LBB37_31:                              ; =>This Inner Loop Header: Depth=1
	global_load_b32 v14, v[4:5], off
	s_clause 0x3
	global_load_b128 v[6:9], v[29:30], off offset:48
	global_load_b128 v[10:13], v[29:30], off offset:32
	;; [unrolled: 1-line block ×3, first 2 shown]
	global_load_b128 v[51:54], v[29:30], off
	v_add_co_u32 v4, s0, v4, 64
	s_delay_alu instid0(VALU_DEP_1) | instskip(SKIP_2) | instid1(VALU_DEP_1)
	v_add_co_ci_u32_e64 v5, s0, 0, v5, s0
	s_waitcnt vmcnt(4)
	v_subrev_nc_u32_e32 v14, s12, v14
	v_lshlrev_b32_e32 v14, 2, v14
	s_delay_alu instid0(VALU_DEP_1) | instskip(NEXT) | instid1(VALU_DEP_1)
	v_ashrrev_i32_e32 v15, 31, v14
	v_lshlrev_b64 v[14:15], 4, v[14:15]
	s_waitcnt lgkmcnt(0)
	s_delay_alu instid0(VALU_DEP_1) | instskip(NEXT) | instid1(VALU_DEP_2)
	v_add_co_u32 v14, vcc_lo, s4, v14
	v_add_co_ci_u32_e32 v15, vcc_lo, s5, v15, vcc_lo
	s_clause 0x1
	global_load_b128 v[56:59], v[14:15], off
	global_load_b128 v[60:63], v[14:15], off offset:16
	s_clause 0x7
	global_load_b128 v[64:67], v[29:30], off offset:64
	global_load_b128 v[68:71], v[29:30], off offset:80
	;; [unrolled: 1-line block ×8, first 2 shown]
	s_clause 0x1
	global_load_b128 v[96:99], v[14:15], off offset:32
	global_load_b128 v[100:103], v[14:15], off offset:48
	s_clause 0x3
	global_load_b128 v[104:107], v[29:30], off offset:192
	global_load_b128 v[108:111], v[29:30], off offset:208
	;; [unrolled: 1-line block ×4, first 2 shown]
	v_add_co_u32 v29, vcc_lo, 0x1000, v29
	v_add_co_ci_u32_e32 v30, vcc_lo, 0, v30, vcc_lo
	v_add_co_u32 v2, vcc_lo, v2, -4
	v_add_co_ci_u32_e32 v3, vcc_lo, -1, v3, vcc_lo
	v_add_co_u32 v25, vcc_lo, v25, 16
	v_add_co_ci_u32_e32 v26, vcc_lo, 0, v26, vcc_lo
	s_delay_alu instid0(VALU_DEP_3)
	v_cmp_eq_u64_e32 vcc_lo, 0, v[2:3]
	s_or_b32 s7, vcc_lo, s7
	s_waitcnt vmcnt(15)
	v_fma_f64 v[14:15], v[51:52], v[56:57], v[39:40]
	v_fma_f64 v[35:36], v[53:54], v[56:57], v[35:36]
	;; [unrolled: 1-line block ×8, first 2 shown]
	v_fma_f64 v[14:15], -v[53:54], v[58:59], v[14:15]
	v_fma_f64 v[35:36], v[51:52], v[58:59], v[35:36]
	v_fma_f64 v[39:40], -v[49:50], v[58:59], v[39:40]
	v_fma_f64 v[37:38], v[47:48], v[58:59], v[37:38]
	;; [unrolled: 2-line block ×4, first 2 shown]
	s_waitcnt vmcnt(13)
	v_fma_f64 v[14:15], v[64:65], v[60:61], v[14:15]
	v_fma_f64 v[31:32], v[66:67], v[60:61], v[35:36]
	s_waitcnt vmcnt(12)
	v_fma_f64 v[33:34], v[68:69], v[60:61], v[39:40]
	v_fma_f64 v[35:36], v[70:71], v[60:61], v[37:38]
	;; [unrolled: 3-line block ×4, first 2 shown]
	v_fma_f64 v[14:15], -v[66:67], v[62:63], v[14:15]
	v_fma_f64 v[31:32], v[64:65], v[62:63], v[31:32]
	v_fma_f64 v[33:34], -v[70:71], v[62:63], v[33:34]
	v_fma_f64 v[35:36], v[68:69], v[62:63], v[35:36]
	;; [unrolled: 2-line block ×4, first 2 shown]
	s_waitcnt vmcnt(5)
	v_fma_f64 v[14:15], v[92:93], v[96:97], v[14:15]
	v_fma_f64 v[31:32], v[94:95], v[96:97], v[31:32]
	;; [unrolled: 1-line block ×8, first 2 shown]
	v_fma_f64 v[14:15], -v[94:95], v[98:99], v[14:15]
	v_fma_f64 v[31:32], v[92:93], v[98:99], v[31:32]
	v_fma_f64 v[33:34], -v[90:91], v[98:99], v[33:34]
	v_fma_f64 v[35:36], v[88:89], v[98:99], v[35:36]
	;; [unrolled: 2-line block ×4, first 2 shown]
	s_waitcnt vmcnt(3)
	v_fma_f64 v[14:15], v[104:105], v[100:101], v[14:15]
	v_fma_f64 v[31:32], v[106:107], v[100:101], v[31:32]
	s_waitcnt vmcnt(2)
	v_fma_f64 v[33:34], v[108:109], v[100:101], v[33:34]
	v_fma_f64 v[37:38], v[110:111], v[100:101], v[35:36]
	;; [unrolled: 3-line block ×4, first 2 shown]
	v_fma_f64 v[39:40], -v[106:107], v[102:103], v[14:15]
	v_fma_f64 v[35:36], v[104:105], v[102:103], v[31:32]
	v_fma_f64 v[45:46], -v[110:111], v[102:103], v[33:34]
	v_fma_f64 v[37:38], v[108:109], v[102:103], v[37:38]
	;; [unrolled: 2-line block ×4, first 2 shown]
	s_and_not1_b32 exec_lo, exec_lo, s7
	s_cbranch_execnz .LBB37_31
; %bb.32:
	s_or_b32 exec_lo, exec_lo, s7
.LBB37_33:
	s_delay_alu instid0(SALU_CYCLE_1) | instskip(NEXT) | instid1(SALU_CYCLE_1)
	s_or_b32 exec_lo, exec_lo, s6
	s_mov_b32 s6, exec_lo
	v_cmpx_lt_u64_e32 47, v[0:1]
	s_cbranch_execz .LBB37_37
; %bb.34:
	v_lshlrev_b64 v[0:1], 2, v[25:26]
	s_mov_b32 s7, 0
	s_delay_alu instid0(VALU_DEP_1) | instskip(NEXT) | instid1(VALU_DEP_2)
	v_add_co_u32 v0, vcc_lo, v0, s8
	v_add_co_ci_u32_e32 v1, vcc_lo, s9, v1, vcc_lo
	s_delay_alu instid0(VALU_DEP_2) | instskip(NEXT) | instid1(VALU_DEP_2)
	v_add_co_u32 v0, vcc_lo, 0x80, v0
	v_add_co_ci_u32_e32 v1, vcc_lo, 0, v1, vcc_lo
.LBB37_35:                              ; =>This Inner Loop Header: Depth=1
	s_clause 0x1
	global_load_b32 v2, v[0:1], off offset:-128
	global_load_b32 v132, v[0:1], off offset:-64
	s_clause 0x3
	global_load_b128 v[4:7], v[29:30], off offset:48
	global_load_b128 v[8:11], v[29:30], off offset:32
	;; [unrolled: 1-line block ×3, first 2 shown]
	global_load_b128 v[47:50], v[29:30], off
	s_clause 0x1
	global_load_b32 v3, v[0:1], off
	global_load_b32 v154, v[0:1], off offset:64
	s_waitcnt vmcnt(7)
	v_subrev_nc_u32_e32 v2, s12, v2
	s_delay_alu instid0(VALU_DEP_1) | instskip(SKIP_2) | instid1(VALU_DEP_2)
	v_lshlrev_b32_e32 v51, 2, v2
	s_waitcnt vmcnt(6)
	v_subrev_nc_u32_e32 v2, s12, v132
	v_ashrrev_i32_e32 v52, 31, v51
	s_delay_alu instid0(VALU_DEP_2) | instskip(SKIP_2) | instid1(VALU_DEP_3)
	v_lshlrev_b32_e32 v132, 2, v2
	s_waitcnt vmcnt(1)
	v_subrev_nc_u32_e32 v2, s12, v3
	v_lshlrev_b64 v[51:52], 4, v[51:52]
	s_delay_alu instid0(VALU_DEP_3) | instskip(NEXT) | instid1(VALU_DEP_3)
	v_ashrrev_i32_e32 v133, 31, v132
	v_lshlrev_b32_e32 v2, 2, v2
	s_delay_alu instid0(VALU_DEP_2) | instskip(SKIP_1) | instid1(VALU_DEP_4)
	v_lshlrev_b64 v[132:133], 4, v[132:133]
	s_waitcnt lgkmcnt(0)
	v_add_co_u32 v112, vcc_lo, s4, v51
	v_add_co_ci_u32_e32 v113, vcc_lo, s5, v52, vcc_lo
	v_add_co_u32 v136, vcc_lo, 0x1000, v29
	global_load_b128 v[51:54], v[112:113], off
	s_clause 0x3
	global_load_b128 v[56:59], v[29:30], off offset:112
	global_load_b128 v[60:63], v[29:30], off offset:96
	global_load_b128 v[64:67], v[29:30], off offset:80
	global_load_b128 v[68:71], v[29:30], off offset:64
	global_load_b128 v[72:75], v[112:113], off offset:16
	s_clause 0x3
	global_load_b128 v[76:79], v[29:30], off offset:176
	global_load_b128 v[80:83], v[29:30], off offset:160
	global_load_b128 v[84:87], v[29:30], off offset:144
	global_load_b128 v[88:91], v[29:30], off offset:128
	global_load_b128 v[92:95], v[112:113], off offset:32
	;; [unrolled: 6-line block ×3, first 2 shown]
	v_add_co_ci_u32_e32 v137, vcc_lo, 0, v30, vcc_lo
	v_add_co_u32 v138, vcc_lo, v29, 0x2000
	v_add_co_ci_u32_e32 v139, vcc_lo, 0, v30, vcc_lo
	v_add_co_u32 v140, vcc_lo, s4, v132
	v_add_co_ci_u32_e32 v141, vcc_lo, s5, v133, vcc_lo
	s_clause 0x3
	global_load_b128 v[116:119], v[136:137], off offset:32
	global_load_b128 v[120:123], v[136:137], off offset:16
	;; [unrolled: 1-line block ×3, first 2 shown]
	global_load_b128 v[128:131], v[138:139], off offset:-4096
	v_ashrrev_i32_e32 v3, 31, v2
	v_add_co_u32 v152, vcc_lo, 0x2000, v29
	global_load_b128 v[132:135], v[140:141], off
	v_add_co_ci_u32_e32 v153, vcc_lo, 0, v30, vcc_lo
	v_lshlrev_b64 v[2:3], 4, v[2:3]
	s_waitcnt vmcnt(20)
	v_fma_f64 v[39:40], v[47:48], v[51:52], v[39:40]
	v_fma_f64 v[35:36], v[49:50], v[51:52], v[35:36]
	v_fma_f64 v[45:46], v[12:13], v[51:52], v[45:46]
	v_fma_f64 v[37:38], v[14:15], v[51:52], v[37:38]
	v_fma_f64 v[41:42], v[8:9], v[51:52], v[41:42]
	v_fma_f64 v[43:44], v[10:11], v[51:52], v[43:44]
	v_fma_f64 v[33:34], v[4:5], v[51:52], v[33:34]
	v_fma_f64 v[31:32], v[6:7], v[51:52], v[31:32]
	v_fma_f64 v[39:40], -v[49:50], v[53:54], v[39:40]
	v_fma_f64 v[47:48], v[47:48], v[53:54], v[35:36]
	v_fma_f64 v[45:46], -v[14:15], v[53:54], v[45:46]
	v_fma_f64 v[49:50], v[12:13], v[53:54], v[37:38]
	v_fma_f64 v[41:42], -v[10:11], v[53:54], v[41:42]
	v_fma_f64 v[43:44], v[8:9], v[53:54], v[43:44]
	v_fma_f64 v[51:52], -v[6:7], v[53:54], v[33:34]
	v_fma_f64 v[53:54], v[4:5], v[53:54], v[31:32]
	s_clause 0x3
	global_load_b128 v[4:7], v[136:137], off offset:96
	global_load_b128 v[8:11], v[136:137], off offset:80
	global_load_b128 v[12:15], v[136:137], off offset:64
	global_load_b128 v[31:34], v[136:137], off offset:112
	global_load_b128 v[35:38], v[140:141], off offset:16
	s_waitcnt vmcnt(20)
	v_fma_f64 v[39:40], v[68:69], v[72:73], v[39:40]
	v_fma_f64 v[47:48], v[70:71], v[72:73], v[47:48]
	v_fma_f64 v[45:46], v[64:65], v[72:73], v[45:46]
	v_fma_f64 v[49:50], v[66:67], v[72:73], v[49:50]
	v_fma_f64 v[41:42], v[60:61], v[72:73], v[41:42]
	v_fma_f64 v[43:44], v[62:63], v[72:73], v[43:44]
	v_fma_f64 v[51:52], v[56:57], v[72:73], v[51:52]
	v_fma_f64 v[53:54], v[58:59], v[72:73], v[53:54]
	v_fma_f64 v[70:71], -v[70:71], v[74:75], v[39:40]
	v_fma_f64 v[68:69], v[68:69], v[74:75], v[47:48]
	v_fma_f64 v[66:67], -v[66:67], v[74:75], v[45:46]
	v_fma_f64 v[64:65], v[64:65], v[74:75], v[49:50]
	v_fma_f64 v[62:63], -v[62:63], v[74:75], v[41:42]
	v_fma_f64 v[60:61], v[60:61], v[74:75], v[43:44]
	v_fma_f64 v[72:73], -v[58:59], v[74:75], v[51:52]
	v_fma_f64 v[74:75], v[56:57], v[74:75], v[53:54]
	s_clause 0x3
	global_load_b128 v[39:42], v[136:137], off offset:160
	global_load_b128 v[43:46], v[136:137], off offset:144
	global_load_b128 v[47:50], v[136:137], off offset:128
	global_load_b128 v[51:54], v[136:137], off offset:176
	global_load_b128 v[56:59], v[140:141], off offset:32
	;; [unrolled: 23-line block ×3, first 2 shown]
	s_waitcnt vmcnt(20)
	v_fma_f64 v[136:137], v[108:109], v[112:113], v[90:91]
	v_fma_f64 v[140:141], v[110:111], v[112:113], v[88:89]
	;; [unrolled: 1-line block ×8, first 2 shown]
	s_clause 0x3
	global_load_b128 v[80:83], v[138:139], off
	global_load_b128 v[84:87], v[152:153], off offset:32
	global_load_b128 v[88:91], v[152:153], off offset:16
	;; [unrolled: 1-line block ×3, first 2 shown]
	v_add_co_u32 v138, vcc_lo, s4, v2
	v_add_co_ci_u32_e32 v139, vcc_lo, s5, v3, vcc_lo
	v_fma_f64 v[110:111], -v[110:111], v[114:115], v[136:137]
	v_fma_f64 v[108:109], v[108:109], v[114:115], v[140:141]
	v_fma_f64 v[106:107], -v[106:107], v[114:115], v[142:143]
	v_fma_f64 v[104:105], v[104:105], v[114:115], v[144:145]
	;; [unrolled: 2-line block ×4, first 2 shown]
	global_load_b128 v[96:99], v[138:139], off
	v_subrev_nc_u32_e32 v150, s12, v154
	v_add_co_u32 v148, vcc_lo, 0x3000, v29
	v_add_co_ci_u32_e32 v149, vcc_lo, 0, v30, vcc_lo
	s_delay_alu instid0(VALU_DEP_3) | instskip(SKIP_1) | instid1(VALU_DEP_1)
	v_lshlrev_b32_e32 v150, 2, v150
	v_add_co_u32 v29, s0, 0x4000, v29
	v_add_co_ci_u32_e64 v30, s0, 0, v30, s0
	s_delay_alu instid0(VALU_DEP_3)
	v_ashrrev_i32_e32 v151, 31, v150
	s_waitcnt vmcnt(20)
	v_fma_f64 v[2:3], v[128:129], v[132:133], v[110:111]
	v_fma_f64 v[108:109], v[130:131], v[132:133], v[108:109]
	v_fma_f64 v[106:107], v[120:121], v[132:133], v[106:107]
	v_fma_f64 v[104:105], v[122:123], v[132:133], v[104:105]
	v_fma_f64 v[102:103], v[116:117], v[132:133], v[102:103]
	v_fma_f64 v[100:101], v[118:119], v[132:133], v[100:101]
	v_fma_f64 v[110:111], v[124:125], v[132:133], v[136:137]
	v_fma_f64 v[112:113], v[126:127], v[132:133], v[112:113]
	v_fma_f64 v[2:3], -v[130:131], v[134:135], v[2:3]
	v_fma_f64 v[128:129], v[128:129], v[134:135], v[108:109]
	v_fma_f64 v[122:123], -v[122:123], v[134:135], v[106:107]
	v_fma_f64 v[120:121], v[120:121], v[134:135], v[104:105]
	v_fma_f64 v[130:131], -v[118:119], v[134:135], v[102:103]
	v_fma_f64 v[132:133], v[116:117], v[134:135], v[100:101]
	v_fma_f64 v[126:127], -v[126:127], v[134:135], v[110:111]
	v_fma_f64 v[124:125], v[124:125], v[134:135], v[112:113]
	s_clause 0x3
	global_load_b128 v[100:103], v[152:153], off offset:96
	global_load_b128 v[104:107], v[152:153], off offset:80
	global_load_b128 v[108:111], v[152:153], off offset:64
	global_load_b128 v[112:115], v[152:153], off offset:112
	global_load_b128 v[116:119], v[138:139], off offset:16
	s_waitcnt vmcnt(20)
	v_fma_f64 v[2:3], v[12:13], v[35:36], v[2:3]
	v_fma_f64 v[128:129], v[14:15], v[35:36], v[128:129]
	v_fma_f64 v[122:123], v[8:9], v[35:36], v[122:123]
	v_fma_f64 v[120:121], v[10:11], v[35:36], v[120:121]
	v_fma_f64 v[130:131], v[4:5], v[35:36], v[130:131]
	v_fma_f64 v[132:133], v[6:7], v[35:36], v[132:133]
	v_fma_f64 v[126:127], v[31:32], v[35:36], v[126:127]
	v_fma_f64 v[35:36], v[33:34], v[35:36], v[124:125]
	v_fma_f64 v[14:15], -v[14:15], v[37:38], v[2:3]
	v_fma_f64 v[124:125], v[12:13], v[37:38], v[128:129]
	v_fma_f64 v[122:123], -v[10:11], v[37:38], v[122:123]
	v_fma_f64 v[120:121], v[8:9], v[37:38], v[120:121]
	v_fma_f64 v[128:129], -v[6:7], v[37:38], v[130:131]
	v_fma_f64 v[130:131], v[4:5], v[37:38], v[132:133]
	v_fma_f64 v[126:127], -v[33:34], v[37:38], v[126:127]
	v_fma_f64 v[132:133], v[31:32], v[37:38], v[35:36]
	s_clause 0x3
	global_load_b128 v[2:5], v[152:153], off offset:160
	global_load_b128 v[6:9], v[152:153], off offset:144
	global_load_b128 v[10:13], v[152:153], off offset:128
	global_load_b128 v[31:34], v[152:153], off offset:176
	global_load_b128 v[35:38], v[138:139], off offset:32
	;; [unrolled: 23-line block ×3, first 2 shown]
	s_waitcnt vmcnt(20)
	v_fma_f64 v[14:15], v[72:73], v[76:77], v[14:15]
	v_fma_f64 v[136:137], v[74:75], v[76:77], v[124:125]
	;; [unrolled: 1-line block ×8, first 2 shown]
	s_clause 0x3
	global_load_b128 v[120:123], v[148:149], off offset:48
	global_load_b128 v[124:127], v[148:149], off offset:32
	global_load_b128 v[128:131], v[148:149], off
	global_load_b128 v[132:135], v[148:149], off offset:16
	v_fma_f64 v[14:15], -v[74:75], v[78:79], v[14:15]
	v_fma_f64 v[72:73], v[72:73], v[78:79], v[136:137]
	v_fma_f64 v[70:71], -v[70:71], v[78:79], v[138:139]
	v_fma_f64 v[68:69], v[68:69], v[78:79], v[140:141]
	;; [unrolled: 2-line block ×4, first 2 shown]
	v_lshlrev_b64 v[60:61], 4, v[150:151]
	s_delay_alu instid0(VALU_DEP_1) | instskip(NEXT) | instid1(VALU_DEP_2)
	v_add_co_u32 v140, vcc_lo, s4, v60
	v_add_co_ci_u32_e32 v141, vcc_lo, s5, v61, vcc_lo
	s_clause 0x1
	global_load_b128 v[60:63], v[140:141], off
	global_load_b128 v[64:67], v[140:141], off offset:16
	v_add_co_u32 v25, vcc_lo, v25, 64
	v_add_co_ci_u32_e32 v26, vcc_lo, 0, v26, vcc_lo
	v_add_co_u32 v0, vcc_lo, 0x100, v0
	v_add_co_ci_u32_e32 v1, vcc_lo, 0, v1, vcc_lo
	s_delay_alu instid0(VALU_DEP_3)
	v_cmp_ge_i64_e32 vcc_lo, v[25:26], v[27:28]
	s_or_b32 s7, vcc_lo, s7
	s_waitcnt vmcnt(21)
	v_fma_f64 v[14:15], v[80:81], v[96:97], v[14:15]
	v_fma_f64 v[72:73], v[82:83], v[96:97], v[72:73]
	;; [unrolled: 1-line block ×8, first 2 shown]
	v_fma_f64 v[14:15], -v[82:83], v[98:99], v[14:15]
	v_fma_f64 v[96:97], v[80:81], v[98:99], v[72:73]
	v_fma_f64 v[90:91], -v[90:91], v[98:99], v[70:71]
	v_fma_f64 v[88:89], v[88:89], v[98:99], v[68:69]
	;; [unrolled: 2-line block ×4, first 2 shown]
	s_clause 0x3
	global_load_b128 v[68:71], v[148:149], off offset:64
	global_load_b128 v[72:75], v[148:149], off offset:80
	;; [unrolled: 1-line block ×4, first 2 shown]
	s_waitcnt vmcnt(20)
	v_fma_f64 v[14:15], v[108:109], v[116:117], v[14:15]
	v_fma_f64 v[96:97], v[110:111], v[116:117], v[96:97]
	;; [unrolled: 1-line block ×8, first 2 shown]
	v_fma_f64 v[14:15], -v[110:111], v[118:119], v[14:15]
	v_fma_f64 v[108:109], v[108:109], v[118:119], v[96:97]
	v_fma_f64 v[110:111], -v[106:107], v[118:119], v[90:91]
	v_fma_f64 v[116:117], v[104:105], v[118:119], v[88:89]
	;; [unrolled: 2-line block ×4, first 2 shown]
	s_clause 0x3
	global_load_b128 v[84:87], v[148:149], off offset:176
	global_load_b128 v[88:91], v[148:149], off offset:160
	;; [unrolled: 1-line block ×4, first 2 shown]
	s_clause 0x1
	global_load_b128 v[100:103], v[140:141], off offset:32
	global_load_b128 v[104:107], v[140:141], off offset:48
	s_waitcnt vmcnt(21)
	v_fma_f64 v[14:15], v[10:11], v[35:36], v[14:15]
	v_fma_f64 v[108:109], v[12:13], v[35:36], v[108:109]
	;; [unrolled: 1-line block ×8, first 2 shown]
	v_fma_f64 v[14:15], -v[12:13], v[37:38], v[14:15]
	v_fma_f64 v[108:109], v[10:11], v[37:38], v[108:109]
	v_fma_f64 v[110:111], -v[8:9], v[37:38], v[110:111]
	v_fma_f64 v[112:113], v[6:7], v[37:38], v[116:117]
	;; [unrolled: 2-line block ×4, first 2 shown]
	s_clause 0x3
	global_load_b128 v[2:5], v[148:149], off offset:192
	global_load_b128 v[6:9], v[148:149], off offset:208
	;; [unrolled: 1-line block ×4, first 2 shown]
	s_waitcnt vmcnt(20)
	v_fma_f64 v[14:15], v[51:52], v[56:57], v[14:15]
	v_fma_f64 v[37:38], v[53:54], v[56:57], v[108:109]
	;; [unrolled: 1-line block ×8, first 2 shown]
	v_fma_f64 v[14:15], -v[53:54], v[58:59], v[14:15]
	v_fma_f64 v[37:38], v[51:52], v[58:59], v[37:38]
	v_fma_f64 v[49:50], -v[49:50], v[58:59], v[108:109]
	v_fma_f64 v[47:48], v[47:48], v[58:59], v[110:111]
	;; [unrolled: 2-line block ×4, first 2 shown]
	s_waitcnt vmcnt(15)
	v_fma_f64 v[14:15], v[128:129], v[60:61], v[14:15]
	v_fma_f64 v[37:38], v[130:131], v[60:61], v[37:38]
	;; [unrolled: 1-line block ×8, first 2 shown]
	v_fma_f64 v[14:15], -v[130:131], v[62:63], v[14:15]
	v_fma_f64 v[37:38], v[128:129], v[62:63], v[37:38]
	v_fma_f64 v[39:40], -v[134:135], v[62:63], v[39:40]
	v_fma_f64 v[47:48], v[132:133], v[62:63], v[47:48]
	;; [unrolled: 2-line block ×4, first 2 shown]
	s_waitcnt vmcnt(13)
	v_fma_f64 v[14:15], v[68:69], v[64:65], v[14:15]
	v_fma_f64 v[37:38], v[70:71], v[64:65], v[37:38]
	s_waitcnt vmcnt(12)
	v_fma_f64 v[39:40], v[72:73], v[64:65], v[39:40]
	v_fma_f64 v[47:48], v[74:75], v[64:65], v[47:48]
	;; [unrolled: 3-line block ×4, first 2 shown]
	v_fma_f64 v[14:15], -v[70:71], v[66:67], v[14:15]
	v_fma_f64 v[37:38], v[68:69], v[66:67], v[37:38]
	v_fma_f64 v[39:40], -v[74:75], v[66:67], v[39:40]
	v_fma_f64 v[47:48], v[72:73], v[66:67], v[47:48]
	;; [unrolled: 2-line block ×4, first 2 shown]
	s_waitcnt vmcnt(5)
	v_fma_f64 v[14:15], v[96:97], v[100:101], v[14:15]
	v_fma_f64 v[37:38], v[98:99], v[100:101], v[37:38]
	;; [unrolled: 1-line block ×8, first 2 shown]
	v_fma_f64 v[14:15], -v[98:99], v[102:103], v[14:15]
	v_fma_f64 v[37:38], v[96:97], v[102:103], v[37:38]
	v_fma_f64 v[39:40], -v[94:95], v[102:103], v[39:40]
	v_fma_f64 v[47:48], v[92:93], v[102:103], v[47:48]
	;; [unrolled: 2-line block ×4, first 2 shown]
	s_waitcnt vmcnt(3)
	v_fma_f64 v[14:15], v[2:3], v[104:105], v[14:15]
	v_fma_f64 v[37:38], v[4:5], v[104:105], v[37:38]
	s_waitcnt vmcnt(2)
	v_fma_f64 v[49:50], v[6:7], v[104:105], v[39:40]
	v_fma_f64 v[47:48], v[8:9], v[104:105], v[47:48]
	;; [unrolled: 3-line block ×4, first 2 shown]
	v_fma_f64 v[39:40], -v[4:5], v[106:107], v[14:15]
	v_fma_f64 v[35:36], v[2:3], v[106:107], v[37:38]
	v_fma_f64 v[45:46], -v[8:9], v[106:107], v[49:50]
	v_fma_f64 v[37:38], v[6:7], v[106:107], v[47:48]
	;; [unrolled: 2-line block ×4, first 2 shown]
	s_and_not1_b32 exec_lo, exec_lo, s7
	s_cbranch_execnz .LBB37_35
; %bb.36:
	s_or_b32 exec_lo, exec_lo, s7
.LBB37_37:
	s_delay_alu instid0(SALU_CYCLE_1)
	s_or_b32 exec_lo, exec_lo, s6
.LBB37_38:
	s_delay_alu instid0(SALU_CYCLE_1)
	s_or_b32 exec_lo, exec_lo, s1
.LBB37_39:
	v_mbcnt_lo_u32_b32 v47, -1, 0
	s_delay_alu instid0(VALU_DEP_1) | instskip(SKIP_1) | instid1(VALU_DEP_2)
	v_xor_b32_e32 v0, 8, v47
	v_xor_b32_e32 v25, 4, v47
	v_cmp_gt_i32_e32 vcc_lo, 32, v0
	v_cndmask_b32_e32 v0, v47, v0, vcc_lo
	s_delay_alu instid0(VALU_DEP_3) | instskip(NEXT) | instid1(VALU_DEP_2)
	v_cmp_gt_i32_e32 vcc_lo, 32, v25
	v_lshlrev_b32_e32 v15, 2, v0
	v_cndmask_b32_e32 v25, v47, v25, vcc_lo
	ds_bpermute_b32 v0, v15, v39
	ds_bpermute_b32 v1, v15, v40
	;; [unrolled: 1-line block ×16, first 2 shown]
	s_waitcnt lgkmcnt(0)
	v_add_f64 v[0:1], v[39:40], v[0:1]
	v_lshlrev_b32_e32 v40, 2, v25
	v_add_f64 v[2:3], v[35:36], v[2:3]
	v_add_f64 v[4:5], v[45:46], v[4:5]
	;; [unrolled: 1-line block ×7, first 2 shown]
	ds_bpermute_b32 v25, v40, v0
	ds_bpermute_b32 v26, v40, v1
	;; [unrolled: 1-line block ×16, first 2 shown]
	s_waitcnt lgkmcnt(14)
	v_add_f64 v[0:1], v[0:1], v[25:26]
	s_waitcnt lgkmcnt(12)
	v_add_f64 v[2:3], v[2:3], v[27:28]
	;; [unrolled: 2-line block ×8, first 2 shown]
	v_xor_b32_e32 v14, 2, v47
	s_delay_alu instid0(VALU_DEP_1) | instskip(SKIP_1) | instid1(VALU_DEP_1)
	v_cmp_gt_i32_e32 vcc_lo, 32, v14
	v_cndmask_b32_e32 v14, v47, v14, vcc_lo
	v_lshlrev_b32_e32 v40, 2, v14
	ds_bpermute_b32 v14, v40, v0
	ds_bpermute_b32 v15, v40, v1
	;; [unrolled: 1-line block ×16, first 2 shown]
	s_waitcnt lgkmcnt(14)
	v_add_f64 v[0:1], v[0:1], v[14:15]
	s_waitcnt lgkmcnt(12)
	v_add_f64 v[27:28], v[2:3], v[27:28]
	;; [unrolled: 2-line block ×7, first 2 shown]
	v_xor_b32_e32 v12, 1, v47
	s_waitcnt lgkmcnt(0)
	v_add_f64 v[8:9], v[25:26], v[39:40]
	s_delay_alu instid0(VALU_DEP_2) | instskip(SKIP_2) | instid1(VALU_DEP_2)
	v_cmp_gt_i32_e32 vcc_lo, 32, v12
	v_cndmask_b32_e32 v12, v47, v12, vcc_lo
	v_cmp_eq_u32_e32 vcc_lo, 15, v55
	v_lshlrev_b32_e32 v34, 2, v12
	ds_bpermute_b32 v12, v34, v0
	ds_bpermute_b32 v13, v34, v1
	;; [unrolled: 1-line block ×16, first 2 shown]
	s_and_b32 exec_lo, exec_lo, vcc_lo
	s_cbranch_execz .LBB37_12
; %bb.40:
	s_waitcnt lgkmcnt(12)
	v_add_f64 v[27:28], v[27:28], v[39:40]
	s_waitcnt lgkmcnt(8)
	v_add_f64 v[14:15], v[14:15], v[37:38]
	s_waitcnt lgkmcnt(4)
	v_add_f64 v[10:11], v[10:11], v[35:36]
	s_waitcnt lgkmcnt(0)
	v_add_f64 v[8:9], v[8:9], v[33:34]
	v_add_f64 v[0:1], v[0:1], v[12:13]
	v_add_f64 v[2:3], v[2:3], v[25:26]
	;; [unrolled: 1-line block ×4, first 2 shown]
	v_cmp_eq_f64_e32 vcc_lo, 0, v[16:17]
	v_cmp_eq_f64_e64 s0, 0, v[18:19]
	s_load_b64 s[2:3], s[2:3], 0x60
	v_mul_f64 v[4:5], v[27:28], -v[22:23]
	v_mul_f64 v[6:7], v[20:21], v[27:28]
	v_mul_f64 v[27:28], v[14:15], -v[22:23]
	v_mul_f64 v[31:32], v[20:21], v[14:15]
	;; [unrolled: 2-line block ×4, first 2 shown]
	s_and_b32 s0, vcc_lo, s0
	v_fma_f64 v[12:13], v[20:21], v[0:1], v[4:5]
	v_fma_f64 v[14:15], v[22:23], v[0:1], v[6:7]
	;; [unrolled: 1-line block ×8, first 2 shown]
	v_lshlrev_b32_e32 v20, 2, v24
	s_and_saveexec_b32 s1, s0
	s_delay_alu instid0(SALU_CYCLE_1)
	s_xor_b32 s0, exec_lo, s1
	s_cbranch_execz .LBB37_42
; %bb.41:
	s_delay_alu instid0(VALU_DEP_1) | instskip(NEXT) | instid1(VALU_DEP_1)
	v_ashrrev_i32_e32 v21, 31, v20
                                        ; implicit-def: $vgpr18_vgpr19
	v_lshlrev_b64 v[16:17], 4, v[20:21]
                                        ; implicit-def: $vgpr20
	s_waitcnt lgkmcnt(0)
	s_delay_alu instid0(VALU_DEP_1) | instskip(NEXT) | instid1(VALU_DEP_2)
	v_add_co_u32 v16, vcc_lo, s2, v16
	v_add_co_ci_u32_e32 v17, vcc_lo, s3, v17, vcc_lo
	s_clause 0x3
	global_store_b128 v[16:17], v[12:15], off
	global_store_b128 v[16:17], v[8:11], off offset:16
	global_store_b128 v[16:17], v[4:7], off offset:32
	;; [unrolled: 1-line block ×3, first 2 shown]
                                        ; implicit-def: $vgpr16_vgpr17
                                        ; implicit-def: $vgpr12_vgpr13
                                        ; implicit-def: $vgpr8_vgpr9
                                        ; implicit-def: $vgpr4_vgpr5
                                        ; implicit-def: $vgpr0_vgpr1
.LBB37_42:
	s_and_not1_saveexec_b32 s0, s0
	s_cbranch_execz .LBB37_12
; %bb.43:
	v_ashrrev_i32_e32 v21, 31, v20
	s_delay_alu instid0(VALU_DEP_1) | instskip(SKIP_1) | instid1(VALU_DEP_1)
	v_lshlrev_b64 v[20:21], 4, v[20:21]
	s_waitcnt lgkmcnt(0)
	v_add_co_u32 v36, vcc_lo, s2, v20
	s_delay_alu instid0(VALU_DEP_2)
	v_add_co_ci_u32_e32 v37, vcc_lo, s3, v21, vcc_lo
	s_clause 0x3
	global_load_b128 v[20:23], v[36:37], off
	global_load_b128 v[24:27], v[36:37], off offset:16
	global_load_b128 v[28:31], v[36:37], off offset:32
	;; [unrolled: 1-line block ×3, first 2 shown]
	s_waitcnt vmcnt(3)
	v_fma_f64 v[12:13], v[16:17], v[20:21], v[12:13]
	v_fma_f64 v[14:15], v[18:19], v[20:21], v[14:15]
	s_waitcnt vmcnt(2)
	v_fma_f64 v[8:9], v[16:17], v[24:25], v[8:9]
	v_fma_f64 v[10:11], v[18:19], v[24:25], v[10:11]
	;; [unrolled: 3-line block ×4, first 2 shown]
	v_fma_f64 v[0:1], -v[18:19], v[22:23], v[12:13]
	v_fma_f64 v[2:3], v[16:17], v[22:23], v[14:15]
	v_fma_f64 v[4:5], -v[18:19], v[26:27], v[8:9]
	v_fma_f64 v[6:7], v[16:17], v[26:27], v[10:11]
	;; [unrolled: 2-line block ×4, first 2 shown]
	s_clause 0x3
	global_store_b128 v[36:37], v[0:3], off
	global_store_b128 v[36:37], v[4:7], off offset:16
	global_store_b128 v[36:37], v[8:11], off offset:32
	;; [unrolled: 1-line block ×3, first 2 shown]
	s_nop 0
	s_sendmsg sendmsg(MSG_DEALLOC_VGPRS)
	s_endpgm
	.section	.rodata,"a",@progbits
	.p2align	6, 0x0
	.amdhsa_kernel _ZN9rocsparseL18bsrxmvn_4x4_kernelILj128ELj16E21rocsparse_complex_numIdEliS2_S2_S2_EEvT3_20rocsparse_direction_NS_24const_host_device_scalarIT1_EES3_PKS3_PKT2_SC_S9_PKT4_PKT5_S7_PT6_21rocsparse_index_base_b
		.amdhsa_group_segment_fixed_size 2048
		.amdhsa_private_segment_fixed_size 0
		.amdhsa_kernarg_size 112
		.amdhsa_user_sgpr_count 15
		.amdhsa_user_sgpr_dispatch_ptr 1
		.amdhsa_user_sgpr_queue_ptr 0
		.amdhsa_user_sgpr_kernarg_segment_ptr 1
		.amdhsa_user_sgpr_dispatch_id 0
		.amdhsa_user_sgpr_private_segment_size 0
		.amdhsa_wavefront_size32 1
		.amdhsa_uses_dynamic_stack 0
		.amdhsa_enable_private_segment 0
		.amdhsa_system_sgpr_workgroup_id_x 1
		.amdhsa_system_sgpr_workgroup_id_y 0
		.amdhsa_system_sgpr_workgroup_id_z 0
		.amdhsa_system_sgpr_workgroup_info 0
		.amdhsa_system_vgpr_workitem_id 2
		.amdhsa_next_free_vgpr 160
		.amdhsa_next_free_sgpr 18
		.amdhsa_reserve_vcc 1
		.amdhsa_float_round_mode_32 0
		.amdhsa_float_round_mode_16_64 0
		.amdhsa_float_denorm_mode_32 3
		.amdhsa_float_denorm_mode_16_64 3
		.amdhsa_dx10_clamp 1
		.amdhsa_ieee_mode 1
		.amdhsa_fp16_overflow 0
		.amdhsa_workgroup_processor_mode 1
		.amdhsa_memory_ordered 1
		.amdhsa_forward_progress 0
		.amdhsa_shared_vgpr_count 0
		.amdhsa_exception_fp_ieee_invalid_op 0
		.amdhsa_exception_fp_denorm_src 0
		.amdhsa_exception_fp_ieee_div_zero 0
		.amdhsa_exception_fp_ieee_overflow 0
		.amdhsa_exception_fp_ieee_underflow 0
		.amdhsa_exception_fp_ieee_inexact 0
		.amdhsa_exception_int_div_zero 0
	.end_amdhsa_kernel
	.section	.text._ZN9rocsparseL18bsrxmvn_4x4_kernelILj128ELj16E21rocsparse_complex_numIdEliS2_S2_S2_EEvT3_20rocsparse_direction_NS_24const_host_device_scalarIT1_EES3_PKS3_PKT2_SC_S9_PKT4_PKT5_S7_PT6_21rocsparse_index_base_b,"axG",@progbits,_ZN9rocsparseL18bsrxmvn_4x4_kernelILj128ELj16E21rocsparse_complex_numIdEliS2_S2_S2_EEvT3_20rocsparse_direction_NS_24const_host_device_scalarIT1_EES3_PKS3_PKT2_SC_S9_PKT4_PKT5_S7_PT6_21rocsparse_index_base_b,comdat
.Lfunc_end37:
	.size	_ZN9rocsparseL18bsrxmvn_4x4_kernelILj128ELj16E21rocsparse_complex_numIdEliS2_S2_S2_EEvT3_20rocsparse_direction_NS_24const_host_device_scalarIT1_EES3_PKS3_PKT2_SC_S9_PKT4_PKT5_S7_PT6_21rocsparse_index_base_b, .Lfunc_end37-_ZN9rocsparseL18bsrxmvn_4x4_kernelILj128ELj16E21rocsparse_complex_numIdEliS2_S2_S2_EEvT3_20rocsparse_direction_NS_24const_host_device_scalarIT1_EES3_PKS3_PKT2_SC_S9_PKT4_PKT5_S7_PT6_21rocsparse_index_base_b
                                        ; -- End function
	.section	.AMDGPU.csdata,"",@progbits
; Kernel info:
; codeLenInByte = 11276
; NumSgprs: 20
; NumVgprs: 160
; ScratchSize: 0
; MemoryBound: 1
; FloatMode: 240
; IeeeMode: 1
; LDSByteSize: 2048 bytes/workgroup (compile time only)
; SGPRBlocks: 2
; VGPRBlocks: 19
; NumSGPRsForWavesPerEU: 20
; NumVGPRsForWavesPerEU: 160
; Occupancy: 9
; WaveLimiterHint : 1
; COMPUTE_PGM_RSRC2:SCRATCH_EN: 0
; COMPUTE_PGM_RSRC2:USER_SGPR: 15
; COMPUTE_PGM_RSRC2:TRAP_HANDLER: 0
; COMPUTE_PGM_RSRC2:TGID_X_EN: 1
; COMPUTE_PGM_RSRC2:TGID_Y_EN: 0
; COMPUTE_PGM_RSRC2:TGID_Z_EN: 0
; COMPUTE_PGM_RSRC2:TIDIG_COMP_CNT: 2
	.section	.text._ZN9rocsparseL18bsrxmvn_4x4_kernelILj128ELj32E21rocsparse_complex_numIdEliS2_S2_S2_EEvT3_20rocsparse_direction_NS_24const_host_device_scalarIT1_EES3_PKS3_PKT2_SC_S9_PKT4_PKT5_S7_PT6_21rocsparse_index_base_b,"axG",@progbits,_ZN9rocsparseL18bsrxmvn_4x4_kernelILj128ELj32E21rocsparse_complex_numIdEliS2_S2_S2_EEvT3_20rocsparse_direction_NS_24const_host_device_scalarIT1_EES3_PKS3_PKT2_SC_S9_PKT4_PKT5_S7_PT6_21rocsparse_index_base_b,comdat
	.globl	_ZN9rocsparseL18bsrxmvn_4x4_kernelILj128ELj32E21rocsparse_complex_numIdEliS2_S2_S2_EEvT3_20rocsparse_direction_NS_24const_host_device_scalarIT1_EES3_PKS3_PKT2_SC_S9_PKT4_PKT5_S7_PT6_21rocsparse_index_base_b ; -- Begin function _ZN9rocsparseL18bsrxmvn_4x4_kernelILj128ELj32E21rocsparse_complex_numIdEliS2_S2_S2_EEvT3_20rocsparse_direction_NS_24const_host_device_scalarIT1_EES3_PKS3_PKT2_SC_S9_PKT4_PKT5_S7_PT6_21rocsparse_index_base_b
	.p2align	8
	.type	_ZN9rocsparseL18bsrxmvn_4x4_kernelILj128ELj32E21rocsparse_complex_numIdEliS2_S2_S2_EEvT3_20rocsparse_direction_NS_24const_host_device_scalarIT1_EES3_PKS3_PKT2_SC_S9_PKT4_PKT5_S7_PT6_21rocsparse_index_base_b,@function
_ZN9rocsparseL18bsrxmvn_4x4_kernelILj128ELj32E21rocsparse_complex_numIdEliS2_S2_S2_EEvT3_20rocsparse_direction_NS_24const_host_device_scalarIT1_EES3_PKS3_PKT2_SC_S9_PKT4_PKT5_S7_PT6_21rocsparse_index_base_b: ; @_ZN9rocsparseL18bsrxmvn_4x4_kernelILj128ELj32E21rocsparse_complex_numIdEliS2_S2_S2_EEvT3_20rocsparse_direction_NS_24const_host_device_scalarIT1_EES3_PKS3_PKT2_SC_S9_PKT4_PKT5_S7_PT6_21rocsparse_index_base_b
; %bb.0:
	s_load_b64 s[12:13], s[2:3], 0x68
	s_load_b64 s[16:17], s[0:1], 0x4
	s_load_b128 s[8:11], s[2:3], 0x8
	v_bfe_u32 v2, v0, 10, 10
	s_mov_b64 s[0:1], src_shared_base
	s_load_b128 s[4:7], s[2:3], 0x50
	v_and_b32_e32 v1, 0x3ff, v0
	v_bfe_u32 v0, v0, 20, 10
	s_waitcnt lgkmcnt(0)
	s_bitcmp1_b32 s13, 0
	v_mul_u32_u24_e32 v2, s17, v2
	s_cselect_b32 s0, -1, 0
	v_mov_b32_e32 v23, s11
	s_and_b32 vcc_lo, s0, exec_lo
	s_cselect_b32 s13, s1, s9
	s_lshr_b32 s14, s16, 16
	v_dual_mov_b32 v4, s4 :: v_dual_mov_b32 v5, s5
	s_mul_i32 s14, s14, s17
	v_dual_mov_b32 v7, s13 :: v_dual_mov_b32 v22, s10
	v_mad_u32_u24 v2, s14, v1, v2
	s_xor_b32 s10, s0, -1
	s_delay_alu instid0(VALU_DEP_1) | instskip(SKIP_1) | instid1(VALU_DEP_2)
	v_add_lshl_u32 v0, v2, v0, 3
	v_dual_mov_b32 v2, s8 :: v_dual_mov_b32 v3, s9
	v_add_nc_u32_e32 v6, 0x400, v0
	ds_store_2addr_stride64_b64 v0, v[4:5], v[2:3] offset1:2
	v_cndmask_b32_e64 v6, s8, v6, s0
	flat_load_b64 v[20:21], v[6:7]
	s_cbranch_vccnz .LBB38_2
; %bb.1:
	v_dual_mov_b32 v2, s8 :: v_dual_mov_b32 v3, s9
	flat_load_b64 v[22:23], v[2:3] offset:8
.LBB38_2:
	s_and_b32 s8, s0, exec_lo
	s_cselect_b32 s1, s1, s5
	v_cndmask_b32_e64 v2, s4, v0, s0
	v_mov_b32_e32 v3, s1
	v_dual_mov_b32 v19, s7 :: v_dual_mov_b32 v18, s6
	s_and_not1_b32 vcc_lo, exec_lo, s10
	flat_load_b64 v[16:17], v[2:3]
	s_cbranch_vccnz .LBB38_4
; %bb.3:
	v_dual_mov_b32 v2, s4 :: v_dual_mov_b32 v3, s5
	flat_load_b64 v[18:19], v[2:3] offset:8
.LBB38_4:
	s_waitcnt vmcnt(1) lgkmcnt(1)
	v_cmp_eq_f64_e32 vcc_lo, 0, v[20:21]
	v_cmp_eq_f64_e64 s0, 0, v[22:23]
	s_delay_alu instid0(VALU_DEP_1)
	s_and_b32 s4, vcc_lo, s0
	s_mov_b32 s0, -1
	s_and_saveexec_b32 s1, s4
	s_cbranch_execz .LBB38_6
; %bb.5:
	s_waitcnt vmcnt(0) lgkmcnt(0)
	v_cmp_neq_f64_e32 vcc_lo, 1.0, v[16:17]
	v_cmp_neq_f64_e64 s0, 0, v[18:19]
	s_delay_alu instid0(VALU_DEP_1) | instskip(NEXT) | instid1(SALU_CYCLE_1)
	s_or_b32 s0, vcc_lo, s0
	s_or_not1_b32 s0, s0, exec_lo
.LBB38_6:
	s_or_b32 exec_lo, exec_lo, s1
	s_and_saveexec_b32 s1, s0
	s_cbranch_execz .LBB38_12
; %bb.7:
	s_clause 0x1
	s_load_b64 s[4:5], s[2:3], 0x20
	s_load_b64 s[0:1], s[2:3], 0x0
	v_lshrrev_b32_e32 v0, 5, v1
	s_delay_alu instid0(VALU_DEP_1)
	v_lshl_or_b32 v24, s15, 2, v0
	s_waitcnt lgkmcnt(0)
	s_cmp_lg_u64 s[4:5], 0
	s_cbranch_scc0 .LBB38_13
; %bb.8:
	s_load_b32 s6, s[2:3], 0x18
	s_mov_b32 s7, 0
                                        ; implicit-def: $vgpr0
	s_waitcnt lgkmcnt(0)
	v_cmp_gt_i32_e32 vcc_lo, s6, v24
	s_mov_b32 s6, 0
	s_and_saveexec_b32 s8, vcc_lo
	s_delay_alu instid0(SALU_CYCLE_1)
	s_xor_b32 s8, exec_lo, s8
	s_cbranch_execz .LBB38_10
; %bb.9:
	v_ashrrev_i32_e32 v25, 31, v24
	s_mov_b32 s6, exec_lo
	s_delay_alu instid0(VALU_DEP_1) | instskip(NEXT) | instid1(VALU_DEP_1)
	v_lshlrev_b64 v[2:3], 2, v[24:25]
	v_add_co_u32 v2, vcc_lo, s4, v2
	s_delay_alu instid0(VALU_DEP_2)
	v_add_co_ci_u32_e32 v3, vcc_lo, s5, v3, vcc_lo
	global_load_b32 v0, v[2:3], off
	s_waitcnt vmcnt(0)
	v_subrev_nc_u32_e32 v0, s12, v0
.LBB38_10:
	s_or_b32 exec_lo, exec_lo, s8
	s_delay_alu instid0(SALU_CYCLE_1)
	s_and_b32 vcc_lo, exec_lo, s7
	s_cbranch_vccz .LBB38_14
.LBB38_11:
	v_cmp_gt_i32_e32 vcc_lo, s0, v24
	s_and_not1_b32 s0, s6, exec_lo
	s_and_b32 s4, vcc_lo, exec_lo
	s_delay_alu instid0(SALU_CYCLE_1) | instskip(NEXT) | instid1(SALU_CYCLE_1)
	s_or_b32 s6, s0, s4
	s_and_b32 exec_lo, exec_lo, s6
	s_cbranch_execnz .LBB38_15
.LBB38_12:
	s_nop 0
	s_sendmsg sendmsg(MSG_DEALLOC_VGPRS)
	s_endpgm
.LBB38_13:
	s_mov_b32 s6, 0
                                        ; implicit-def: $vgpr0
	s_cbranch_execnz .LBB38_11
.LBB38_14:
	s_delay_alu instid0(VALU_DEP_1)
	v_mov_b32_e32 v24, v0
	s_and_b32 exec_lo, exec_lo, s6
	s_cbranch_execz .LBB38_12
.LBB38_15:
	s_load_b256 s[4:11], s[2:3], 0x28
	s_delay_alu instid0(VALU_DEP_1) | instskip(SKIP_1) | instid1(VALU_DEP_2)
	v_ashrrev_i32_e32 v25, 31, v24
	v_and_b32_e32 v55, 31, v1
	v_lshlrev_b64 v[2:3], 3, v[24:25]
	s_waitcnt lgkmcnt(0)
	s_delay_alu instid0(VALU_DEP_1) | instskip(NEXT) | instid1(VALU_DEP_2)
	v_add_co_u32 v4, vcc_lo, s4, v2
	v_add_co_ci_u32_e32 v5, vcc_lo, s5, v3, vcc_lo
	v_add_co_u32 v0, vcc_lo, s6, v2
	v_add_co_ci_u32_e32 v2, vcc_lo, s7, v3, vcc_lo
	s_delay_alu instid0(VALU_DEP_4)
	v_add_co_u32 v6, vcc_lo, v4, 8
	global_load_b64 v[47:48], v[4:5], off
	v_add_co_ci_u32_e32 v3, vcc_lo, 0, v5, vcc_lo
	s_cmp_eq_u64 s[6:7], 0
	s_load_b64 s[4:5], s[2:3], 0x48
	s_cselect_b32 vcc_lo, -1, 0
	s_cmp_eq_u32 s1, 1
	v_dual_cndmask_b32 v3, v2, v3 :: v_dual_cndmask_b32 v2, v0, v6
	global_load_b64 v[2:3], v[2:3], off
	s_waitcnt vmcnt(1)
	v_sub_co_u32 v0, vcc_lo, v47, s12
	v_subrev_co_ci_u32_e32 v1, vcc_lo, 0, v48, vcc_lo
	s_delay_alu instid0(VALU_DEP_2) | instskip(NEXT) | instid1(VALU_DEP_2)
	v_add_co_u32 v25, vcc_lo, v0, v55
	v_add_co_ci_u32_e32 v26, vcc_lo, 0, v1, vcc_lo
	s_delay_alu instid0(VALU_DEP_1) | instskip(SKIP_3) | instid1(VALU_DEP_3)
	v_lshlrev_b64 v[0:1], 8, v[25:26]
	s_waitcnt vmcnt(0)
	v_sub_co_u32 v27, vcc_lo, v2, s12
	v_subrev_co_ci_u32_e32 v28, vcc_lo, 0, v3, vcc_lo
	v_add_co_u32 v29, vcc_lo, s10, v0
	s_delay_alu instid0(VALU_DEP_2)
	v_cmp_lt_i64_e64 s0, v[25:26], v[27:28]
	v_add_co_ci_u32_e32 v30, vcc_lo, s11, v1, vcc_lo
	s_cbranch_scc1 .LBB38_27
; %bb.16:
	v_mov_b32_e32 v35, 0
	v_mov_b32_e32 v36, 0
	s_delay_alu instid0(VALU_DEP_2) | instskip(NEXT) | instid1(VALU_DEP_2)
	v_mov_b32_e32 v33, v35
	v_dual_mov_b32 v31, v35 :: v_dual_mov_b32 v32, v36
	v_dual_mov_b32 v40, v36 :: v_dual_mov_b32 v39, v35
	v_mov_b32_e32 v34, v36
	v_dual_mov_b32 v42, v36 :: v_dual_mov_b32 v41, v35
	v_dual_mov_b32 v44, v36 :: v_dual_mov_b32 v43, v35
	;; [unrolled: 1-line block ×4, first 2 shown]
	s_and_saveexec_b32 s6, s0
	s_cbranch_execz .LBB38_26
; %bb.17:
	v_or_b32_e32 v0, 32, v55
	v_not_b32_e32 v3, v47
	v_not_b32_e32 v2, v48
	v_mov_b32_e32 v52, v26
	s_mov_b32 s10, 0
	v_sub_co_u32 v0, s1, v0, s12
	s_delay_alu instid0(VALU_DEP_1) | instskip(SKIP_1) | instid1(VALU_DEP_3)
	v_sub_co_ci_u32_e64 v1, null, 0, 0, s1
	v_sub_co_u32 v4, s1, s12, v55
	v_add_co_u32 v0, vcc_lo, v0, v47
	s_delay_alu instid0(VALU_DEP_3) | instskip(SKIP_2) | instid1(VALU_DEP_2)
	v_add_co_ci_u32_e32 v1, vcc_lo, v1, v48, vcc_lo
	v_sub_co_ci_u32_e64 v5, null, 0, 0, s1
	s_mov_b32 s7, exec_lo
	v_cmp_gt_i64_e32 vcc_lo, v[0:1], v[27:28]
	v_mov_b32_e32 v51, v25
	v_dual_cndmask_b32 v1, v28, v1 :: v_dual_cndmask_b32 v0, v27, v0
	v_add_co_u32 v3, vcc_lo, v4, v3
	v_add_co_ci_u32_e32 v2, vcc_lo, v5, v2, vcc_lo
	s_delay_alu instid0(VALU_DEP_2) | instskip(NEXT) | instid1(VALU_DEP_2)
	v_add_co_u32 v0, vcc_lo, v3, v0
	v_add_co_ci_u32_e32 v1, vcc_lo, v2, v1, vcc_lo
	s_delay_alu instid0(VALU_DEP_2) | instskip(SKIP_3) | instid1(VALU_DEP_3)
	v_lshrrev_b32_e32 v2, 5, v0
	v_mov_b32_e32 v37, 0
	v_mov_b32_e32 v38, 0
	v_dual_mov_b32 v50, v30 :: v_dual_mov_b32 v49, v29
	v_dual_mov_b32 v31, v37 :: v_dual_add_nc_u32 v2, 1, v2
	s_delay_alu instid0(VALU_DEP_3) | instskip(SKIP_1) | instid1(VALU_DEP_3)
	v_dual_mov_b32 v33, v37 :: v_dual_mov_b32 v46, v38
	v_mov_b32_e32 v44, v38
	v_and_b32_e32 v2, 3, v2
	v_mov_b32_e32 v42, v38
	v_dual_mov_b32 v34, v38 :: v_dual_mov_b32 v35, v37
	v_dual_mov_b32 v40, v38 :: v_dual_mov_b32 v45, v37
	v_mov_b32_e32 v43, v37
	v_dual_mov_b32 v41, v37 :: v_dual_mov_b32 v32, v38
	v_dual_mov_b32 v39, v37 :: v_dual_mov_b32 v36, v38
	v_cmpx_ne_u32_e32 0, v2
	s_cbranch_execz .LBB38_21
; %bb.18:
	v_lshlrev_b64 v[4:5], 2, v[25:26]
	v_dual_mov_b32 v35, 0 :: v_dual_lshlrev_b32 v2, 2, v2
	v_dual_mov_b32 v3, 0 :: v_dual_mov_b32 v36, 0
	v_dual_mov_b32 v52, v26 :: v_dual_mov_b32 v51, v25
	s_delay_alu instid0(VALU_DEP_4)
	v_add_co_u32 v4, vcc_lo, s8, v4
	v_add_co_ci_u32_e32 v5, vcc_lo, s9, v5, vcc_lo
	v_dual_mov_b32 v50, v30 :: v_dual_mov_b32 v49, v29
	v_dual_mov_b32 v40, v36 :: v_dual_mov_b32 v39, v35
	;; [unrolled: 1-line block ×8, first 2 shown]
.LBB38_19:                              ; =>This Inner Loop Header: Depth=1
	global_load_b32 v14, v[4:5], off
	s_clause 0x7
	global_load_b128 v[6:9], v[49:50], off offset:16
	global_load_b128 v[10:13], v[49:50], off
	global_load_b128 v[56:59], v[49:50], off offset:80
	global_load_b128 v[60:63], v[49:50], off offset:64
	;; [unrolled: 1-line block ×6, first 2 shown]
	v_add_co_u32 v4, s1, 0x80, v4
	s_delay_alu instid0(VALU_DEP_1) | instskip(SKIP_2) | instid1(VALU_DEP_1)
	v_add_co_ci_u32_e64 v5, s1, 0, v5, s1
	s_waitcnt vmcnt(8)
	v_subrev_nc_u32_e32 v14, s12, v14
	v_lshlrev_b32_e32 v14, 2, v14
	s_delay_alu instid0(VALU_DEP_1) | instskip(NEXT) | instid1(VALU_DEP_1)
	v_ashrrev_i32_e32 v15, 31, v14
	v_lshlrev_b64 v[14:15], 4, v[14:15]
	s_waitcnt lgkmcnt(0)
	s_delay_alu instid0(VALU_DEP_1) | instskip(NEXT) | instid1(VALU_DEP_2)
	v_add_co_u32 v14, vcc_lo, s4, v14
	v_add_co_ci_u32_e32 v15, vcc_lo, s5, v15, vcc_lo
	s_clause 0x1
	global_load_b128 v[80:83], v[14:15], off
	global_load_b128 v[84:87], v[14:15], off offset:16
	s_clause 0x7
	global_load_b128 v[88:91], v[49:50], off offset:48
	global_load_b128 v[92:95], v[49:50], off offset:32
	;; [unrolled: 1-line block ×8, first 2 shown]
	s_clause 0x1
	global_load_b128 v[120:123], v[14:15], off offset:32
	global_load_b128 v[124:127], v[14:15], off offset:48
	v_add_co_u32 v49, vcc_lo, 0x2000, v49
	v_add_co_ci_u32_e32 v50, vcc_lo, 0, v50, vcc_lo
	v_add_co_u32 v2, vcc_lo, v2, -4
	v_add_co_ci_u32_e32 v3, vcc_lo, -1, v3, vcc_lo
	v_add_co_u32 v51, vcc_lo, v51, 32
	v_add_co_ci_u32_e32 v52, vcc_lo, 0, v52, vcc_lo
	s_delay_alu instid0(VALU_DEP_3)
	v_cmp_eq_u64_e32 vcc_lo, 0, v[2:3]
	s_or_b32 s10, vcc_lo, s10
	s_waitcnt vmcnt(11)
	v_fma_f64 v[14:15], v[10:11], v[80:81], v[39:40]
	v_fma_f64 v[35:36], v[12:13], v[80:81], v[35:36]
	v_fma_f64 v[39:40], v[60:61], v[80:81], v[45:46]
	v_fma_f64 v[37:38], v[62:63], v[80:81], v[37:38]
	v_fma_f64 v[41:42], v[68:69], v[80:81], v[41:42]
	v_fma_f64 v[43:44], v[70:71], v[80:81], v[43:44]
	v_fma_f64 v[33:34], v[76:77], v[80:81], v[33:34]
	v_fma_f64 v[31:32], v[78:79], v[80:81], v[31:32]
	v_fma_f64 v[12:13], -v[12:13], v[82:83], v[14:15]
	v_fma_f64 v[10:11], v[10:11], v[82:83], v[35:36]
	v_fma_f64 v[14:15], -v[62:63], v[82:83], v[39:40]
	v_fma_f64 v[35:36], v[60:61], v[82:83], v[37:38]
	v_fma_f64 v[37:38], -v[70:71], v[82:83], v[41:42]
	v_fma_f64 v[39:40], v[68:69], v[82:83], v[43:44]
	v_fma_f64 v[33:34], -v[78:79], v[82:83], v[33:34]
	v_fma_f64 v[31:32], v[76:77], v[82:83], v[31:32]
	s_waitcnt vmcnt(10)
	v_fma_f64 v[12:13], v[6:7], v[84:85], v[12:13]
	v_fma_f64 v[10:11], v[8:9], v[84:85], v[10:11]
	v_fma_f64 v[14:15], v[56:57], v[84:85], v[14:15]
	v_fma_f64 v[35:36], v[58:59], v[84:85], v[35:36]
	v_fma_f64 v[37:38], v[64:65], v[84:85], v[37:38]
	v_fma_f64 v[39:40], v[66:67], v[84:85], v[39:40]
	v_fma_f64 v[33:34], v[72:73], v[84:85], v[33:34]
	v_fma_f64 v[31:32], v[74:75], v[84:85], v[31:32]
	v_fma_f64 v[8:9], -v[8:9], v[86:87], v[12:13]
	v_fma_f64 v[6:7], v[6:7], v[86:87], v[10:11]
	v_fma_f64 v[10:11], -v[58:59], v[86:87], v[14:15]
	v_fma_f64 v[12:13], v[56:57], v[86:87], v[35:36]
	v_fma_f64 v[14:15], -v[66:67], v[86:87], v[37:38]
	v_fma_f64 v[35:36], v[64:65], v[86:87], v[39:40]
	v_fma_f64 v[33:34], -v[74:75], v[86:87], v[33:34]
	v_fma_f64 v[31:32], v[72:73], v[86:87], v[31:32]
	;; [unrolled: 17-line block ×4, first 2 shown]
	s_and_not1_b32 exec_lo, exec_lo, s10
	s_cbranch_execnz .LBB38_19
; %bb.20:
	s_or_b32 exec_lo, exec_lo, s10
.LBB38_21:
	s_delay_alu instid0(SALU_CYCLE_1) | instskip(NEXT) | instid1(SALU_CYCLE_1)
	s_or_b32 exec_lo, exec_lo, s7
	s_mov_b32 s7, exec_lo
	v_cmpx_lt_u64_e32 0x5f, v[0:1]
	s_cbranch_execz .LBB38_25
; %bb.22:
	v_lshlrev_b64 v[0:1], 2, v[51:52]
	s_mov_b32 s10, 0
	s_delay_alu instid0(VALU_DEP_1) | instskip(NEXT) | instid1(VALU_DEP_2)
	v_add_co_u32 v0, vcc_lo, v0, s8
	v_add_co_ci_u32_e32 v1, vcc_lo, s9, v1, vcc_lo
	s_delay_alu instid0(VALU_DEP_2) | instskip(NEXT) | instid1(VALU_DEP_2)
	v_add_co_u32 v53, vcc_lo, 0x100, v0
	v_add_co_ci_u32_e32 v54, vcc_lo, 0, v1, vcc_lo
.LBB38_23:                              ; =>This Inner Loop Header: Depth=1
	s_clause 0x1
	global_load_b32 v56, v[53:54], off offset:-256
	global_load_b32 v57, v[53:54], off offset:-128
	s_clause 0x3
	global_load_b128 v[12:15], v[49:50], off
	global_load_b128 v[8:11], v[49:50], off offset:64
	global_load_b128 v[4:7], v[49:50], off offset:128
	;; [unrolled: 1-line block ×3, first 2 shown]
	s_clause 0x1
	global_load_b32 v156, v[53:54], off
	global_load_b32 v158, v[53:54], off offset:128
	s_waitcnt vmcnt(7)
	v_subrev_nc_u32_e32 v56, s12, v56
	s_delay_alu instid0(VALU_DEP_1)
	v_lshlrev_b32_e32 v58, 2, v56
	s_waitcnt vmcnt(6)
	v_subrev_nc_u32_e32 v56, s12, v57
	s_waitcnt vmcnt(1)
	v_subrev_nc_u32_e32 v156, s12, v156
	v_ashrrev_i32_e32 v59, 31, v58
	s_delay_alu instid0(VALU_DEP_3) | instskip(NEXT) | instid1(VALU_DEP_3)
	v_lshlrev_b32_e32 v56, 2, v56
	v_lshlrev_b32_e32 v156, 2, v156
	s_delay_alu instid0(VALU_DEP_3) | instskip(NEXT) | instid1(VALU_DEP_3)
	v_lshlrev_b64 v[58:59], 4, v[58:59]
	v_ashrrev_i32_e32 v57, 31, v56
	s_delay_alu instid0(VALU_DEP_3) | instskip(NEXT) | instid1(VALU_DEP_2)
	v_ashrrev_i32_e32 v157, 31, v156
	v_lshlrev_b64 v[56:57], 4, v[56:57]
	s_waitcnt lgkmcnt(0)
	s_delay_alu instid0(VALU_DEP_4)
	v_add_co_u32 v118, vcc_lo, s4, v58
	v_add_co_ci_u32_e32 v119, vcc_lo, s5, v59, vcc_lo
	v_add_co_u32 v142, vcc_lo, 0x2000, v49
	global_load_b128 v[58:61], v[118:119], off
	s_clause 0x3
	global_load_b128 v[62:65], v[49:50], off offset:16
	global_load_b128 v[66:69], v[49:50], off offset:80
	global_load_b128 v[70:73], v[49:50], off offset:144
	global_load_b128 v[74:77], v[49:50], off offset:208
	global_load_b128 v[78:81], v[118:119], off offset:16
	s_clause 0x3
	global_load_b128 v[82:85], v[49:50], off offset:96
	global_load_b128 v[86:89], v[49:50], off offset:160
	global_load_b128 v[90:93], v[49:50], off offset:224
	global_load_b128 v[94:97], v[49:50], off offset:32
	global_load_b128 v[98:101], v[118:119], off offset:32
	;; [unrolled: 6-line block ×3, first 2 shown]
	v_add_co_ci_u32_e32 v143, vcc_lo, 0, v50, vcc_lo
	v_add_co_u32 v144, vcc_lo, s4, v56
	v_add_co_ci_u32_e32 v145, vcc_lo, s5, v57, vcc_lo
	s_clause 0x3
	global_load_b128 v[122:125], v[142:143], off
	global_load_b128 v[126:129], v[142:143], off offset:64
	global_load_b128 v[130:133], v[142:143], off offset:128
	;; [unrolled: 1-line block ×3, first 2 shown]
	v_add_co_u32 v154, vcc_lo, 0x4000, v49
	global_load_b128 v[138:141], v[144:145], off
	v_add_co_ci_u32_e32 v155, vcc_lo, 0, v50, vcc_lo
	s_waitcnt vmcnt(20)
	v_fma_f64 v[39:40], v[12:13], v[58:59], v[39:40]
	v_fma_f64 v[35:36], v[14:15], v[58:59], v[35:36]
	v_fma_f64 v[45:46], v[8:9], v[58:59], v[45:46]
	v_fma_f64 v[37:38], v[10:11], v[58:59], v[37:38]
	v_fma_f64 v[41:42], v[4:5], v[58:59], v[41:42]
	v_fma_f64 v[43:44], v[6:7], v[58:59], v[43:44]
	v_fma_f64 v[33:34], v[0:1], v[58:59], v[33:34]
	v_fma_f64 v[31:32], v[2:3], v[58:59], v[31:32]
	v_fma_f64 v[39:40], -v[14:15], v[60:61], v[39:40]
	v_fma_f64 v[35:36], v[12:13], v[60:61], v[35:36]
	v_fma_f64 v[45:46], -v[10:11], v[60:61], v[45:46]
	v_fma_f64 v[37:38], v[8:9], v[60:61], v[37:38]
	v_fma_f64 v[41:42], -v[6:7], v[60:61], v[41:42]
	v_fma_f64 v[43:44], v[4:5], v[60:61], v[43:44]
	v_fma_f64 v[56:57], -v[2:3], v[60:61], v[33:34]
	v_fma_f64 v[58:59], v[0:1], v[60:61], v[31:32]
	s_clause 0x3
	global_load_b128 v[0:3], v[142:143], off offset:16
	global_load_b128 v[4:7], v[142:143], off offset:80
	global_load_b128 v[8:11], v[142:143], off offset:144
	global_load_b128 v[12:15], v[142:143], off offset:208
	global_load_b128 v[31:34], v[144:145], off offset:16
	s_waitcnt vmcnt(20)
	v_fma_f64 v[39:40], v[62:63], v[78:79], v[39:40]
	v_fma_f64 v[35:36], v[64:65], v[78:79], v[35:36]
	v_fma_f64 v[45:46], v[66:67], v[78:79], v[45:46]
	v_fma_f64 v[37:38], v[68:69], v[78:79], v[37:38]
	v_fma_f64 v[41:42], v[70:71], v[78:79], v[41:42]
	v_fma_f64 v[43:44], v[72:73], v[78:79], v[43:44]
	v_fma_f64 v[56:57], v[74:75], v[78:79], v[56:57]
	v_fma_f64 v[58:59], v[76:77], v[78:79], v[58:59]
	v_fma_f64 v[64:65], -v[64:65], v[80:81], v[39:40]
	v_fma_f64 v[78:79], v[62:63], v[80:81], v[35:36]
	v_fma_f64 v[68:69], -v[68:69], v[80:81], v[45:46]
	v_fma_f64 v[66:67], v[66:67], v[80:81], v[37:38]
	v_fma_f64 v[72:73], -v[72:73], v[80:81], v[41:42]
	v_fma_f64 v[70:71], v[70:71], v[80:81], v[43:44]
	v_fma_f64 v[76:77], -v[76:77], v[80:81], v[56:57]
	v_fma_f64 v[74:75], v[74:75], v[80:81], v[58:59]
	s_clause 0x3
	global_load_b128 v[35:38], v[142:143], off offset:96
	global_load_b128 v[39:42], v[142:143], off offset:160
	global_load_b128 v[43:46], v[142:143], off offset:224
	global_load_b128 v[56:59], v[142:143], off offset:32
	global_load_b128 v[60:63], v[144:145], off offset:32
	;; [unrolled: 23-line block ×3, first 2 shown]
	s_waitcnt vmcnt(20)
	v_fma_f64 v[100:101], v[102:103], v[118:119], v[96:97]
	v_fma_f64 v[142:143], v[104:105], v[118:119], v[94:95]
	v_fma_f64 v[144:145], v[106:107], v[118:119], v[84:85]
	v_fma_f64 v[146:147], v[108:109], v[118:119], v[98:99]
	v_fma_f64 v[148:149], v[110:111], v[118:119], v[88:89]
	v_fma_f64 v[150:151], v[112:113], v[118:119], v[86:87]
	v_fma_f64 v[152:153], v[114:115], v[118:119], v[92:93]
	v_fma_f64 v[118:119], v[116:117], v[118:119], v[90:91]
	s_clause 0x3
	global_load_b128 v[84:87], v[154:155], off
	global_load_b128 v[88:91], v[154:155], off offset:64
	global_load_b128 v[92:95], v[154:155], off offset:128
	;; [unrolled: 1-line block ×3, first 2 shown]
	v_fma_f64 v[104:105], -v[104:105], v[120:121], v[100:101]
	v_fma_f64 v[142:143], v[102:103], v[120:121], v[142:143]
	v_fma_f64 v[108:109], -v[108:109], v[120:121], v[144:145]
	v_fma_f64 v[106:107], v[106:107], v[120:121], v[146:147]
	;; [unrolled: 2-line block ×4, first 2 shown]
	v_lshlrev_b64 v[100:101], 4, v[156:157]
	v_subrev_nc_u32_e32 v156, s12, v158
	s_delay_alu instid0(VALU_DEP_2) | instskip(NEXT) | instid1(VALU_DEP_3)
	v_add_co_u32 v144, vcc_lo, s4, v100
	v_add_co_ci_u32_e32 v145, vcc_lo, s5, v101, vcc_lo
	s_delay_alu instid0(VALU_DEP_3)
	v_lshlrev_b32_e32 v156, 2, v156
	global_load_b128 v[100:103], v[144:145], off
	v_ashrrev_i32_e32 v157, 31, v156
	s_waitcnt vmcnt(20)
	v_fma_f64 v[104:105], v[122:123], v[138:139], v[104:105]
	v_fma_f64 v[118:119], v[124:125], v[138:139], v[142:143]
	v_fma_f64 v[108:109], v[126:127], v[138:139], v[108:109]
	v_fma_f64 v[106:107], v[128:129], v[138:139], v[106:107]
	v_fma_f64 v[112:113], v[130:131], v[138:139], v[112:113]
	v_fma_f64 v[110:111], v[132:133], v[138:139], v[110:111]
	v_fma_f64 v[116:117], v[134:135], v[138:139], v[116:117]
	v_fma_f64 v[114:115], v[136:137], v[138:139], v[114:115]
	v_fma_f64 v[124:125], -v[124:125], v[140:141], v[104:105]
	v_fma_f64 v[138:139], v[122:123], v[140:141], v[118:119]
	v_fma_f64 v[128:129], -v[128:129], v[140:141], v[108:109]
	v_fma_f64 v[126:127], v[126:127], v[140:141], v[106:107]
	v_fma_f64 v[132:133], -v[132:133], v[140:141], v[112:113]
	v_fma_f64 v[130:131], v[130:131], v[140:141], v[110:111]
	v_fma_f64 v[136:137], -v[136:137], v[140:141], v[116:117]
	v_fma_f64 v[134:135], v[134:135], v[140:141], v[114:115]
	s_clause 0x3
	global_load_b128 v[104:107], v[154:155], off offset:16
	global_load_b128 v[108:111], v[154:155], off offset:80
	global_load_b128 v[112:115], v[154:155], off offset:144
	global_load_b128 v[116:119], v[154:155], off offset:208
	global_load_b128 v[120:123], v[144:145], off offset:16
	s_waitcnt vmcnt(20)
	v_fma_f64 v[124:125], v[0:1], v[31:32], v[124:125]
	v_fma_f64 v[138:139], v[2:3], v[31:32], v[138:139]
	v_fma_f64 v[128:129], v[4:5], v[31:32], v[128:129]
	v_fma_f64 v[126:127], v[6:7], v[31:32], v[126:127]
	v_fma_f64 v[132:133], v[8:9], v[31:32], v[132:133]
	v_fma_f64 v[130:131], v[10:11], v[31:32], v[130:131]
	v_fma_f64 v[136:137], v[12:13], v[31:32], v[136:137]
	v_fma_f64 v[31:32], v[14:15], v[31:32], v[134:135]
	v_fma_f64 v[124:125], -v[2:3], v[33:34], v[124:125]
	v_fma_f64 v[134:135], v[0:1], v[33:34], v[138:139]
	v_fma_f64 v[128:129], -v[6:7], v[33:34], v[128:129]
	v_fma_f64 v[126:127], v[4:5], v[33:34], v[126:127]
	v_fma_f64 v[132:133], -v[10:11], v[33:34], v[132:133]
	v_fma_f64 v[130:131], v[8:9], v[33:34], v[130:131]
	v_fma_f64 v[136:137], -v[14:15], v[33:34], v[136:137]
	v_fma_f64 v[138:139], v[12:13], v[33:34], v[31:32]
	s_clause 0x3
	global_load_b128 v[0:3], v[154:155], off offset:96
	global_load_b128 v[4:7], v[154:155], off offset:160
	global_load_b128 v[8:11], v[154:155], off offset:224
	global_load_b128 v[12:15], v[154:155], off offset:32
	global_load_b128 v[31:34], v[144:145], off offset:32
	;; [unrolled: 23-line block ×3, first 2 shown]
	v_add_co_u32 v154, vcc_lo, 0x6000, v49
	v_add_co_ci_u32_e32 v155, vcc_lo, 0, v50, vcc_lo
	v_add_co_u32 v49, s1, 0x8000, v49
	s_delay_alu instid0(VALU_DEP_1)
	v_add_co_ci_u32_e64 v50, s1, 0, v50, s1
	s_waitcnt vmcnt(20)
	v_fma_f64 v[140:141], v[64:65], v[80:81], v[124:125]
	v_fma_f64 v[142:143], v[66:67], v[80:81], v[134:135]
	;; [unrolled: 1-line block ×8, first 2 shown]
	s_clause 0x3
	global_load_b128 v[124:127], v[154:155], off
	global_load_b128 v[128:131], v[154:155], off offset:64
	global_load_b128 v[132:135], v[154:155], off offset:128
	;; [unrolled: 1-line block ×3, first 2 shown]
	v_fma_f64 v[140:141], -v[66:67], v[82:83], v[140:141]
	v_fma_f64 v[142:143], v[64:65], v[82:83], v[142:143]
	v_fma_f64 v[70:71], -v[70:71], v[82:83], v[144:145]
	v_fma_f64 v[68:69], v[68:69], v[82:83], v[146:147]
	v_fma_f64 v[74:75], -v[74:75], v[82:83], v[148:149]
	v_fma_f64 v[72:73], v[72:73], v[82:83], v[150:151]
	v_fma_f64 v[78:79], -v[78:79], v[82:83], v[152:153]
	v_fma_f64 v[76:77], v[76:77], v[82:83], v[80:81]
	v_lshlrev_b64 v[64:65], 4, v[156:157]
	s_delay_alu instid0(VALU_DEP_1) | instskip(NEXT) | instid1(VALU_DEP_2)
	v_add_co_u32 v144, vcc_lo, s4, v64
	v_add_co_ci_u32_e32 v145, vcc_lo, s5, v65, vcc_lo
	v_add_co_u32 v51, vcc_lo, 0x80, v51
	v_add_co_ci_u32_e32 v52, vcc_lo, 0, v52, vcc_lo
	global_load_b128 v[64:67], v[144:145], off
	v_add_co_u32 v53, vcc_lo, 0x200, v53
	v_add_co_ci_u32_e32 v54, vcc_lo, 0, v54, vcc_lo
	v_cmp_ge_i64_e32 vcc_lo, v[51:52], v[27:28]
	s_or_b32 s10, vcc_lo, s10
	s_waitcnt vmcnt(20)
	v_fma_f64 v[80:81], v[84:85], v[100:101], v[140:141]
	v_fma_f64 v[82:83], v[86:87], v[100:101], v[142:143]
	v_fma_f64 v[70:71], v[88:89], v[100:101], v[70:71]
	v_fma_f64 v[68:69], v[90:91], v[100:101], v[68:69]
	v_fma_f64 v[74:75], v[92:93], v[100:101], v[74:75]
	v_fma_f64 v[72:73], v[94:95], v[100:101], v[72:73]
	v_fma_f64 v[78:79], v[96:97], v[100:101], v[78:79]
	v_fma_f64 v[76:77], v[98:99], v[100:101], v[76:77]
	v_fma_f64 v[100:101], -v[86:87], v[102:103], v[80:81]
	v_fma_f64 v[140:141], v[84:85], v[102:103], v[82:83]
	v_fma_f64 v[90:91], -v[90:91], v[102:103], v[70:71]
	v_fma_f64 v[88:89], v[88:89], v[102:103], v[68:69]
	v_fma_f64 v[94:95], -v[94:95], v[102:103], v[74:75]
	v_fma_f64 v[92:93], v[92:93], v[102:103], v[72:73]
	v_fma_f64 v[98:99], -v[98:99], v[102:103], v[78:79]
	v_fma_f64 v[96:97], v[96:97], v[102:103], v[76:77]
	s_clause 0x3
	global_load_b128 v[68:71], v[154:155], off offset:80
	global_load_b128 v[72:75], v[154:155], off offset:144
	global_load_b128 v[76:79], v[154:155], off offset:208
	global_load_b128 v[80:83], v[154:155], off offset:16
	global_load_b128 v[84:87], v[144:145], off offset:16
	s_waitcnt vmcnt(20)
	v_fma_f64 v[100:101], v[104:105], v[120:121], v[100:101]
	v_fma_f64 v[102:103], v[106:107], v[120:121], v[140:141]
	v_fma_f64 v[90:91], v[108:109], v[120:121], v[90:91]
	v_fma_f64 v[88:89], v[110:111], v[120:121], v[88:89]
	v_fma_f64 v[94:95], v[112:113], v[120:121], v[94:95]
	v_fma_f64 v[92:93], v[114:115], v[120:121], v[92:93]
	v_fma_f64 v[98:99], v[116:117], v[120:121], v[98:99]
	v_fma_f64 v[96:97], v[118:119], v[120:121], v[96:97]
	v_fma_f64 v[120:121], -v[106:107], v[122:123], v[100:101]
	v_fma_f64 v[140:141], v[104:105], v[122:123], v[102:103]
	v_fma_f64 v[110:111], -v[110:111], v[122:123], v[90:91]
	v_fma_f64 v[108:109], v[108:109], v[122:123], v[88:89]
	v_fma_f64 v[114:115], -v[114:115], v[122:123], v[94:95]
	v_fma_f64 v[112:113], v[112:113], v[122:123], v[92:93]
	v_fma_f64 v[118:119], -v[118:119], v[122:123], v[98:99]
	v_fma_f64 v[116:117], v[116:117], v[122:123], v[96:97]
	s_clause 0x3
	global_load_b128 v[88:91], v[154:155], off offset:96
	global_load_b128 v[92:95], v[154:155], off offset:160
	global_load_b128 v[96:99], v[154:155], off offset:224
	global_load_b128 v[100:103], v[154:155], off offset:32
	global_load_b128 v[104:107], v[144:145], off offset:32
	;; [unrolled: 23-line block ×3, first 2 shown]
	s_waitcnt vmcnt(20)
	v_fma_f64 v[33:34], v[35:36], v[60:61], v[116:117]
	v_fma_f64 v[116:117], v[37:38], v[60:61], v[120:121]
	v_fma_f64 v[120:121], v[39:40], v[60:61], v[122:123]
	v_fma_f64 v[122:123], v[41:42], v[60:61], v[140:141]
	v_fma_f64 v[114:115], v[43:44], v[60:61], v[114:115]
	v_fma_f64 v[112:113], v[45:46], v[60:61], v[112:113]
	v_fma_f64 v[118:119], v[56:57], v[60:61], v[118:119]
	v_fma_f64 v[31:32], v[58:59], v[60:61], v[31:32]
	v_fma_f64 v[33:34], -v[37:38], v[62:63], v[33:34]
	v_fma_f64 v[35:36], v[35:36], v[62:63], v[116:117]
	v_fma_f64 v[37:38], -v[41:42], v[62:63], v[120:121]
	v_fma_f64 v[39:40], v[39:40], v[62:63], v[122:123]
	v_fma_f64 v[41:42], -v[45:46], v[62:63], v[114:115]
	v_fma_f64 v[43:44], v[43:44], v[62:63], v[112:113]
	v_fma_f64 v[45:46], -v[58:59], v[62:63], v[118:119]
	v_fma_f64 v[31:32], v[56:57], v[62:63], v[31:32]
	s_waitcnt vmcnt(15)
	v_fma_f64 v[33:34], v[124:125], v[64:65], v[33:34]
	v_fma_f64 v[35:36], v[126:127], v[64:65], v[35:36]
	v_fma_f64 v[37:38], v[128:129], v[64:65], v[37:38]
	v_fma_f64 v[39:40], v[130:131], v[64:65], v[39:40]
	v_fma_f64 v[41:42], v[132:133], v[64:65], v[41:42]
	v_fma_f64 v[43:44], v[134:135], v[64:65], v[43:44]
	v_fma_f64 v[45:46], v[136:137], v[64:65], v[45:46]
	v_fma_f64 v[31:32], v[138:139], v[64:65], v[31:32]
	v_fma_f64 v[33:34], -v[126:127], v[66:67], v[33:34]
	v_fma_f64 v[35:36], v[124:125], v[66:67], v[35:36]
	v_fma_f64 v[37:38], -v[130:131], v[66:67], v[37:38]
	v_fma_f64 v[39:40], v[128:129], v[66:67], v[39:40]
	v_fma_f64 v[41:42], -v[134:135], v[66:67], v[41:42]
	v_fma_f64 v[43:44], v[132:133], v[66:67], v[43:44]
	v_fma_f64 v[45:46], -v[138:139], v[66:67], v[45:46]
	v_fma_f64 v[31:32], v[136:137], v[66:67], v[31:32]
	;; [unrolled: 17-line block ×5, first 2 shown]
	s_and_not1_b32 exec_lo, exec_lo, s10
	s_cbranch_execnz .LBB38_23
; %bb.24:
	s_or_b32 exec_lo, exec_lo, s10
.LBB38_25:
	s_delay_alu instid0(SALU_CYCLE_1)
	s_or_b32 exec_lo, exec_lo, s7
.LBB38_26:
	s_delay_alu instid0(SALU_CYCLE_1)
	s_or_b32 exec_lo, exec_lo, s6
	s_cbranch_execz .LBB38_28
	s_branch .LBB38_39
.LBB38_27:
                                        ; implicit-def: $vgpr35_vgpr36
                                        ; implicit-def: $vgpr39_vgpr40
                                        ; implicit-def: $vgpr33_vgpr34
                                        ; implicit-def: $vgpr31_vgpr32
                                        ; implicit-def: $vgpr41_vgpr42
                                        ; implicit-def: $vgpr43_vgpr44
                                        ; implicit-def: $vgpr45_vgpr46
                                        ; implicit-def: $vgpr37_vgpr38
.LBB38_28:
	v_mov_b32_e32 v35, 0
	v_mov_b32_e32 v36, 0
	s_delay_alu instid0(VALU_DEP_2) | instskip(NEXT) | instid1(VALU_DEP_2)
	v_mov_b32_e32 v33, v35
	v_dual_mov_b32 v31, v35 :: v_dual_mov_b32 v32, v36
	v_dual_mov_b32 v40, v36 :: v_dual_mov_b32 v39, v35
	v_mov_b32_e32 v34, v36
	v_dual_mov_b32 v42, v36 :: v_dual_mov_b32 v41, v35
	v_dual_mov_b32 v44, v36 :: v_dual_mov_b32 v43, v35
	;; [unrolled: 1-line block ×4, first 2 shown]
	s_and_saveexec_b32 s1, s0
	s_cbranch_execz .LBB38_38
; %bb.29:
	v_or_b32_e32 v0, 32, v55
	v_not_b32_e32 v3, v47
	v_not_b32_e32 v2, v48
	s_mov_b32 s7, 0
	s_mov_b32 s6, exec_lo
	v_sub_co_u32 v0, s0, v0, s12
	s_delay_alu instid0(VALU_DEP_1) | instskip(SKIP_1) | instid1(VALU_DEP_3)
	v_sub_co_ci_u32_e64 v1, null, 0, 0, s0
	v_sub_co_u32 v4, s0, s12, v55
	v_add_co_u32 v0, vcc_lo, v0, v47
	s_delay_alu instid0(VALU_DEP_3) | instskip(SKIP_1) | instid1(VALU_DEP_2)
	v_add_co_ci_u32_e32 v1, vcc_lo, v1, v48, vcc_lo
	v_sub_co_ci_u32_e64 v5, null, 0, 0, s0
	v_cmp_gt_i64_e32 vcc_lo, v[0:1], v[27:28]
	v_dual_cndmask_b32 v1, v28, v1 :: v_dual_cndmask_b32 v0, v27, v0
	v_add_co_u32 v3, vcc_lo, v4, v3
	s_delay_alu instid0(VALU_DEP_4) | instskip(NEXT) | instid1(VALU_DEP_2)
	v_add_co_ci_u32_e32 v2, vcc_lo, v5, v2, vcc_lo
	v_add_co_u32 v0, vcc_lo, v3, v0
	s_delay_alu instid0(VALU_DEP_2) | instskip(NEXT) | instid1(VALU_DEP_2)
	v_add_co_ci_u32_e32 v1, vcc_lo, v2, v1, vcc_lo
	v_lshrrev_b32_e32 v2, 5, v0
	v_mov_b32_e32 v37, 0
	v_mov_b32_e32 v38, 0
	s_delay_alu instid0(VALU_DEP_2) | instskip(NEXT) | instid1(VALU_DEP_4)
	v_mov_b32_e32 v31, v37
	v_dual_mov_b32 v33, v37 :: v_dual_add_nc_u32 v2, 1, v2
	s_delay_alu instid0(VALU_DEP_3)
	v_dual_mov_b32 v35, v37 :: v_dual_mov_b32 v42, v38
	v_mov_b32_e32 v32, v38
	v_mov_b32_e32 v40, v38
	v_dual_mov_b32 v46, v38 :: v_dual_mov_b32 v45, v37
	v_dual_mov_b32 v44, v38 :: v_dual_mov_b32 v43, v37
	v_dual_mov_b32 v41, v37 :: v_dual_and_b32 v2, 3, v2
	v_dual_mov_b32 v34, v38 :: v_dual_mov_b32 v39, v37
	v_mov_b32_e32 v36, v38
	s_delay_alu instid0(VALU_DEP_3)
	v_cmpx_ne_u32_e32 0, v2
	s_cbranch_execz .LBB38_33
; %bb.30:
	v_lshlrev_b64 v[4:5], 2, v[25:26]
	v_dual_mov_b32 v35, 0 :: v_dual_lshlrev_b32 v2, 2, v2
	v_dual_mov_b32 v3, 0 :: v_dual_mov_b32 v36, 0
	s_delay_alu instid0(VALU_DEP_2) | instskip(NEXT) | instid1(VALU_DEP_4)
	v_mov_b32_e32 v33, v35
	v_add_co_u32 v4, vcc_lo, s8, v4
	v_add_co_ci_u32_e32 v5, vcc_lo, s9, v5, vcc_lo
	s_delay_alu instid0(VALU_DEP_4)
	v_mov_b32_e32 v34, v36
	v_dual_mov_b32 v40, v36 :: v_dual_mov_b32 v39, v35
	v_dual_mov_b32 v31, v35 :: v_dual_mov_b32 v32, v36
	;; [unrolled: 1-line block ×6, first 2 shown]
.LBB38_31:                              ; =>This Inner Loop Header: Depth=1
	global_load_b32 v14, v[4:5], off
	s_clause 0x3
	global_load_b128 v[6:9], v[29:30], off offset:48
	global_load_b128 v[10:13], v[29:30], off offset:32
	global_load_b128 v[47:50], v[29:30], off offset:16
	global_load_b128 v[51:54], v[29:30], off
	v_add_co_u32 v4, s0, 0x80, v4
	s_delay_alu instid0(VALU_DEP_1) | instskip(SKIP_2) | instid1(VALU_DEP_1)
	v_add_co_ci_u32_e64 v5, s0, 0, v5, s0
	s_waitcnt vmcnt(4)
	v_subrev_nc_u32_e32 v14, s12, v14
	v_lshlrev_b32_e32 v14, 2, v14
	s_delay_alu instid0(VALU_DEP_1) | instskip(NEXT) | instid1(VALU_DEP_1)
	v_ashrrev_i32_e32 v15, 31, v14
	v_lshlrev_b64 v[14:15], 4, v[14:15]
	s_waitcnt lgkmcnt(0)
	s_delay_alu instid0(VALU_DEP_1) | instskip(NEXT) | instid1(VALU_DEP_2)
	v_add_co_u32 v14, vcc_lo, s4, v14
	v_add_co_ci_u32_e32 v15, vcc_lo, s5, v15, vcc_lo
	s_clause 0x1
	global_load_b128 v[56:59], v[14:15], off
	global_load_b128 v[60:63], v[14:15], off offset:16
	s_clause 0x7
	global_load_b128 v[64:67], v[29:30], off offset:64
	global_load_b128 v[68:71], v[29:30], off offset:80
	;; [unrolled: 1-line block ×8, first 2 shown]
	s_clause 0x1
	global_load_b128 v[96:99], v[14:15], off offset:32
	global_load_b128 v[100:103], v[14:15], off offset:48
	s_clause 0x3
	global_load_b128 v[104:107], v[29:30], off offset:192
	global_load_b128 v[108:111], v[29:30], off offset:208
	;; [unrolled: 1-line block ×4, first 2 shown]
	v_add_co_u32 v29, vcc_lo, 0x2000, v29
	v_add_co_ci_u32_e32 v30, vcc_lo, 0, v30, vcc_lo
	v_add_co_u32 v2, vcc_lo, v2, -4
	v_add_co_ci_u32_e32 v3, vcc_lo, -1, v3, vcc_lo
	v_add_co_u32 v25, vcc_lo, v25, 32
	v_add_co_ci_u32_e32 v26, vcc_lo, 0, v26, vcc_lo
	s_delay_alu instid0(VALU_DEP_3)
	v_cmp_eq_u64_e32 vcc_lo, 0, v[2:3]
	s_or_b32 s7, vcc_lo, s7
	s_waitcnt vmcnt(15)
	v_fma_f64 v[14:15], v[51:52], v[56:57], v[39:40]
	v_fma_f64 v[35:36], v[53:54], v[56:57], v[35:36]
	;; [unrolled: 1-line block ×8, first 2 shown]
	v_fma_f64 v[14:15], -v[53:54], v[58:59], v[14:15]
	v_fma_f64 v[35:36], v[51:52], v[58:59], v[35:36]
	v_fma_f64 v[39:40], -v[49:50], v[58:59], v[39:40]
	v_fma_f64 v[37:38], v[47:48], v[58:59], v[37:38]
	;; [unrolled: 2-line block ×4, first 2 shown]
	s_waitcnt vmcnt(13)
	v_fma_f64 v[14:15], v[64:65], v[60:61], v[14:15]
	v_fma_f64 v[31:32], v[66:67], v[60:61], v[35:36]
	s_waitcnt vmcnt(12)
	v_fma_f64 v[33:34], v[68:69], v[60:61], v[39:40]
	v_fma_f64 v[35:36], v[70:71], v[60:61], v[37:38]
	;; [unrolled: 3-line block ×4, first 2 shown]
	v_fma_f64 v[14:15], -v[66:67], v[62:63], v[14:15]
	v_fma_f64 v[31:32], v[64:65], v[62:63], v[31:32]
	v_fma_f64 v[33:34], -v[70:71], v[62:63], v[33:34]
	v_fma_f64 v[35:36], v[68:69], v[62:63], v[35:36]
	;; [unrolled: 2-line block ×4, first 2 shown]
	s_waitcnt vmcnt(5)
	v_fma_f64 v[14:15], v[92:93], v[96:97], v[14:15]
	v_fma_f64 v[31:32], v[94:95], v[96:97], v[31:32]
	;; [unrolled: 1-line block ×8, first 2 shown]
	v_fma_f64 v[14:15], -v[94:95], v[98:99], v[14:15]
	v_fma_f64 v[31:32], v[92:93], v[98:99], v[31:32]
	v_fma_f64 v[33:34], -v[90:91], v[98:99], v[33:34]
	v_fma_f64 v[35:36], v[88:89], v[98:99], v[35:36]
	;; [unrolled: 2-line block ×4, first 2 shown]
	s_waitcnt vmcnt(3)
	v_fma_f64 v[14:15], v[104:105], v[100:101], v[14:15]
	v_fma_f64 v[31:32], v[106:107], v[100:101], v[31:32]
	s_waitcnt vmcnt(2)
	v_fma_f64 v[33:34], v[108:109], v[100:101], v[33:34]
	v_fma_f64 v[37:38], v[110:111], v[100:101], v[35:36]
	;; [unrolled: 3-line block ×4, first 2 shown]
	v_fma_f64 v[39:40], -v[106:107], v[102:103], v[14:15]
	v_fma_f64 v[35:36], v[104:105], v[102:103], v[31:32]
	v_fma_f64 v[45:46], -v[110:111], v[102:103], v[33:34]
	v_fma_f64 v[37:38], v[108:109], v[102:103], v[37:38]
	;; [unrolled: 2-line block ×4, first 2 shown]
	s_and_not1_b32 exec_lo, exec_lo, s7
	s_cbranch_execnz .LBB38_31
; %bb.32:
	s_or_b32 exec_lo, exec_lo, s7
.LBB38_33:
	s_delay_alu instid0(SALU_CYCLE_1) | instskip(NEXT) | instid1(SALU_CYCLE_1)
	s_or_b32 exec_lo, exec_lo, s6
	s_mov_b32 s6, exec_lo
	v_cmpx_lt_u64_e32 0x5f, v[0:1]
	s_cbranch_execz .LBB38_37
; %bb.34:
	v_lshlrev_b64 v[0:1], 2, v[25:26]
	s_mov_b32 s7, 0
	s_delay_alu instid0(VALU_DEP_1) | instskip(NEXT) | instid1(VALU_DEP_2)
	v_add_co_u32 v0, vcc_lo, v0, s8
	v_add_co_ci_u32_e32 v1, vcc_lo, s9, v1, vcc_lo
	s_delay_alu instid0(VALU_DEP_2) | instskip(NEXT) | instid1(VALU_DEP_2)
	v_add_co_u32 v0, vcc_lo, 0x100, v0
	v_add_co_ci_u32_e32 v1, vcc_lo, 0, v1, vcc_lo
.LBB38_35:                              ; =>This Inner Loop Header: Depth=1
	s_clause 0x1
	global_load_b32 v2, v[0:1], off offset:-256
	global_load_b32 v132, v[0:1], off offset:-128
	s_clause 0x3
	global_load_b128 v[4:7], v[29:30], off offset:48
	global_load_b128 v[8:11], v[29:30], off offset:32
	;; [unrolled: 1-line block ×3, first 2 shown]
	global_load_b128 v[47:50], v[29:30], off
	s_clause 0x1
	global_load_b32 v3, v[0:1], off
	global_load_b32 v152, v[0:1], off offset:128
	s_waitcnt vmcnt(7)
	v_subrev_nc_u32_e32 v2, s12, v2
	s_delay_alu instid0(VALU_DEP_1) | instskip(SKIP_2) | instid1(VALU_DEP_2)
	v_lshlrev_b32_e32 v51, 2, v2
	s_waitcnt vmcnt(6)
	v_subrev_nc_u32_e32 v2, s12, v132
	v_ashrrev_i32_e32 v52, 31, v51
	s_delay_alu instid0(VALU_DEP_2) | instskip(SKIP_2) | instid1(VALU_DEP_3)
	v_lshlrev_b32_e32 v132, 2, v2
	s_waitcnt vmcnt(1)
	v_subrev_nc_u32_e32 v2, s12, v3
	v_lshlrev_b64 v[51:52], 4, v[51:52]
	s_delay_alu instid0(VALU_DEP_3) | instskip(NEXT) | instid1(VALU_DEP_3)
	v_ashrrev_i32_e32 v133, 31, v132
	v_lshlrev_b32_e32 v2, 2, v2
	s_delay_alu instid0(VALU_DEP_2) | instskip(SKIP_1) | instid1(VALU_DEP_4)
	v_lshlrev_b64 v[132:133], 4, v[132:133]
	s_waitcnt lgkmcnt(0)
	v_add_co_u32 v112, vcc_lo, s4, v51
	v_add_co_ci_u32_e32 v113, vcc_lo, s5, v52, vcc_lo
	v_add_co_u32 v136, vcc_lo, 0x2000, v29
	global_load_b128 v[51:54], v[112:113], off
	s_clause 0x3
	global_load_b128 v[56:59], v[29:30], off offset:112
	global_load_b128 v[60:63], v[29:30], off offset:96
	global_load_b128 v[64:67], v[29:30], off offset:80
	global_load_b128 v[68:71], v[29:30], off offset:64
	global_load_b128 v[72:75], v[112:113], off offset:16
	s_clause 0x3
	global_load_b128 v[76:79], v[29:30], off offset:176
	global_load_b128 v[80:83], v[29:30], off offset:160
	global_load_b128 v[84:87], v[29:30], off offset:144
	global_load_b128 v[88:91], v[29:30], off offset:128
	global_load_b128 v[92:95], v[112:113], off offset:32
	;; [unrolled: 6-line block ×3, first 2 shown]
	v_add_co_ci_u32_e32 v137, vcc_lo, 0, v30, vcc_lo
	v_add_co_u32 v138, vcc_lo, s4, v132
	v_add_co_ci_u32_e32 v139, vcc_lo, s5, v133, vcc_lo
	s_clause 0x3
	global_load_b128 v[116:119], v[136:137], off offset:48
	global_load_b128 v[120:123], v[136:137], off offset:32
	global_load_b128 v[124:127], v[136:137], off
	global_load_b128 v[128:131], v[136:137], off offset:16
	v_ashrrev_i32_e32 v3, 31, v2
	v_add_co_u32 v150, vcc_lo, 0x4000, v29
	global_load_b128 v[132:135], v[138:139], off
	v_add_co_ci_u32_e32 v151, vcc_lo, 0, v30, vcc_lo
	v_lshlrev_b64 v[2:3], 4, v[2:3]
	s_waitcnt vmcnt(20)
	v_fma_f64 v[39:40], v[47:48], v[51:52], v[39:40]
	v_fma_f64 v[35:36], v[49:50], v[51:52], v[35:36]
	v_fma_f64 v[45:46], v[12:13], v[51:52], v[45:46]
	v_fma_f64 v[37:38], v[14:15], v[51:52], v[37:38]
	v_fma_f64 v[41:42], v[8:9], v[51:52], v[41:42]
	v_fma_f64 v[43:44], v[10:11], v[51:52], v[43:44]
	v_fma_f64 v[33:34], v[4:5], v[51:52], v[33:34]
	v_fma_f64 v[31:32], v[6:7], v[51:52], v[31:32]
	v_fma_f64 v[39:40], -v[49:50], v[53:54], v[39:40]
	v_fma_f64 v[47:48], v[47:48], v[53:54], v[35:36]
	v_fma_f64 v[45:46], -v[14:15], v[53:54], v[45:46]
	v_fma_f64 v[49:50], v[12:13], v[53:54], v[37:38]
	v_fma_f64 v[41:42], -v[10:11], v[53:54], v[41:42]
	v_fma_f64 v[43:44], v[8:9], v[53:54], v[43:44]
	v_fma_f64 v[51:52], -v[6:7], v[53:54], v[33:34]
	v_fma_f64 v[53:54], v[4:5], v[53:54], v[31:32]
	s_clause 0x3
	global_load_b128 v[4:7], v[136:137], off offset:112
	global_load_b128 v[8:11], v[136:137], off offset:96
	global_load_b128 v[12:15], v[136:137], off offset:80
	global_load_b128 v[31:34], v[136:137], off offset:64
	global_load_b128 v[35:38], v[138:139], off offset:16
	s_waitcnt vmcnt(20)
	v_fma_f64 v[39:40], v[68:69], v[72:73], v[39:40]
	v_fma_f64 v[47:48], v[70:71], v[72:73], v[47:48]
	v_fma_f64 v[45:46], v[64:65], v[72:73], v[45:46]
	v_fma_f64 v[49:50], v[66:67], v[72:73], v[49:50]
	v_fma_f64 v[41:42], v[60:61], v[72:73], v[41:42]
	v_fma_f64 v[43:44], v[62:63], v[72:73], v[43:44]
	v_fma_f64 v[51:52], v[56:57], v[72:73], v[51:52]
	v_fma_f64 v[53:54], v[58:59], v[72:73], v[53:54]
	v_fma_f64 v[70:71], -v[70:71], v[74:75], v[39:40]
	v_fma_f64 v[68:69], v[68:69], v[74:75], v[47:48]
	v_fma_f64 v[66:67], -v[66:67], v[74:75], v[45:46]
	v_fma_f64 v[64:65], v[64:65], v[74:75], v[49:50]
	v_fma_f64 v[62:63], -v[62:63], v[74:75], v[41:42]
	v_fma_f64 v[60:61], v[60:61], v[74:75], v[43:44]
	v_fma_f64 v[72:73], -v[58:59], v[74:75], v[51:52]
	v_fma_f64 v[74:75], v[56:57], v[74:75], v[53:54]
	s_clause 0x3
	global_load_b128 v[39:42], v[136:137], off offset:176
	global_load_b128 v[43:46], v[136:137], off offset:160
	global_load_b128 v[47:50], v[136:137], off offset:144
	global_load_b128 v[51:54], v[136:137], off offset:128
	global_load_b128 v[56:59], v[138:139], off offset:32
	;; [unrolled: 23-line block ×3, first 2 shown]
	s_waitcnt vmcnt(20)
	v_fma_f64 v[136:137], v[108:109], v[112:113], v[90:91]
	v_fma_f64 v[138:139], v[110:111], v[112:113], v[88:89]
	;; [unrolled: 1-line block ×8, first 2 shown]
	s_clause 0x3
	global_load_b128 v[80:83], v[150:151], off offset:48
	global_load_b128 v[84:87], v[150:151], off offset:32
	global_load_b128 v[88:91], v[150:151], off
	global_load_b128 v[92:95], v[150:151], off offset:16
	v_fma_f64 v[110:111], -v[110:111], v[114:115], v[136:137]
	v_fma_f64 v[108:109], v[108:109], v[114:115], v[138:139]
	v_fma_f64 v[106:107], -v[106:107], v[114:115], v[140:141]
	v_fma_f64 v[104:105], v[104:105], v[114:115], v[142:143]
	;; [unrolled: 2-line block ×4, first 2 shown]
	v_add_co_u32 v138, vcc_lo, s4, v2
	v_add_co_ci_u32_e32 v139, vcc_lo, s5, v3, vcc_lo
	v_add_co_u32 v148, vcc_lo, 0x6000, v29
	v_add_co_ci_u32_e32 v149, vcc_lo, 0, v30, vcc_lo
	global_load_b128 v[96:99], v[138:139], off
	v_add_co_u32 v29, s0, 0x8000, v29
	s_delay_alu instid0(VALU_DEP_1)
	v_add_co_ci_u32_e64 v30, s0, 0, v30, s0
	s_waitcnt vmcnt(20)
	v_fma_f64 v[2:3], v[124:125], v[132:133], v[110:111]
	v_fma_f64 v[108:109], v[126:127], v[132:133], v[108:109]
	v_fma_f64 v[106:107], v[128:129], v[132:133], v[106:107]
	v_fma_f64 v[104:105], v[130:131], v[132:133], v[104:105]
	v_fma_f64 v[102:103], v[120:121], v[132:133], v[102:103]
	v_fma_f64 v[100:101], v[122:123], v[132:133], v[100:101]
	v_fma_f64 v[110:111], v[116:117], v[132:133], v[136:137]
	v_fma_f64 v[112:113], v[118:119], v[132:133], v[112:113]
	v_fma_f64 v[2:3], -v[126:127], v[134:135], v[2:3]
	v_fma_f64 v[124:125], v[124:125], v[134:135], v[108:109]
	v_fma_f64 v[126:127], -v[130:131], v[134:135], v[106:107]
	v_fma_f64 v[128:129], v[128:129], v[134:135], v[104:105]
	v_fma_f64 v[122:123], -v[122:123], v[134:135], v[102:103]
	v_fma_f64 v[120:121], v[120:121], v[134:135], v[100:101]
	v_fma_f64 v[130:131], -v[118:119], v[134:135], v[110:111]
	v_fma_f64 v[132:133], v[116:117], v[134:135], v[112:113]
	s_clause 0x3
	global_load_b128 v[100:103], v[150:151], off offset:112
	global_load_b128 v[104:107], v[150:151], off offset:96
	global_load_b128 v[108:111], v[150:151], off offset:80
	global_load_b128 v[112:115], v[150:151], off offset:64
	global_load_b128 v[116:119], v[138:139], off offset:16
	s_waitcnt vmcnt(20)
	v_fma_f64 v[2:3], v[31:32], v[35:36], v[2:3]
	v_fma_f64 v[124:125], v[33:34], v[35:36], v[124:125]
	v_fma_f64 v[126:127], v[12:13], v[35:36], v[126:127]
	v_fma_f64 v[128:129], v[14:15], v[35:36], v[128:129]
	v_fma_f64 v[122:123], v[8:9], v[35:36], v[122:123]
	v_fma_f64 v[120:121], v[10:11], v[35:36], v[120:121]
	v_fma_f64 v[130:131], v[4:5], v[35:36], v[130:131]
	v_fma_f64 v[35:36], v[6:7], v[35:36], v[132:133]
	v_fma_f64 v[132:133], -v[33:34], v[37:38], v[2:3]
	v_fma_f64 v[124:125], v[31:32], v[37:38], v[124:125]
	v_fma_f64 v[14:15], -v[14:15], v[37:38], v[126:127]
	v_fma_f64 v[126:127], v[12:13], v[37:38], v[128:129]
	v_fma_f64 v[122:123], -v[10:11], v[37:38], v[122:123]
	v_fma_f64 v[120:121], v[8:9], v[37:38], v[120:121]
	v_fma_f64 v[128:129], -v[6:7], v[37:38], v[130:131]
	v_fma_f64 v[130:131], v[4:5], v[37:38], v[35:36]
	s_clause 0x3
	global_load_b128 v[2:5], v[150:151], off offset:176
	global_load_b128 v[6:9], v[150:151], off offset:160
	global_load_b128 v[10:13], v[150:151], off offset:144
	global_load_b128 v[31:34], v[150:151], off offset:128
	global_load_b128 v[35:38], v[138:139], off offset:32
	s_waitcnt vmcnt(20)
	v_fma_f64 v[132:133], v[51:52], v[56:57], v[132:133]
	v_fma_f64 v[124:125], v[53:54], v[56:57], v[124:125]
	v_fma_f64 v[14:15], v[47:48], v[56:57], v[14:15]
	v_fma_f64 v[126:127], v[49:50], v[56:57], v[126:127]
	v_fma_f64 v[122:123], v[43:44], v[56:57], v[122:123]
	v_fma_f64 v[120:121], v[45:46], v[56:57], v[120:121]
	v_fma_f64 v[128:129], v[39:40], v[56:57], v[128:129]
	v_fma_f64 v[56:57], v[41:42], v[56:57], v[130:131]
	v_fma_f64 v[130:131], -v[53:54], v[58:59], v[132:133]
	v_fma_f64 v[124:125], v[51:52], v[58:59], v[124:125]
	v_fma_f64 v[14:15], -v[49:50], v[58:59], v[14:15]
	v_fma_f64 v[126:127], v[47:48], v[58:59], v[126:127]
	v_fma_f64 v[122:123], -v[45:46], v[58:59], v[122:123]
	v_fma_f64 v[120:121], v[43:44], v[58:59], v[120:121]
	v_fma_f64 v[128:129], -v[41:42], v[58:59], v[128:129]
	v_fma_f64 v[132:133], v[39:40], v[58:59], v[56:57]
	s_clause 0x3
	global_load_b128 v[39:42], v[150:151], off offset:240
	global_load_b128 v[43:46], v[150:151], off offset:224
	global_load_b128 v[47:50], v[150:151], off offset:208
	global_load_b128 v[51:54], v[150:151], off offset:192
	global_load_b128 v[56:59], v[138:139], off offset:48
	v_subrev_nc_u32_e32 v150, s12, v152
	s_delay_alu instid0(VALU_DEP_1) | instskip(NEXT) | instid1(VALU_DEP_1)
	v_lshlrev_b32_e32 v150, 2, v150
	v_ashrrev_i32_e32 v151, 31, v150
	s_waitcnt vmcnt(20)
	v_fma_f64 v[136:137], v[72:73], v[76:77], v[130:131]
	v_fma_f64 v[138:139], v[74:75], v[76:77], v[124:125]
	;; [unrolled: 1-line block ×8, first 2 shown]
	s_clause 0x3
	global_load_b128 v[120:123], v[148:149], off offset:48
	global_load_b128 v[124:127], v[148:149], off offset:32
	global_load_b128 v[128:131], v[148:149], off
	global_load_b128 v[132:135], v[148:149], off offset:16
	v_fma_f64 v[74:75], -v[74:75], v[78:79], v[136:137]
	v_fma_f64 v[72:73], v[72:73], v[78:79], v[138:139]
	v_fma_f64 v[14:15], -v[70:71], v[78:79], v[14:15]
	v_fma_f64 v[68:69], v[68:69], v[78:79], v[140:141]
	;; [unrolled: 2-line block ×4, first 2 shown]
	v_lshlrev_b64 v[60:61], 4, v[150:151]
	s_delay_alu instid0(VALU_DEP_1) | instskip(NEXT) | instid1(VALU_DEP_2)
	v_add_co_u32 v140, vcc_lo, s4, v60
	v_add_co_ci_u32_e32 v141, vcc_lo, s5, v61, vcc_lo
	s_clause 0x1
	global_load_b128 v[60:63], v[140:141], off
	global_load_b128 v[64:67], v[140:141], off offset:16
	v_add_co_u32 v25, vcc_lo, 0x80, v25
	v_add_co_ci_u32_e32 v26, vcc_lo, 0, v26, vcc_lo
	v_add_co_u32 v0, vcc_lo, 0x200, v0
	v_add_co_ci_u32_e32 v1, vcc_lo, 0, v1, vcc_lo
	s_delay_alu instid0(VALU_DEP_3)
	v_cmp_ge_i64_e32 vcc_lo, v[25:26], v[27:28]
	s_or_b32 s7, vcc_lo, s7
	s_waitcnt vmcnt(21)
	v_fma_f64 v[74:75], v[88:89], v[96:97], v[74:75]
	v_fma_f64 v[72:73], v[90:91], v[96:97], v[72:73]
	;; [unrolled: 1-line block ×8, first 2 shown]
	v_fma_f64 v[90:91], -v[90:91], v[98:99], v[74:75]
	v_fma_f64 v[88:89], v[88:89], v[98:99], v[72:73]
	v_fma_f64 v[14:15], -v[94:95], v[98:99], v[14:15]
	v_fma_f64 v[92:93], v[92:93], v[98:99], v[68:69]
	;; [unrolled: 2-line block ×4, first 2 shown]
	s_clause 0x3
	global_load_b128 v[68:71], v[148:149], off offset:64
	global_load_b128 v[72:75], v[148:149], off offset:80
	;; [unrolled: 1-line block ×4, first 2 shown]
	s_waitcnt vmcnt(20)
	v_fma_f64 v[90:91], v[112:113], v[116:117], v[90:91]
	v_fma_f64 v[88:89], v[114:115], v[116:117], v[88:89]
	v_fma_f64 v[14:15], v[108:109], v[116:117], v[14:15]
	v_fma_f64 v[92:93], v[110:111], v[116:117], v[92:93]
	v_fma_f64 v[86:87], v[104:105], v[116:117], v[86:87]
	v_fma_f64 v[84:85], v[106:107], v[116:117], v[84:85]
	v_fma_f64 v[94:95], v[100:101], v[116:117], v[94:95]
	v_fma_f64 v[96:97], v[102:103], v[116:117], v[96:97]
	v_fma_f64 v[114:115], -v[114:115], v[118:119], v[90:91]
	v_fma_f64 v[112:113], v[112:113], v[118:119], v[88:89]
	v_fma_f64 v[14:15], -v[110:111], v[118:119], v[14:15]
	v_fma_f64 v[108:109], v[108:109], v[118:119], v[92:93]
	;; [unrolled: 2-line block ×4, first 2 shown]
	s_clause 0x3
	global_load_b128 v[84:87], v[148:149], off offset:176
	global_load_b128 v[88:91], v[148:149], off offset:160
	global_load_b128 v[92:95], v[148:149], off offset:144
	global_load_b128 v[96:99], v[148:149], off offset:128
	s_clause 0x1
	global_load_b128 v[100:103], v[140:141], off offset:32
	global_load_b128 v[104:107], v[140:141], off offset:48
	s_waitcnt vmcnt(21)
	v_fma_f64 v[114:115], v[31:32], v[35:36], v[114:115]
	v_fma_f64 v[112:113], v[33:34], v[35:36], v[112:113]
	;; [unrolled: 1-line block ×8, first 2 shown]
	v_fma_f64 v[114:115], -v[33:34], v[37:38], v[114:115]
	v_fma_f64 v[112:113], v[31:32], v[37:38], v[112:113]
	v_fma_f64 v[14:15], -v[12:13], v[37:38], v[14:15]
	v_fma_f64 v[108:109], v[10:11], v[37:38], v[108:109]
	;; [unrolled: 2-line block ×4, first 2 shown]
	s_clause 0x3
	global_load_b128 v[2:5], v[148:149], off offset:192
	global_load_b128 v[6:9], v[148:149], off offset:208
	global_load_b128 v[10:13], v[148:149], off offset:224
	global_load_b128 v[31:34], v[148:149], off offset:240
	s_waitcnt vmcnt(20)
	v_fma_f64 v[37:38], v[51:52], v[56:57], v[114:115]
	v_fma_f64 v[112:113], v[53:54], v[56:57], v[112:113]
	;; [unrolled: 1-line block ×8, first 2 shown]
	v_fma_f64 v[37:38], -v[53:54], v[58:59], v[37:38]
	v_fma_f64 v[51:52], v[51:52], v[58:59], v[112:113]
	v_fma_f64 v[14:15], -v[49:50], v[58:59], v[14:15]
	v_fma_f64 v[47:48], v[47:48], v[58:59], v[108:109]
	;; [unrolled: 2-line block ×4, first 2 shown]
	s_waitcnt vmcnt(15)
	v_fma_f64 v[37:38], v[128:129], v[60:61], v[37:38]
	v_fma_f64 v[39:40], v[130:131], v[60:61], v[51:52]
	;; [unrolled: 1-line block ×8, first 2 shown]
	v_fma_f64 v[37:38], -v[130:131], v[62:63], v[37:38]
	v_fma_f64 v[39:40], v[128:129], v[62:63], v[39:40]
	v_fma_f64 v[14:15], -v[134:135], v[62:63], v[14:15]
	v_fma_f64 v[47:48], v[132:133], v[62:63], v[47:48]
	;; [unrolled: 2-line block ×4, first 2 shown]
	s_waitcnt vmcnt(13)
	v_fma_f64 v[37:38], v[68:69], v[64:65], v[37:38]
	v_fma_f64 v[39:40], v[70:71], v[64:65], v[39:40]
	s_waitcnt vmcnt(12)
	v_fma_f64 v[14:15], v[72:73], v[64:65], v[14:15]
	v_fma_f64 v[47:48], v[74:75], v[64:65], v[47:48]
	;; [unrolled: 3-line block ×4, first 2 shown]
	v_fma_f64 v[37:38], -v[70:71], v[66:67], v[37:38]
	v_fma_f64 v[39:40], v[68:69], v[66:67], v[39:40]
	v_fma_f64 v[14:15], -v[74:75], v[66:67], v[14:15]
	v_fma_f64 v[47:48], v[72:73], v[66:67], v[47:48]
	;; [unrolled: 2-line block ×4, first 2 shown]
	s_waitcnt vmcnt(5)
	v_fma_f64 v[37:38], v[96:97], v[100:101], v[37:38]
	v_fma_f64 v[39:40], v[98:99], v[100:101], v[39:40]
	;; [unrolled: 1-line block ×8, first 2 shown]
	v_fma_f64 v[37:38], -v[98:99], v[102:103], v[37:38]
	v_fma_f64 v[39:40], v[96:97], v[102:103], v[39:40]
	v_fma_f64 v[14:15], -v[94:95], v[102:103], v[14:15]
	v_fma_f64 v[47:48], v[92:93], v[102:103], v[47:48]
	;; [unrolled: 2-line block ×4, first 2 shown]
	s_waitcnt vmcnt(3)
	v_fma_f64 v[37:38], v[2:3], v[104:105], v[37:38]
	v_fma_f64 v[49:50], v[4:5], v[104:105], v[39:40]
	s_waitcnt vmcnt(2)
	v_fma_f64 v[14:15], v[6:7], v[104:105], v[14:15]
	v_fma_f64 v[47:48], v[8:9], v[104:105], v[47:48]
	;; [unrolled: 3-line block ×4, first 2 shown]
	v_fma_f64 v[39:40], -v[4:5], v[106:107], v[37:38]
	v_fma_f64 v[35:36], v[2:3], v[106:107], v[49:50]
	v_fma_f64 v[45:46], -v[8:9], v[106:107], v[14:15]
	v_fma_f64 v[37:38], v[6:7], v[106:107], v[47:48]
	;; [unrolled: 2-line block ×4, first 2 shown]
	s_and_not1_b32 exec_lo, exec_lo, s7
	s_cbranch_execnz .LBB38_35
; %bb.36:
	s_or_b32 exec_lo, exec_lo, s7
.LBB38_37:
	s_delay_alu instid0(SALU_CYCLE_1)
	s_or_b32 exec_lo, exec_lo, s6
.LBB38_38:
	s_delay_alu instid0(SALU_CYCLE_1)
	s_or_b32 exec_lo, exec_lo, s1
.LBB38_39:
	v_mbcnt_lo_u32_b32 v47, -1, 0
	s_delay_alu instid0(VALU_DEP_1) | instskip(SKIP_1) | instid1(VALU_DEP_2)
	v_xor_b32_e32 v0, 16, v47
	v_xor_b32_e32 v25, 8, v47
	v_cmp_gt_i32_e32 vcc_lo, 32, v0
	v_cndmask_b32_e32 v0, v47, v0, vcc_lo
	s_delay_alu instid0(VALU_DEP_3) | instskip(NEXT) | instid1(VALU_DEP_2)
	v_cmp_gt_i32_e32 vcc_lo, 32, v25
	v_lshlrev_b32_e32 v15, 2, v0
	v_cndmask_b32_e32 v25, v47, v25, vcc_lo
	ds_bpermute_b32 v0, v15, v39
	ds_bpermute_b32 v1, v15, v40
	;; [unrolled: 1-line block ×16, first 2 shown]
	s_waitcnt lgkmcnt(0)
	v_add_f64 v[0:1], v[39:40], v[0:1]
	v_lshlrev_b32_e32 v40, 2, v25
	v_add_f64 v[2:3], v[35:36], v[2:3]
	v_add_f64 v[4:5], v[45:46], v[4:5]
	;; [unrolled: 1-line block ×7, first 2 shown]
	ds_bpermute_b32 v25, v40, v0
	ds_bpermute_b32 v26, v40, v1
	;; [unrolled: 1-line block ×16, first 2 shown]
	s_waitcnt lgkmcnt(14)
	v_add_f64 v[0:1], v[0:1], v[25:26]
	v_xor_b32_e32 v25, 4, v47
	s_waitcnt lgkmcnt(12)
	v_add_f64 v[2:3], v[2:3], v[27:28]
	s_waitcnt lgkmcnt(10)
	v_add_f64 v[4:5], v[4:5], v[29:30]
	;; [unrolled: 2-line block ×3, first 2 shown]
	v_cmp_gt_i32_e32 vcc_lo, 32, v25
	s_waitcnt lgkmcnt(6)
	v_add_f64 v[8:9], v[8:9], v[33:34]
	s_waitcnt lgkmcnt(4)
	v_add_f64 v[10:11], v[10:11], v[35:36]
	;; [unrolled: 2-line block ×3, first 2 shown]
	v_cndmask_b32_e32 v25, v47, v25, vcc_lo
	s_waitcnt lgkmcnt(0)
	v_add_f64 v[14:15], v[14:15], v[39:40]
	s_delay_alu instid0(VALU_DEP_2)
	v_lshlrev_b32_e32 v40, 2, v25
	ds_bpermute_b32 v25, v40, v0
	ds_bpermute_b32 v26, v40, v1
	;; [unrolled: 1-line block ×16, first 2 shown]
	s_waitcnt lgkmcnt(14)
	v_add_f64 v[0:1], v[0:1], v[25:26]
	s_waitcnt lgkmcnt(12)
	v_add_f64 v[2:3], v[2:3], v[27:28]
	;; [unrolled: 2-line block ×8, first 2 shown]
	v_xor_b32_e32 v14, 2, v47
	s_delay_alu instid0(VALU_DEP_1) | instskip(SKIP_1) | instid1(VALU_DEP_1)
	v_cmp_gt_i32_e32 vcc_lo, 32, v14
	v_cndmask_b32_e32 v14, v47, v14, vcc_lo
	v_lshlrev_b32_e32 v40, 2, v14
	ds_bpermute_b32 v14, v40, v0
	ds_bpermute_b32 v15, v40, v1
	;; [unrolled: 1-line block ×16, first 2 shown]
	s_waitcnt lgkmcnt(14)
	v_add_f64 v[0:1], v[0:1], v[14:15]
	s_waitcnt lgkmcnt(12)
	v_add_f64 v[27:28], v[2:3], v[27:28]
	;; [unrolled: 2-line block ×7, first 2 shown]
	v_xor_b32_e32 v12, 1, v47
	s_waitcnt lgkmcnt(0)
	v_add_f64 v[8:9], v[25:26], v[39:40]
	s_delay_alu instid0(VALU_DEP_2) | instskip(SKIP_2) | instid1(VALU_DEP_2)
	v_cmp_gt_i32_e32 vcc_lo, 32, v12
	v_cndmask_b32_e32 v12, v47, v12, vcc_lo
	v_cmp_eq_u32_e32 vcc_lo, 31, v55
	v_lshlrev_b32_e32 v34, 2, v12
	ds_bpermute_b32 v12, v34, v0
	ds_bpermute_b32 v13, v34, v1
	;; [unrolled: 1-line block ×16, first 2 shown]
	s_and_b32 exec_lo, exec_lo, vcc_lo
	s_cbranch_execz .LBB38_12
; %bb.40:
	s_waitcnt lgkmcnt(12)
	v_add_f64 v[27:28], v[27:28], v[39:40]
	s_waitcnt lgkmcnt(8)
	v_add_f64 v[14:15], v[14:15], v[37:38]
	;; [unrolled: 2-line block ×4, first 2 shown]
	v_add_f64 v[0:1], v[0:1], v[12:13]
	v_add_f64 v[2:3], v[2:3], v[25:26]
	;; [unrolled: 1-line block ×4, first 2 shown]
	v_cmp_eq_f64_e32 vcc_lo, 0, v[16:17]
	v_cmp_eq_f64_e64 s0, 0, v[18:19]
	s_load_b64 s[2:3], s[2:3], 0x60
	v_mul_f64 v[4:5], v[27:28], -v[22:23]
	v_mul_f64 v[6:7], v[20:21], v[27:28]
	v_mul_f64 v[27:28], v[14:15], -v[22:23]
	v_mul_f64 v[31:32], v[20:21], v[14:15]
	;; [unrolled: 2-line block ×4, first 2 shown]
	s_and_b32 s0, vcc_lo, s0
	v_fma_f64 v[12:13], v[20:21], v[0:1], v[4:5]
	v_fma_f64 v[14:15], v[22:23], v[0:1], v[6:7]
	;; [unrolled: 1-line block ×8, first 2 shown]
	v_lshlrev_b32_e32 v20, 2, v24
	s_and_saveexec_b32 s1, s0
	s_delay_alu instid0(SALU_CYCLE_1)
	s_xor_b32 s0, exec_lo, s1
	s_cbranch_execz .LBB38_42
; %bb.41:
	s_delay_alu instid0(VALU_DEP_1) | instskip(NEXT) | instid1(VALU_DEP_1)
	v_ashrrev_i32_e32 v21, 31, v20
                                        ; implicit-def: $vgpr18_vgpr19
	v_lshlrev_b64 v[16:17], 4, v[20:21]
                                        ; implicit-def: $vgpr20
	s_waitcnt lgkmcnt(0)
	s_delay_alu instid0(VALU_DEP_1) | instskip(NEXT) | instid1(VALU_DEP_2)
	v_add_co_u32 v16, vcc_lo, s2, v16
	v_add_co_ci_u32_e32 v17, vcc_lo, s3, v17, vcc_lo
	s_clause 0x3
	global_store_b128 v[16:17], v[12:15], off
	global_store_b128 v[16:17], v[8:11], off offset:16
	global_store_b128 v[16:17], v[4:7], off offset:32
	;; [unrolled: 1-line block ×3, first 2 shown]
                                        ; implicit-def: $vgpr16_vgpr17
                                        ; implicit-def: $vgpr12_vgpr13
                                        ; implicit-def: $vgpr8_vgpr9
                                        ; implicit-def: $vgpr4_vgpr5
                                        ; implicit-def: $vgpr0_vgpr1
.LBB38_42:
	s_and_not1_saveexec_b32 s0, s0
	s_cbranch_execz .LBB38_12
; %bb.43:
	v_ashrrev_i32_e32 v21, 31, v20
	s_delay_alu instid0(VALU_DEP_1) | instskip(SKIP_1) | instid1(VALU_DEP_1)
	v_lshlrev_b64 v[20:21], 4, v[20:21]
	s_waitcnt lgkmcnt(0)
	v_add_co_u32 v36, vcc_lo, s2, v20
	s_delay_alu instid0(VALU_DEP_2)
	v_add_co_ci_u32_e32 v37, vcc_lo, s3, v21, vcc_lo
	s_clause 0x3
	global_load_b128 v[20:23], v[36:37], off
	global_load_b128 v[24:27], v[36:37], off offset:16
	global_load_b128 v[28:31], v[36:37], off offset:32
	;; [unrolled: 1-line block ×3, first 2 shown]
	s_waitcnt vmcnt(3)
	v_fma_f64 v[12:13], v[16:17], v[20:21], v[12:13]
	v_fma_f64 v[14:15], v[18:19], v[20:21], v[14:15]
	s_waitcnt vmcnt(2)
	v_fma_f64 v[8:9], v[16:17], v[24:25], v[8:9]
	v_fma_f64 v[10:11], v[18:19], v[24:25], v[10:11]
	;; [unrolled: 3-line block ×4, first 2 shown]
	v_fma_f64 v[0:1], -v[18:19], v[22:23], v[12:13]
	v_fma_f64 v[2:3], v[16:17], v[22:23], v[14:15]
	v_fma_f64 v[4:5], -v[18:19], v[26:27], v[8:9]
	v_fma_f64 v[6:7], v[16:17], v[26:27], v[10:11]
	;; [unrolled: 2-line block ×4, first 2 shown]
	s_clause 0x3
	global_store_b128 v[36:37], v[0:3], off
	global_store_b128 v[36:37], v[4:7], off offset:16
	global_store_b128 v[36:37], v[8:11], off offset:32
	;; [unrolled: 1-line block ×3, first 2 shown]
	s_nop 0
	s_sendmsg sendmsg(MSG_DEALLOC_VGPRS)
	s_endpgm
	.section	.rodata,"a",@progbits
	.p2align	6, 0x0
	.amdhsa_kernel _ZN9rocsparseL18bsrxmvn_4x4_kernelILj128ELj32E21rocsparse_complex_numIdEliS2_S2_S2_EEvT3_20rocsparse_direction_NS_24const_host_device_scalarIT1_EES3_PKS3_PKT2_SC_S9_PKT4_PKT5_S7_PT6_21rocsparse_index_base_b
		.amdhsa_group_segment_fixed_size 2048
		.amdhsa_private_segment_fixed_size 0
		.amdhsa_kernarg_size 112
		.amdhsa_user_sgpr_count 15
		.amdhsa_user_sgpr_dispatch_ptr 1
		.amdhsa_user_sgpr_queue_ptr 0
		.amdhsa_user_sgpr_kernarg_segment_ptr 1
		.amdhsa_user_sgpr_dispatch_id 0
		.amdhsa_user_sgpr_private_segment_size 0
		.amdhsa_wavefront_size32 1
		.amdhsa_uses_dynamic_stack 0
		.amdhsa_enable_private_segment 0
		.amdhsa_system_sgpr_workgroup_id_x 1
		.amdhsa_system_sgpr_workgroup_id_y 0
		.amdhsa_system_sgpr_workgroup_id_z 0
		.amdhsa_system_sgpr_workgroup_info 0
		.amdhsa_system_vgpr_workitem_id 2
		.amdhsa_next_free_vgpr 159
		.amdhsa_next_free_sgpr 18
		.amdhsa_reserve_vcc 1
		.amdhsa_float_round_mode_32 0
		.amdhsa_float_round_mode_16_64 0
		.amdhsa_float_denorm_mode_32 3
		.amdhsa_float_denorm_mode_16_64 3
		.amdhsa_dx10_clamp 1
		.amdhsa_ieee_mode 1
		.amdhsa_fp16_overflow 0
		.amdhsa_workgroup_processor_mode 1
		.amdhsa_memory_ordered 1
		.amdhsa_forward_progress 0
		.amdhsa_shared_vgpr_count 0
		.amdhsa_exception_fp_ieee_invalid_op 0
		.amdhsa_exception_fp_denorm_src 0
		.amdhsa_exception_fp_ieee_div_zero 0
		.amdhsa_exception_fp_ieee_overflow 0
		.amdhsa_exception_fp_ieee_underflow 0
		.amdhsa_exception_fp_ieee_inexact 0
		.amdhsa_exception_int_div_zero 0
	.end_amdhsa_kernel
	.section	.text._ZN9rocsparseL18bsrxmvn_4x4_kernelILj128ELj32E21rocsparse_complex_numIdEliS2_S2_S2_EEvT3_20rocsparse_direction_NS_24const_host_device_scalarIT1_EES3_PKS3_PKT2_SC_S9_PKT4_PKT5_S7_PT6_21rocsparse_index_base_b,"axG",@progbits,_ZN9rocsparseL18bsrxmvn_4x4_kernelILj128ELj32E21rocsparse_complex_numIdEliS2_S2_S2_EEvT3_20rocsparse_direction_NS_24const_host_device_scalarIT1_EES3_PKS3_PKT2_SC_S9_PKT4_PKT5_S7_PT6_21rocsparse_index_base_b,comdat
.Lfunc_end38:
	.size	_ZN9rocsparseL18bsrxmvn_4x4_kernelILj128ELj32E21rocsparse_complex_numIdEliS2_S2_S2_EEvT3_20rocsparse_direction_NS_24const_host_device_scalarIT1_EES3_PKS3_PKT2_SC_S9_PKT4_PKT5_S7_PT6_21rocsparse_index_base_b, .Lfunc_end38-_ZN9rocsparseL18bsrxmvn_4x4_kernelILj128ELj32E21rocsparse_complex_numIdEliS2_S2_S2_EEvT3_20rocsparse_direction_NS_24const_host_device_scalarIT1_EES3_PKS3_PKT2_SC_S9_PKT4_PKT5_S7_PT6_21rocsparse_index_base_b
                                        ; -- End function
	.section	.AMDGPU.csdata,"",@progbits
; Kernel info:
; codeLenInByte = 11516
; NumSgprs: 20
; NumVgprs: 159
; ScratchSize: 0
; MemoryBound: 1
; FloatMode: 240
; IeeeMode: 1
; LDSByteSize: 2048 bytes/workgroup (compile time only)
; SGPRBlocks: 2
; VGPRBlocks: 19
; NumSGPRsForWavesPerEU: 20
; NumVGPRsForWavesPerEU: 159
; Occupancy: 9
; WaveLimiterHint : 1
; COMPUTE_PGM_RSRC2:SCRATCH_EN: 0
; COMPUTE_PGM_RSRC2:USER_SGPR: 15
; COMPUTE_PGM_RSRC2:TRAP_HANDLER: 0
; COMPUTE_PGM_RSRC2:TGID_X_EN: 1
; COMPUTE_PGM_RSRC2:TGID_Y_EN: 0
; COMPUTE_PGM_RSRC2:TGID_Z_EN: 0
; COMPUTE_PGM_RSRC2:TIDIG_COMP_CNT: 2
	.section	.text._ZN9rocsparseL18bsrxmvn_4x4_kernelILj128ELj64E21rocsparse_complex_numIdEliS2_S2_S2_EEvT3_20rocsparse_direction_NS_24const_host_device_scalarIT1_EES3_PKS3_PKT2_SC_S9_PKT4_PKT5_S7_PT6_21rocsparse_index_base_b,"axG",@progbits,_ZN9rocsparseL18bsrxmvn_4x4_kernelILj128ELj64E21rocsparse_complex_numIdEliS2_S2_S2_EEvT3_20rocsparse_direction_NS_24const_host_device_scalarIT1_EES3_PKS3_PKT2_SC_S9_PKT4_PKT5_S7_PT6_21rocsparse_index_base_b,comdat
	.globl	_ZN9rocsparseL18bsrxmvn_4x4_kernelILj128ELj64E21rocsparse_complex_numIdEliS2_S2_S2_EEvT3_20rocsparse_direction_NS_24const_host_device_scalarIT1_EES3_PKS3_PKT2_SC_S9_PKT4_PKT5_S7_PT6_21rocsparse_index_base_b ; -- Begin function _ZN9rocsparseL18bsrxmvn_4x4_kernelILj128ELj64E21rocsparse_complex_numIdEliS2_S2_S2_EEvT3_20rocsparse_direction_NS_24const_host_device_scalarIT1_EES3_PKS3_PKT2_SC_S9_PKT4_PKT5_S7_PT6_21rocsparse_index_base_b
	.p2align	8
	.type	_ZN9rocsparseL18bsrxmvn_4x4_kernelILj128ELj64E21rocsparse_complex_numIdEliS2_S2_S2_EEvT3_20rocsparse_direction_NS_24const_host_device_scalarIT1_EES3_PKS3_PKT2_SC_S9_PKT4_PKT5_S7_PT6_21rocsparse_index_base_b,@function
_ZN9rocsparseL18bsrxmvn_4x4_kernelILj128ELj64E21rocsparse_complex_numIdEliS2_S2_S2_EEvT3_20rocsparse_direction_NS_24const_host_device_scalarIT1_EES3_PKS3_PKT2_SC_S9_PKT4_PKT5_S7_PT6_21rocsparse_index_base_b: ; @_ZN9rocsparseL18bsrxmvn_4x4_kernelILj128ELj64E21rocsparse_complex_numIdEliS2_S2_S2_EEvT3_20rocsparse_direction_NS_24const_host_device_scalarIT1_EES3_PKS3_PKT2_SC_S9_PKT4_PKT5_S7_PT6_21rocsparse_index_base_b
; %bb.0:
	s_load_b64 s[12:13], s[2:3], 0x68
	s_load_b64 s[16:17], s[0:1], 0x4
	s_load_b128 s[8:11], s[2:3], 0x8
	v_bfe_u32 v2, v0, 10, 10
	s_mov_b64 s[0:1], src_shared_base
	s_load_b128 s[4:7], s[2:3], 0x50
	v_and_b32_e32 v1, 0x3ff, v0
	v_bfe_u32 v0, v0, 20, 10
	s_waitcnt lgkmcnt(0)
	s_bitcmp1_b32 s13, 0
	v_mul_u32_u24_e32 v2, s17, v2
	s_cselect_b32 s0, -1, 0
	v_mov_b32_e32 v23, s11
	s_and_b32 vcc_lo, s0, exec_lo
	s_cselect_b32 s13, s1, s9
	s_lshr_b32 s14, s16, 16
	v_dual_mov_b32 v4, s4 :: v_dual_mov_b32 v5, s5
	s_mul_i32 s14, s14, s17
	v_dual_mov_b32 v7, s13 :: v_dual_mov_b32 v22, s10
	v_mad_u32_u24 v2, s14, v1, v2
	s_xor_b32 s10, s0, -1
	s_delay_alu instid0(VALU_DEP_1) | instskip(SKIP_1) | instid1(VALU_DEP_2)
	v_add_lshl_u32 v0, v2, v0, 3
	v_dual_mov_b32 v2, s8 :: v_dual_mov_b32 v3, s9
	v_add_nc_u32_e32 v6, 0x400, v0
	ds_store_2addr_stride64_b64 v0, v[4:5], v[2:3] offset1:2
	v_cndmask_b32_e64 v6, s8, v6, s0
	flat_load_b64 v[20:21], v[6:7]
	s_cbranch_vccnz .LBB39_2
; %bb.1:
	v_dual_mov_b32 v2, s8 :: v_dual_mov_b32 v3, s9
	flat_load_b64 v[22:23], v[2:3] offset:8
.LBB39_2:
	s_and_b32 s8, s0, exec_lo
	s_cselect_b32 s1, s1, s5
	v_cndmask_b32_e64 v2, s4, v0, s0
	v_mov_b32_e32 v3, s1
	v_dual_mov_b32 v19, s7 :: v_dual_mov_b32 v18, s6
	s_and_not1_b32 vcc_lo, exec_lo, s10
	flat_load_b64 v[16:17], v[2:3]
	s_cbranch_vccnz .LBB39_4
; %bb.3:
	v_dual_mov_b32 v2, s4 :: v_dual_mov_b32 v3, s5
	flat_load_b64 v[18:19], v[2:3] offset:8
.LBB39_4:
	s_waitcnt vmcnt(1) lgkmcnt(1)
	v_cmp_eq_f64_e32 vcc_lo, 0, v[20:21]
	v_cmp_eq_f64_e64 s0, 0, v[22:23]
	s_delay_alu instid0(VALU_DEP_1)
	s_and_b32 s4, vcc_lo, s0
	s_mov_b32 s0, -1
	s_and_saveexec_b32 s1, s4
	s_cbranch_execz .LBB39_6
; %bb.5:
	s_waitcnt vmcnt(0) lgkmcnt(0)
	v_cmp_neq_f64_e32 vcc_lo, 1.0, v[16:17]
	v_cmp_neq_f64_e64 s0, 0, v[18:19]
	s_delay_alu instid0(VALU_DEP_1) | instskip(NEXT) | instid1(SALU_CYCLE_1)
	s_or_b32 s0, vcc_lo, s0
	s_or_not1_b32 s0, s0, exec_lo
.LBB39_6:
	s_or_b32 exec_lo, exec_lo, s1
	s_and_saveexec_b32 s1, s0
	s_cbranch_execz .LBB39_12
; %bb.7:
	s_clause 0x1
	s_load_b64 s[4:5], s[2:3], 0x20
	s_load_b64 s[0:1], s[2:3], 0x0
	v_lshrrev_b32_e32 v0, 6, v1
	s_delay_alu instid0(VALU_DEP_1)
	v_lshl_or_b32 v24, s15, 1, v0
	s_waitcnt lgkmcnt(0)
	s_cmp_lg_u64 s[4:5], 0
	s_cbranch_scc0 .LBB39_13
; %bb.8:
	s_load_b32 s6, s[2:3], 0x18
	s_mov_b32 s7, 0
                                        ; implicit-def: $vgpr0
	s_waitcnt lgkmcnt(0)
	v_cmp_gt_i32_e32 vcc_lo, s6, v24
	s_mov_b32 s6, 0
	s_and_saveexec_b32 s8, vcc_lo
	s_delay_alu instid0(SALU_CYCLE_1)
	s_xor_b32 s8, exec_lo, s8
	s_cbranch_execz .LBB39_10
; %bb.9:
	v_ashrrev_i32_e32 v25, 31, v24
	s_mov_b32 s6, exec_lo
	s_delay_alu instid0(VALU_DEP_1) | instskip(NEXT) | instid1(VALU_DEP_1)
	v_lshlrev_b64 v[2:3], 2, v[24:25]
	v_add_co_u32 v2, vcc_lo, s4, v2
	s_delay_alu instid0(VALU_DEP_2)
	v_add_co_ci_u32_e32 v3, vcc_lo, s5, v3, vcc_lo
	global_load_b32 v0, v[2:3], off
	s_waitcnt vmcnt(0)
	v_subrev_nc_u32_e32 v0, s12, v0
.LBB39_10:
	s_or_b32 exec_lo, exec_lo, s8
	s_delay_alu instid0(SALU_CYCLE_1)
	s_and_b32 vcc_lo, exec_lo, s7
	s_cbranch_vccz .LBB39_14
.LBB39_11:
	v_cmp_gt_i32_e32 vcc_lo, s0, v24
	s_and_not1_b32 s0, s6, exec_lo
	s_and_b32 s4, vcc_lo, exec_lo
	s_delay_alu instid0(SALU_CYCLE_1) | instskip(NEXT) | instid1(SALU_CYCLE_1)
	s_or_b32 s6, s0, s4
	s_and_b32 exec_lo, exec_lo, s6
	s_cbranch_execnz .LBB39_15
.LBB39_12:
	s_nop 0
	s_sendmsg sendmsg(MSG_DEALLOC_VGPRS)
	s_endpgm
.LBB39_13:
	s_mov_b32 s6, 0
                                        ; implicit-def: $vgpr0
	s_cbranch_execnz .LBB39_11
.LBB39_14:
	s_delay_alu instid0(VALU_DEP_1)
	v_mov_b32_e32 v24, v0
	s_and_b32 exec_lo, exec_lo, s6
	s_cbranch_execz .LBB39_12
.LBB39_15:
	s_load_b256 s[4:11], s[2:3], 0x28
	s_delay_alu instid0(VALU_DEP_1) | instskip(SKIP_1) | instid1(VALU_DEP_2)
	v_ashrrev_i32_e32 v25, 31, v24
	v_and_b32_e32 v55, 63, v1
	v_lshlrev_b64 v[2:3], 3, v[24:25]
	s_waitcnt lgkmcnt(0)
	s_delay_alu instid0(VALU_DEP_1) | instskip(NEXT) | instid1(VALU_DEP_2)
	v_add_co_u32 v4, vcc_lo, s4, v2
	v_add_co_ci_u32_e32 v5, vcc_lo, s5, v3, vcc_lo
	v_add_co_u32 v0, vcc_lo, s6, v2
	v_add_co_ci_u32_e32 v2, vcc_lo, s7, v3, vcc_lo
	s_delay_alu instid0(VALU_DEP_4)
	v_add_co_u32 v6, vcc_lo, v4, 8
	global_load_b64 v[47:48], v[4:5], off
	v_add_co_ci_u32_e32 v3, vcc_lo, 0, v5, vcc_lo
	s_cmp_eq_u64 s[6:7], 0
	s_load_b64 s[4:5], s[2:3], 0x48
	s_cselect_b32 vcc_lo, -1, 0
	s_cmp_eq_u32 s1, 1
	v_dual_cndmask_b32 v3, v2, v3 :: v_dual_cndmask_b32 v2, v0, v6
	global_load_b64 v[2:3], v[2:3], off
	s_waitcnt vmcnt(1)
	v_sub_co_u32 v0, vcc_lo, v47, s12
	v_subrev_co_ci_u32_e32 v1, vcc_lo, 0, v48, vcc_lo
	s_delay_alu instid0(VALU_DEP_2) | instskip(NEXT) | instid1(VALU_DEP_2)
	v_add_co_u32 v25, vcc_lo, v0, v55
	v_add_co_ci_u32_e32 v26, vcc_lo, 0, v1, vcc_lo
	s_delay_alu instid0(VALU_DEP_1) | instskip(SKIP_3) | instid1(VALU_DEP_3)
	v_lshlrev_b64 v[0:1], 8, v[25:26]
	s_waitcnt vmcnt(0)
	v_sub_co_u32 v27, vcc_lo, v2, s12
	v_subrev_co_ci_u32_e32 v28, vcc_lo, 0, v3, vcc_lo
	v_add_co_u32 v29, vcc_lo, s10, v0
	s_delay_alu instid0(VALU_DEP_2)
	v_cmp_lt_i64_e64 s0, v[25:26], v[27:28]
	v_add_co_ci_u32_e32 v30, vcc_lo, s11, v1, vcc_lo
	s_cbranch_scc1 .LBB39_27
; %bb.16:
	v_mov_b32_e32 v35, 0
	v_mov_b32_e32 v36, 0
	s_delay_alu instid0(VALU_DEP_2) | instskip(NEXT) | instid1(VALU_DEP_2)
	v_mov_b32_e32 v33, v35
	v_dual_mov_b32 v31, v35 :: v_dual_mov_b32 v32, v36
	v_dual_mov_b32 v40, v36 :: v_dual_mov_b32 v39, v35
	v_mov_b32_e32 v34, v36
	v_dual_mov_b32 v42, v36 :: v_dual_mov_b32 v41, v35
	v_dual_mov_b32 v44, v36 :: v_dual_mov_b32 v43, v35
	;; [unrolled: 1-line block ×4, first 2 shown]
	s_and_saveexec_b32 s6, s0
	s_cbranch_execz .LBB39_26
; %bb.17:
	v_or_b32_e32 v0, 64, v55
	v_not_b32_e32 v3, v47
	v_not_b32_e32 v2, v48
	v_mov_b32_e32 v52, v26
	s_mov_b32 s10, 0
	v_sub_co_u32 v0, s1, v0, s12
	s_delay_alu instid0(VALU_DEP_1) | instskip(SKIP_1) | instid1(VALU_DEP_3)
	v_sub_co_ci_u32_e64 v1, null, 0, 0, s1
	v_sub_co_u32 v4, s1, s12, v55
	v_add_co_u32 v0, vcc_lo, v0, v47
	s_delay_alu instid0(VALU_DEP_3) | instskip(SKIP_2) | instid1(VALU_DEP_2)
	v_add_co_ci_u32_e32 v1, vcc_lo, v1, v48, vcc_lo
	v_sub_co_ci_u32_e64 v5, null, 0, 0, s1
	s_mov_b32 s7, exec_lo
	v_cmp_gt_i64_e32 vcc_lo, v[0:1], v[27:28]
	v_mov_b32_e32 v51, v25
	v_dual_cndmask_b32 v1, v28, v1 :: v_dual_cndmask_b32 v0, v27, v0
	v_add_co_u32 v3, vcc_lo, v4, v3
	v_add_co_ci_u32_e32 v2, vcc_lo, v5, v2, vcc_lo
	s_delay_alu instid0(VALU_DEP_2) | instskip(NEXT) | instid1(VALU_DEP_2)
	v_add_co_u32 v0, vcc_lo, v3, v0
	v_add_co_ci_u32_e32 v1, vcc_lo, v2, v1, vcc_lo
	s_delay_alu instid0(VALU_DEP_2) | instskip(SKIP_3) | instid1(VALU_DEP_3)
	v_lshrrev_b32_e32 v2, 6, v0
	v_mov_b32_e32 v37, 0
	v_mov_b32_e32 v38, 0
	v_dual_mov_b32 v50, v30 :: v_dual_mov_b32 v49, v29
	v_dual_mov_b32 v31, v37 :: v_dual_add_nc_u32 v2, 1, v2
	s_delay_alu instid0(VALU_DEP_3) | instskip(SKIP_1) | instid1(VALU_DEP_3)
	v_dual_mov_b32 v33, v37 :: v_dual_mov_b32 v46, v38
	v_mov_b32_e32 v44, v38
	v_and_b32_e32 v2, 3, v2
	v_mov_b32_e32 v42, v38
	v_dual_mov_b32 v34, v38 :: v_dual_mov_b32 v35, v37
	v_dual_mov_b32 v40, v38 :: v_dual_mov_b32 v45, v37
	v_mov_b32_e32 v43, v37
	v_dual_mov_b32 v41, v37 :: v_dual_mov_b32 v32, v38
	v_dual_mov_b32 v39, v37 :: v_dual_mov_b32 v36, v38
	v_cmpx_ne_u32_e32 0, v2
	s_cbranch_execz .LBB39_21
; %bb.18:
	v_lshlrev_b64 v[4:5], 2, v[25:26]
	v_dual_mov_b32 v35, 0 :: v_dual_lshlrev_b32 v2, 2, v2
	v_dual_mov_b32 v3, 0 :: v_dual_mov_b32 v36, 0
	v_dual_mov_b32 v52, v26 :: v_dual_mov_b32 v51, v25
	s_delay_alu instid0(VALU_DEP_4)
	v_add_co_u32 v4, vcc_lo, s8, v4
	v_add_co_ci_u32_e32 v5, vcc_lo, s9, v5, vcc_lo
	v_dual_mov_b32 v50, v30 :: v_dual_mov_b32 v49, v29
	v_dual_mov_b32 v40, v36 :: v_dual_mov_b32 v39, v35
	;; [unrolled: 1-line block ×8, first 2 shown]
.LBB39_19:                              ; =>This Inner Loop Header: Depth=1
	global_load_b32 v14, v[4:5], off
	s_clause 0x7
	global_load_b128 v[6:9], v[49:50], off offset:16
	global_load_b128 v[10:13], v[49:50], off
	global_load_b128 v[56:59], v[49:50], off offset:80
	global_load_b128 v[60:63], v[49:50], off offset:64
	;; [unrolled: 1-line block ×6, first 2 shown]
	v_add_co_u32 v4, s1, 0x100, v4
	s_delay_alu instid0(VALU_DEP_1) | instskip(SKIP_2) | instid1(VALU_DEP_1)
	v_add_co_ci_u32_e64 v5, s1, 0, v5, s1
	s_waitcnt vmcnt(8)
	v_subrev_nc_u32_e32 v14, s12, v14
	v_lshlrev_b32_e32 v14, 2, v14
	s_delay_alu instid0(VALU_DEP_1) | instskip(NEXT) | instid1(VALU_DEP_1)
	v_ashrrev_i32_e32 v15, 31, v14
	v_lshlrev_b64 v[14:15], 4, v[14:15]
	s_waitcnt lgkmcnt(0)
	s_delay_alu instid0(VALU_DEP_1) | instskip(NEXT) | instid1(VALU_DEP_2)
	v_add_co_u32 v14, vcc_lo, s4, v14
	v_add_co_ci_u32_e32 v15, vcc_lo, s5, v15, vcc_lo
	s_clause 0x1
	global_load_b128 v[80:83], v[14:15], off
	global_load_b128 v[84:87], v[14:15], off offset:16
	s_clause 0x7
	global_load_b128 v[88:91], v[49:50], off offset:48
	global_load_b128 v[92:95], v[49:50], off offset:32
	;; [unrolled: 1-line block ×8, first 2 shown]
	s_clause 0x1
	global_load_b128 v[120:123], v[14:15], off offset:32
	global_load_b128 v[124:127], v[14:15], off offset:48
	v_add_co_u32 v49, vcc_lo, 0x4000, v49
	v_add_co_ci_u32_e32 v50, vcc_lo, 0, v50, vcc_lo
	v_add_co_u32 v2, vcc_lo, v2, -4
	v_add_co_ci_u32_e32 v3, vcc_lo, -1, v3, vcc_lo
	v_add_co_u32 v51, vcc_lo, v51, 64
	v_add_co_ci_u32_e32 v52, vcc_lo, 0, v52, vcc_lo
	s_delay_alu instid0(VALU_DEP_3)
	v_cmp_eq_u64_e32 vcc_lo, 0, v[2:3]
	s_or_b32 s10, vcc_lo, s10
	s_waitcnt vmcnt(11)
	v_fma_f64 v[14:15], v[10:11], v[80:81], v[39:40]
	v_fma_f64 v[35:36], v[12:13], v[80:81], v[35:36]
	v_fma_f64 v[39:40], v[60:61], v[80:81], v[45:46]
	v_fma_f64 v[37:38], v[62:63], v[80:81], v[37:38]
	v_fma_f64 v[41:42], v[68:69], v[80:81], v[41:42]
	v_fma_f64 v[43:44], v[70:71], v[80:81], v[43:44]
	v_fma_f64 v[33:34], v[76:77], v[80:81], v[33:34]
	v_fma_f64 v[31:32], v[78:79], v[80:81], v[31:32]
	v_fma_f64 v[12:13], -v[12:13], v[82:83], v[14:15]
	v_fma_f64 v[10:11], v[10:11], v[82:83], v[35:36]
	v_fma_f64 v[14:15], -v[62:63], v[82:83], v[39:40]
	v_fma_f64 v[35:36], v[60:61], v[82:83], v[37:38]
	v_fma_f64 v[37:38], -v[70:71], v[82:83], v[41:42]
	v_fma_f64 v[39:40], v[68:69], v[82:83], v[43:44]
	v_fma_f64 v[33:34], -v[78:79], v[82:83], v[33:34]
	v_fma_f64 v[31:32], v[76:77], v[82:83], v[31:32]
	s_waitcnt vmcnt(10)
	v_fma_f64 v[12:13], v[6:7], v[84:85], v[12:13]
	v_fma_f64 v[10:11], v[8:9], v[84:85], v[10:11]
	v_fma_f64 v[14:15], v[56:57], v[84:85], v[14:15]
	v_fma_f64 v[35:36], v[58:59], v[84:85], v[35:36]
	v_fma_f64 v[37:38], v[64:65], v[84:85], v[37:38]
	v_fma_f64 v[39:40], v[66:67], v[84:85], v[39:40]
	v_fma_f64 v[33:34], v[72:73], v[84:85], v[33:34]
	v_fma_f64 v[31:32], v[74:75], v[84:85], v[31:32]
	v_fma_f64 v[8:9], -v[8:9], v[86:87], v[12:13]
	v_fma_f64 v[6:7], v[6:7], v[86:87], v[10:11]
	v_fma_f64 v[10:11], -v[58:59], v[86:87], v[14:15]
	v_fma_f64 v[12:13], v[56:57], v[86:87], v[35:36]
	v_fma_f64 v[14:15], -v[66:67], v[86:87], v[37:38]
	v_fma_f64 v[35:36], v[64:65], v[86:87], v[39:40]
	v_fma_f64 v[33:34], -v[74:75], v[86:87], v[33:34]
	v_fma_f64 v[31:32], v[72:73], v[86:87], v[31:32]
	;; [unrolled: 17-line block ×4, first 2 shown]
	s_and_not1_b32 exec_lo, exec_lo, s10
	s_cbranch_execnz .LBB39_19
; %bb.20:
	s_or_b32 exec_lo, exec_lo, s10
.LBB39_21:
	s_delay_alu instid0(SALU_CYCLE_1) | instskip(NEXT) | instid1(SALU_CYCLE_1)
	s_or_b32 exec_lo, exec_lo, s7
	s_mov_b32 s7, exec_lo
	v_cmpx_lt_u64_e32 0xbf, v[0:1]
	s_cbranch_execz .LBB39_25
; %bb.22:
	v_lshlrev_b64 v[0:1], 2, v[51:52]
	s_mov_b32 s10, 0
	s_delay_alu instid0(VALU_DEP_1) | instskip(NEXT) | instid1(VALU_DEP_2)
	v_add_co_u32 v0, vcc_lo, v0, s8
	v_add_co_ci_u32_e32 v1, vcc_lo, s9, v1, vcc_lo
	s_delay_alu instid0(VALU_DEP_2) | instskip(NEXT) | instid1(VALU_DEP_2)
	v_add_co_u32 v53, vcc_lo, 0x200, v0
	v_add_co_ci_u32_e32 v54, vcc_lo, 0, v1, vcc_lo
.LBB39_23:                              ; =>This Inner Loop Header: Depth=1
	s_clause 0x1
	global_load_b32 v56, v[53:54], off offset:-512
	global_load_b32 v57, v[53:54], off offset:-256
	s_clause 0x3
	global_load_b128 v[12:15], v[49:50], off
	global_load_b128 v[8:11], v[49:50], off offset:64
	global_load_b128 v[4:7], v[49:50], off offset:128
	;; [unrolled: 1-line block ×3, first 2 shown]
	s_clause 0x1
	global_load_b32 v156, v[53:54], off
	global_load_b32 v158, v[53:54], off offset:256
	s_waitcnt vmcnt(7)
	v_subrev_nc_u32_e32 v56, s12, v56
	s_delay_alu instid0(VALU_DEP_1)
	v_lshlrev_b32_e32 v58, 2, v56
	s_waitcnt vmcnt(6)
	v_subrev_nc_u32_e32 v56, s12, v57
	s_waitcnt vmcnt(1)
	v_subrev_nc_u32_e32 v156, s12, v156
	v_ashrrev_i32_e32 v59, 31, v58
	s_delay_alu instid0(VALU_DEP_3) | instskip(NEXT) | instid1(VALU_DEP_3)
	v_lshlrev_b32_e32 v56, 2, v56
	v_lshlrev_b32_e32 v156, 2, v156
	s_delay_alu instid0(VALU_DEP_3) | instskip(NEXT) | instid1(VALU_DEP_3)
	v_lshlrev_b64 v[58:59], 4, v[58:59]
	v_ashrrev_i32_e32 v57, 31, v56
	s_delay_alu instid0(VALU_DEP_3) | instskip(NEXT) | instid1(VALU_DEP_2)
	v_ashrrev_i32_e32 v157, 31, v156
	v_lshlrev_b64 v[56:57], 4, v[56:57]
	s_waitcnt lgkmcnt(0)
	s_delay_alu instid0(VALU_DEP_4)
	v_add_co_u32 v118, vcc_lo, s4, v58
	v_add_co_ci_u32_e32 v119, vcc_lo, s5, v59, vcc_lo
	v_add_co_u32 v142, vcc_lo, 0x4000, v49
	global_load_b128 v[58:61], v[118:119], off
	s_clause 0x3
	global_load_b128 v[62:65], v[49:50], off offset:16
	global_load_b128 v[66:69], v[49:50], off offset:80
	global_load_b128 v[70:73], v[49:50], off offset:144
	global_load_b128 v[74:77], v[49:50], off offset:208
	global_load_b128 v[78:81], v[118:119], off offset:16
	s_clause 0x3
	global_load_b128 v[82:85], v[49:50], off offset:96
	global_load_b128 v[86:89], v[49:50], off offset:160
	global_load_b128 v[90:93], v[49:50], off offset:224
	global_load_b128 v[94:97], v[49:50], off offset:32
	global_load_b128 v[98:101], v[118:119], off offset:32
	s_clause 0x3
	global_load_b128 v[102:105], v[49:50], off offset:48
	global_load_b128 v[106:109], v[49:50], off offset:112
	global_load_b128 v[110:113], v[49:50], off offset:176
	global_load_b128 v[114:117], v[49:50], off offset:240
	global_load_b128 v[118:121], v[118:119], off offset:48
	v_add_co_ci_u32_e32 v143, vcc_lo, 0, v50, vcc_lo
	v_add_co_u32 v144, vcc_lo, s4, v56
	v_add_co_ci_u32_e32 v145, vcc_lo, s5, v57, vcc_lo
	s_clause 0x3
	global_load_b128 v[122:125], v[142:143], off
	global_load_b128 v[126:129], v[142:143], off offset:64
	global_load_b128 v[130:133], v[142:143], off offset:128
	;; [unrolled: 1-line block ×3, first 2 shown]
	v_add_co_u32 v154, vcc_lo, 0x8000, v49
	global_load_b128 v[138:141], v[144:145], off
	v_add_co_ci_u32_e32 v155, vcc_lo, 0, v50, vcc_lo
	s_waitcnt vmcnt(20)
	v_fma_f64 v[39:40], v[12:13], v[58:59], v[39:40]
	v_fma_f64 v[35:36], v[14:15], v[58:59], v[35:36]
	v_fma_f64 v[45:46], v[8:9], v[58:59], v[45:46]
	v_fma_f64 v[37:38], v[10:11], v[58:59], v[37:38]
	v_fma_f64 v[41:42], v[4:5], v[58:59], v[41:42]
	v_fma_f64 v[43:44], v[6:7], v[58:59], v[43:44]
	v_fma_f64 v[33:34], v[0:1], v[58:59], v[33:34]
	v_fma_f64 v[31:32], v[2:3], v[58:59], v[31:32]
	v_fma_f64 v[39:40], -v[14:15], v[60:61], v[39:40]
	v_fma_f64 v[35:36], v[12:13], v[60:61], v[35:36]
	v_fma_f64 v[45:46], -v[10:11], v[60:61], v[45:46]
	v_fma_f64 v[37:38], v[8:9], v[60:61], v[37:38]
	v_fma_f64 v[41:42], -v[6:7], v[60:61], v[41:42]
	v_fma_f64 v[43:44], v[4:5], v[60:61], v[43:44]
	v_fma_f64 v[56:57], -v[2:3], v[60:61], v[33:34]
	v_fma_f64 v[58:59], v[0:1], v[60:61], v[31:32]
	s_clause 0x3
	global_load_b128 v[0:3], v[142:143], off offset:16
	global_load_b128 v[4:7], v[142:143], off offset:80
	global_load_b128 v[8:11], v[142:143], off offset:144
	global_load_b128 v[12:15], v[142:143], off offset:208
	global_load_b128 v[31:34], v[144:145], off offset:16
	s_waitcnt vmcnt(20)
	v_fma_f64 v[39:40], v[62:63], v[78:79], v[39:40]
	v_fma_f64 v[35:36], v[64:65], v[78:79], v[35:36]
	v_fma_f64 v[45:46], v[66:67], v[78:79], v[45:46]
	v_fma_f64 v[37:38], v[68:69], v[78:79], v[37:38]
	v_fma_f64 v[41:42], v[70:71], v[78:79], v[41:42]
	v_fma_f64 v[43:44], v[72:73], v[78:79], v[43:44]
	v_fma_f64 v[56:57], v[74:75], v[78:79], v[56:57]
	v_fma_f64 v[58:59], v[76:77], v[78:79], v[58:59]
	v_fma_f64 v[64:65], -v[64:65], v[80:81], v[39:40]
	v_fma_f64 v[78:79], v[62:63], v[80:81], v[35:36]
	v_fma_f64 v[68:69], -v[68:69], v[80:81], v[45:46]
	v_fma_f64 v[66:67], v[66:67], v[80:81], v[37:38]
	v_fma_f64 v[72:73], -v[72:73], v[80:81], v[41:42]
	v_fma_f64 v[70:71], v[70:71], v[80:81], v[43:44]
	v_fma_f64 v[76:77], -v[76:77], v[80:81], v[56:57]
	v_fma_f64 v[74:75], v[74:75], v[80:81], v[58:59]
	s_clause 0x3
	global_load_b128 v[35:38], v[142:143], off offset:96
	global_load_b128 v[39:42], v[142:143], off offset:160
	global_load_b128 v[43:46], v[142:143], off offset:224
	global_load_b128 v[56:59], v[142:143], off offset:32
	global_load_b128 v[60:63], v[144:145], off offset:32
	;; [unrolled: 23-line block ×3, first 2 shown]
	s_waitcnt vmcnt(20)
	v_fma_f64 v[100:101], v[102:103], v[118:119], v[96:97]
	v_fma_f64 v[142:143], v[104:105], v[118:119], v[94:95]
	;; [unrolled: 1-line block ×8, first 2 shown]
	s_clause 0x3
	global_load_b128 v[84:87], v[154:155], off
	global_load_b128 v[88:91], v[154:155], off offset:64
	global_load_b128 v[92:95], v[154:155], off offset:128
	;; [unrolled: 1-line block ×3, first 2 shown]
	v_fma_f64 v[104:105], -v[104:105], v[120:121], v[100:101]
	v_fma_f64 v[142:143], v[102:103], v[120:121], v[142:143]
	v_fma_f64 v[108:109], -v[108:109], v[120:121], v[144:145]
	v_fma_f64 v[106:107], v[106:107], v[120:121], v[146:147]
	;; [unrolled: 2-line block ×4, first 2 shown]
	v_lshlrev_b64 v[100:101], 4, v[156:157]
	v_subrev_nc_u32_e32 v156, s12, v158
	s_delay_alu instid0(VALU_DEP_2) | instskip(NEXT) | instid1(VALU_DEP_3)
	v_add_co_u32 v144, vcc_lo, s4, v100
	v_add_co_ci_u32_e32 v145, vcc_lo, s5, v101, vcc_lo
	s_delay_alu instid0(VALU_DEP_3)
	v_lshlrev_b32_e32 v156, 2, v156
	global_load_b128 v[100:103], v[144:145], off
	v_ashrrev_i32_e32 v157, 31, v156
	s_waitcnt vmcnt(20)
	v_fma_f64 v[104:105], v[122:123], v[138:139], v[104:105]
	v_fma_f64 v[118:119], v[124:125], v[138:139], v[142:143]
	v_fma_f64 v[108:109], v[126:127], v[138:139], v[108:109]
	v_fma_f64 v[106:107], v[128:129], v[138:139], v[106:107]
	v_fma_f64 v[112:113], v[130:131], v[138:139], v[112:113]
	v_fma_f64 v[110:111], v[132:133], v[138:139], v[110:111]
	v_fma_f64 v[116:117], v[134:135], v[138:139], v[116:117]
	v_fma_f64 v[114:115], v[136:137], v[138:139], v[114:115]
	v_fma_f64 v[124:125], -v[124:125], v[140:141], v[104:105]
	v_fma_f64 v[138:139], v[122:123], v[140:141], v[118:119]
	v_fma_f64 v[128:129], -v[128:129], v[140:141], v[108:109]
	v_fma_f64 v[126:127], v[126:127], v[140:141], v[106:107]
	v_fma_f64 v[132:133], -v[132:133], v[140:141], v[112:113]
	v_fma_f64 v[130:131], v[130:131], v[140:141], v[110:111]
	v_fma_f64 v[136:137], -v[136:137], v[140:141], v[116:117]
	v_fma_f64 v[134:135], v[134:135], v[140:141], v[114:115]
	s_clause 0x3
	global_load_b128 v[104:107], v[154:155], off offset:16
	global_load_b128 v[108:111], v[154:155], off offset:80
	global_load_b128 v[112:115], v[154:155], off offset:144
	global_load_b128 v[116:119], v[154:155], off offset:208
	global_load_b128 v[120:123], v[144:145], off offset:16
	s_waitcnt vmcnt(20)
	v_fma_f64 v[124:125], v[0:1], v[31:32], v[124:125]
	v_fma_f64 v[138:139], v[2:3], v[31:32], v[138:139]
	v_fma_f64 v[128:129], v[4:5], v[31:32], v[128:129]
	v_fma_f64 v[126:127], v[6:7], v[31:32], v[126:127]
	v_fma_f64 v[132:133], v[8:9], v[31:32], v[132:133]
	v_fma_f64 v[130:131], v[10:11], v[31:32], v[130:131]
	v_fma_f64 v[136:137], v[12:13], v[31:32], v[136:137]
	v_fma_f64 v[31:32], v[14:15], v[31:32], v[134:135]
	v_fma_f64 v[124:125], -v[2:3], v[33:34], v[124:125]
	v_fma_f64 v[134:135], v[0:1], v[33:34], v[138:139]
	v_fma_f64 v[128:129], -v[6:7], v[33:34], v[128:129]
	v_fma_f64 v[126:127], v[4:5], v[33:34], v[126:127]
	v_fma_f64 v[132:133], -v[10:11], v[33:34], v[132:133]
	v_fma_f64 v[130:131], v[8:9], v[33:34], v[130:131]
	v_fma_f64 v[136:137], -v[14:15], v[33:34], v[136:137]
	v_fma_f64 v[138:139], v[12:13], v[33:34], v[31:32]
	s_clause 0x3
	global_load_b128 v[0:3], v[154:155], off offset:96
	global_load_b128 v[4:7], v[154:155], off offset:160
	global_load_b128 v[8:11], v[154:155], off offset:224
	global_load_b128 v[12:15], v[154:155], off offset:32
	global_load_b128 v[31:34], v[144:145], off offset:32
	;; [unrolled: 23-line block ×3, first 2 shown]
	v_add_co_u32 v154, vcc_lo, 0xc000, v49
	v_add_co_ci_u32_e32 v155, vcc_lo, 0, v50, vcc_lo
	v_add_co_u32 v49, s1, 0x10000, v49
	s_delay_alu instid0(VALU_DEP_1)
	v_add_co_ci_u32_e64 v50, s1, 0, v50, s1
	s_waitcnt vmcnt(20)
	v_fma_f64 v[140:141], v[64:65], v[80:81], v[124:125]
	v_fma_f64 v[142:143], v[66:67], v[80:81], v[134:135]
	;; [unrolled: 1-line block ×8, first 2 shown]
	s_clause 0x3
	global_load_b128 v[124:127], v[154:155], off
	global_load_b128 v[128:131], v[154:155], off offset:64
	global_load_b128 v[132:135], v[154:155], off offset:128
	;; [unrolled: 1-line block ×3, first 2 shown]
	v_fma_f64 v[140:141], -v[66:67], v[82:83], v[140:141]
	v_fma_f64 v[142:143], v[64:65], v[82:83], v[142:143]
	v_fma_f64 v[70:71], -v[70:71], v[82:83], v[144:145]
	v_fma_f64 v[68:69], v[68:69], v[82:83], v[146:147]
	;; [unrolled: 2-line block ×4, first 2 shown]
	v_lshlrev_b64 v[64:65], 4, v[156:157]
	s_delay_alu instid0(VALU_DEP_1) | instskip(NEXT) | instid1(VALU_DEP_2)
	v_add_co_u32 v144, vcc_lo, s4, v64
	v_add_co_ci_u32_e32 v145, vcc_lo, s5, v65, vcc_lo
	v_add_co_u32 v51, vcc_lo, 0x100, v51
	v_add_co_ci_u32_e32 v52, vcc_lo, 0, v52, vcc_lo
	global_load_b128 v[64:67], v[144:145], off
	v_add_co_u32 v53, vcc_lo, 0x400, v53
	v_add_co_ci_u32_e32 v54, vcc_lo, 0, v54, vcc_lo
	v_cmp_ge_i64_e32 vcc_lo, v[51:52], v[27:28]
	s_or_b32 s10, vcc_lo, s10
	s_waitcnt vmcnt(20)
	v_fma_f64 v[80:81], v[84:85], v[100:101], v[140:141]
	v_fma_f64 v[82:83], v[86:87], v[100:101], v[142:143]
	v_fma_f64 v[70:71], v[88:89], v[100:101], v[70:71]
	v_fma_f64 v[68:69], v[90:91], v[100:101], v[68:69]
	v_fma_f64 v[74:75], v[92:93], v[100:101], v[74:75]
	v_fma_f64 v[72:73], v[94:95], v[100:101], v[72:73]
	v_fma_f64 v[78:79], v[96:97], v[100:101], v[78:79]
	v_fma_f64 v[76:77], v[98:99], v[100:101], v[76:77]
	v_fma_f64 v[100:101], -v[86:87], v[102:103], v[80:81]
	v_fma_f64 v[140:141], v[84:85], v[102:103], v[82:83]
	v_fma_f64 v[90:91], -v[90:91], v[102:103], v[70:71]
	v_fma_f64 v[88:89], v[88:89], v[102:103], v[68:69]
	v_fma_f64 v[94:95], -v[94:95], v[102:103], v[74:75]
	v_fma_f64 v[92:93], v[92:93], v[102:103], v[72:73]
	v_fma_f64 v[98:99], -v[98:99], v[102:103], v[78:79]
	v_fma_f64 v[96:97], v[96:97], v[102:103], v[76:77]
	s_clause 0x3
	global_load_b128 v[68:71], v[154:155], off offset:80
	global_load_b128 v[72:75], v[154:155], off offset:144
	global_load_b128 v[76:79], v[154:155], off offset:208
	global_load_b128 v[80:83], v[154:155], off offset:16
	global_load_b128 v[84:87], v[144:145], off offset:16
	s_waitcnt vmcnt(20)
	v_fma_f64 v[100:101], v[104:105], v[120:121], v[100:101]
	v_fma_f64 v[102:103], v[106:107], v[120:121], v[140:141]
	v_fma_f64 v[90:91], v[108:109], v[120:121], v[90:91]
	v_fma_f64 v[88:89], v[110:111], v[120:121], v[88:89]
	v_fma_f64 v[94:95], v[112:113], v[120:121], v[94:95]
	v_fma_f64 v[92:93], v[114:115], v[120:121], v[92:93]
	v_fma_f64 v[98:99], v[116:117], v[120:121], v[98:99]
	v_fma_f64 v[96:97], v[118:119], v[120:121], v[96:97]
	v_fma_f64 v[120:121], -v[106:107], v[122:123], v[100:101]
	v_fma_f64 v[140:141], v[104:105], v[122:123], v[102:103]
	v_fma_f64 v[110:111], -v[110:111], v[122:123], v[90:91]
	v_fma_f64 v[108:109], v[108:109], v[122:123], v[88:89]
	v_fma_f64 v[114:115], -v[114:115], v[122:123], v[94:95]
	v_fma_f64 v[112:113], v[112:113], v[122:123], v[92:93]
	v_fma_f64 v[118:119], -v[118:119], v[122:123], v[98:99]
	v_fma_f64 v[116:117], v[116:117], v[122:123], v[96:97]
	s_clause 0x3
	global_load_b128 v[88:91], v[154:155], off offset:96
	global_load_b128 v[92:95], v[154:155], off offset:160
	global_load_b128 v[96:99], v[154:155], off offset:224
	global_load_b128 v[100:103], v[154:155], off offset:32
	global_load_b128 v[104:107], v[144:145], off offset:32
	;; [unrolled: 23-line block ×3, first 2 shown]
	s_waitcnt vmcnt(20)
	v_fma_f64 v[33:34], v[35:36], v[60:61], v[116:117]
	v_fma_f64 v[116:117], v[37:38], v[60:61], v[120:121]
	v_fma_f64 v[120:121], v[39:40], v[60:61], v[122:123]
	v_fma_f64 v[122:123], v[41:42], v[60:61], v[140:141]
	v_fma_f64 v[114:115], v[43:44], v[60:61], v[114:115]
	v_fma_f64 v[112:113], v[45:46], v[60:61], v[112:113]
	v_fma_f64 v[118:119], v[56:57], v[60:61], v[118:119]
	v_fma_f64 v[31:32], v[58:59], v[60:61], v[31:32]
	v_fma_f64 v[33:34], -v[37:38], v[62:63], v[33:34]
	v_fma_f64 v[35:36], v[35:36], v[62:63], v[116:117]
	v_fma_f64 v[37:38], -v[41:42], v[62:63], v[120:121]
	v_fma_f64 v[39:40], v[39:40], v[62:63], v[122:123]
	v_fma_f64 v[41:42], -v[45:46], v[62:63], v[114:115]
	v_fma_f64 v[43:44], v[43:44], v[62:63], v[112:113]
	v_fma_f64 v[45:46], -v[58:59], v[62:63], v[118:119]
	v_fma_f64 v[31:32], v[56:57], v[62:63], v[31:32]
	s_waitcnt vmcnt(15)
	v_fma_f64 v[33:34], v[124:125], v[64:65], v[33:34]
	v_fma_f64 v[35:36], v[126:127], v[64:65], v[35:36]
	v_fma_f64 v[37:38], v[128:129], v[64:65], v[37:38]
	v_fma_f64 v[39:40], v[130:131], v[64:65], v[39:40]
	v_fma_f64 v[41:42], v[132:133], v[64:65], v[41:42]
	v_fma_f64 v[43:44], v[134:135], v[64:65], v[43:44]
	v_fma_f64 v[45:46], v[136:137], v[64:65], v[45:46]
	v_fma_f64 v[31:32], v[138:139], v[64:65], v[31:32]
	v_fma_f64 v[33:34], -v[126:127], v[66:67], v[33:34]
	v_fma_f64 v[35:36], v[124:125], v[66:67], v[35:36]
	v_fma_f64 v[37:38], -v[130:131], v[66:67], v[37:38]
	v_fma_f64 v[39:40], v[128:129], v[66:67], v[39:40]
	v_fma_f64 v[41:42], -v[134:135], v[66:67], v[41:42]
	v_fma_f64 v[43:44], v[132:133], v[66:67], v[43:44]
	v_fma_f64 v[45:46], -v[138:139], v[66:67], v[45:46]
	v_fma_f64 v[31:32], v[136:137], v[66:67], v[31:32]
	;; [unrolled: 17-line block ×5, first 2 shown]
	s_and_not1_b32 exec_lo, exec_lo, s10
	s_cbranch_execnz .LBB39_23
; %bb.24:
	s_or_b32 exec_lo, exec_lo, s10
.LBB39_25:
	s_delay_alu instid0(SALU_CYCLE_1)
	s_or_b32 exec_lo, exec_lo, s7
.LBB39_26:
	s_delay_alu instid0(SALU_CYCLE_1)
	s_or_b32 exec_lo, exec_lo, s6
	s_cbranch_execz .LBB39_28
	s_branch .LBB39_39
.LBB39_27:
                                        ; implicit-def: $vgpr35_vgpr36
                                        ; implicit-def: $vgpr39_vgpr40
                                        ; implicit-def: $vgpr33_vgpr34
                                        ; implicit-def: $vgpr31_vgpr32
                                        ; implicit-def: $vgpr41_vgpr42
                                        ; implicit-def: $vgpr43_vgpr44
                                        ; implicit-def: $vgpr45_vgpr46
                                        ; implicit-def: $vgpr37_vgpr38
.LBB39_28:
	v_mov_b32_e32 v35, 0
	v_mov_b32_e32 v36, 0
	s_delay_alu instid0(VALU_DEP_2) | instskip(NEXT) | instid1(VALU_DEP_2)
	v_mov_b32_e32 v33, v35
	v_dual_mov_b32 v31, v35 :: v_dual_mov_b32 v32, v36
	v_dual_mov_b32 v40, v36 :: v_dual_mov_b32 v39, v35
	v_mov_b32_e32 v34, v36
	v_dual_mov_b32 v42, v36 :: v_dual_mov_b32 v41, v35
	v_dual_mov_b32 v44, v36 :: v_dual_mov_b32 v43, v35
	;; [unrolled: 1-line block ×4, first 2 shown]
	s_and_saveexec_b32 s1, s0
	s_cbranch_execz .LBB39_38
; %bb.29:
	v_or_b32_e32 v0, 64, v55
	v_not_b32_e32 v3, v47
	v_not_b32_e32 v2, v48
	s_mov_b32 s7, 0
	s_mov_b32 s6, exec_lo
	v_sub_co_u32 v0, s0, v0, s12
	s_delay_alu instid0(VALU_DEP_1) | instskip(SKIP_1) | instid1(VALU_DEP_3)
	v_sub_co_ci_u32_e64 v1, null, 0, 0, s0
	v_sub_co_u32 v4, s0, s12, v55
	v_add_co_u32 v0, vcc_lo, v0, v47
	s_delay_alu instid0(VALU_DEP_3) | instskip(SKIP_1) | instid1(VALU_DEP_2)
	v_add_co_ci_u32_e32 v1, vcc_lo, v1, v48, vcc_lo
	v_sub_co_ci_u32_e64 v5, null, 0, 0, s0
	v_cmp_gt_i64_e32 vcc_lo, v[0:1], v[27:28]
	v_dual_cndmask_b32 v1, v28, v1 :: v_dual_cndmask_b32 v0, v27, v0
	v_add_co_u32 v3, vcc_lo, v4, v3
	s_delay_alu instid0(VALU_DEP_4) | instskip(NEXT) | instid1(VALU_DEP_2)
	v_add_co_ci_u32_e32 v2, vcc_lo, v5, v2, vcc_lo
	v_add_co_u32 v0, vcc_lo, v3, v0
	s_delay_alu instid0(VALU_DEP_2) | instskip(NEXT) | instid1(VALU_DEP_2)
	v_add_co_ci_u32_e32 v1, vcc_lo, v2, v1, vcc_lo
	v_lshrrev_b32_e32 v2, 6, v0
	v_mov_b32_e32 v37, 0
	v_mov_b32_e32 v38, 0
	s_delay_alu instid0(VALU_DEP_2) | instskip(NEXT) | instid1(VALU_DEP_4)
	v_mov_b32_e32 v31, v37
	v_dual_mov_b32 v33, v37 :: v_dual_add_nc_u32 v2, 1, v2
	s_delay_alu instid0(VALU_DEP_3)
	v_dual_mov_b32 v35, v37 :: v_dual_mov_b32 v42, v38
	v_mov_b32_e32 v32, v38
	v_mov_b32_e32 v40, v38
	v_dual_mov_b32 v46, v38 :: v_dual_mov_b32 v45, v37
	v_dual_mov_b32 v44, v38 :: v_dual_mov_b32 v43, v37
	v_dual_mov_b32 v41, v37 :: v_dual_and_b32 v2, 3, v2
	v_dual_mov_b32 v34, v38 :: v_dual_mov_b32 v39, v37
	v_mov_b32_e32 v36, v38
	s_delay_alu instid0(VALU_DEP_3)
	v_cmpx_ne_u32_e32 0, v2
	s_cbranch_execz .LBB39_33
; %bb.30:
	v_lshlrev_b64 v[4:5], 2, v[25:26]
	v_dual_mov_b32 v35, 0 :: v_dual_lshlrev_b32 v2, 2, v2
	v_dual_mov_b32 v3, 0 :: v_dual_mov_b32 v36, 0
	s_delay_alu instid0(VALU_DEP_2) | instskip(NEXT) | instid1(VALU_DEP_4)
	v_mov_b32_e32 v33, v35
	v_add_co_u32 v4, vcc_lo, s8, v4
	v_add_co_ci_u32_e32 v5, vcc_lo, s9, v5, vcc_lo
	s_delay_alu instid0(VALU_DEP_4)
	v_mov_b32_e32 v34, v36
	v_dual_mov_b32 v40, v36 :: v_dual_mov_b32 v39, v35
	v_dual_mov_b32 v31, v35 :: v_dual_mov_b32 v32, v36
	;; [unrolled: 1-line block ×6, first 2 shown]
.LBB39_31:                              ; =>This Inner Loop Header: Depth=1
	global_load_b32 v14, v[4:5], off
	s_clause 0x3
	global_load_b128 v[6:9], v[29:30], off offset:48
	global_load_b128 v[10:13], v[29:30], off offset:32
	;; [unrolled: 1-line block ×3, first 2 shown]
	global_load_b128 v[51:54], v[29:30], off
	v_add_co_u32 v4, s0, 0x100, v4
	s_delay_alu instid0(VALU_DEP_1) | instskip(SKIP_2) | instid1(VALU_DEP_1)
	v_add_co_ci_u32_e64 v5, s0, 0, v5, s0
	s_waitcnt vmcnt(4)
	v_subrev_nc_u32_e32 v14, s12, v14
	v_lshlrev_b32_e32 v14, 2, v14
	s_delay_alu instid0(VALU_DEP_1) | instskip(NEXT) | instid1(VALU_DEP_1)
	v_ashrrev_i32_e32 v15, 31, v14
	v_lshlrev_b64 v[14:15], 4, v[14:15]
	s_waitcnt lgkmcnt(0)
	s_delay_alu instid0(VALU_DEP_1) | instskip(NEXT) | instid1(VALU_DEP_2)
	v_add_co_u32 v14, vcc_lo, s4, v14
	v_add_co_ci_u32_e32 v15, vcc_lo, s5, v15, vcc_lo
	s_clause 0x1
	global_load_b128 v[56:59], v[14:15], off
	global_load_b128 v[60:63], v[14:15], off offset:16
	s_clause 0x7
	global_load_b128 v[64:67], v[29:30], off offset:64
	global_load_b128 v[68:71], v[29:30], off offset:80
	;; [unrolled: 1-line block ×8, first 2 shown]
	s_clause 0x1
	global_load_b128 v[96:99], v[14:15], off offset:32
	global_load_b128 v[100:103], v[14:15], off offset:48
	s_clause 0x3
	global_load_b128 v[104:107], v[29:30], off offset:192
	global_load_b128 v[108:111], v[29:30], off offset:208
	;; [unrolled: 1-line block ×4, first 2 shown]
	v_add_co_u32 v29, vcc_lo, 0x4000, v29
	v_add_co_ci_u32_e32 v30, vcc_lo, 0, v30, vcc_lo
	v_add_co_u32 v2, vcc_lo, v2, -4
	v_add_co_ci_u32_e32 v3, vcc_lo, -1, v3, vcc_lo
	v_add_co_u32 v25, vcc_lo, v25, 64
	v_add_co_ci_u32_e32 v26, vcc_lo, 0, v26, vcc_lo
	s_delay_alu instid0(VALU_DEP_3)
	v_cmp_eq_u64_e32 vcc_lo, 0, v[2:3]
	s_or_b32 s7, vcc_lo, s7
	s_waitcnt vmcnt(15)
	v_fma_f64 v[14:15], v[51:52], v[56:57], v[39:40]
	v_fma_f64 v[35:36], v[53:54], v[56:57], v[35:36]
	;; [unrolled: 1-line block ×8, first 2 shown]
	v_fma_f64 v[14:15], -v[53:54], v[58:59], v[14:15]
	v_fma_f64 v[35:36], v[51:52], v[58:59], v[35:36]
	v_fma_f64 v[39:40], -v[49:50], v[58:59], v[39:40]
	v_fma_f64 v[37:38], v[47:48], v[58:59], v[37:38]
	;; [unrolled: 2-line block ×4, first 2 shown]
	s_waitcnt vmcnt(13)
	v_fma_f64 v[14:15], v[64:65], v[60:61], v[14:15]
	v_fma_f64 v[31:32], v[66:67], v[60:61], v[35:36]
	s_waitcnt vmcnt(12)
	v_fma_f64 v[33:34], v[68:69], v[60:61], v[39:40]
	v_fma_f64 v[35:36], v[70:71], v[60:61], v[37:38]
	;; [unrolled: 3-line block ×4, first 2 shown]
	v_fma_f64 v[14:15], -v[66:67], v[62:63], v[14:15]
	v_fma_f64 v[31:32], v[64:65], v[62:63], v[31:32]
	v_fma_f64 v[33:34], -v[70:71], v[62:63], v[33:34]
	v_fma_f64 v[35:36], v[68:69], v[62:63], v[35:36]
	;; [unrolled: 2-line block ×4, first 2 shown]
	s_waitcnt vmcnt(5)
	v_fma_f64 v[14:15], v[92:93], v[96:97], v[14:15]
	v_fma_f64 v[31:32], v[94:95], v[96:97], v[31:32]
	;; [unrolled: 1-line block ×8, first 2 shown]
	v_fma_f64 v[14:15], -v[94:95], v[98:99], v[14:15]
	v_fma_f64 v[31:32], v[92:93], v[98:99], v[31:32]
	v_fma_f64 v[33:34], -v[90:91], v[98:99], v[33:34]
	v_fma_f64 v[35:36], v[88:89], v[98:99], v[35:36]
	;; [unrolled: 2-line block ×4, first 2 shown]
	s_waitcnt vmcnt(3)
	v_fma_f64 v[14:15], v[104:105], v[100:101], v[14:15]
	v_fma_f64 v[31:32], v[106:107], v[100:101], v[31:32]
	s_waitcnt vmcnt(2)
	v_fma_f64 v[33:34], v[108:109], v[100:101], v[33:34]
	v_fma_f64 v[37:38], v[110:111], v[100:101], v[35:36]
	;; [unrolled: 3-line block ×4, first 2 shown]
	v_fma_f64 v[39:40], -v[106:107], v[102:103], v[14:15]
	v_fma_f64 v[35:36], v[104:105], v[102:103], v[31:32]
	v_fma_f64 v[45:46], -v[110:111], v[102:103], v[33:34]
	v_fma_f64 v[37:38], v[108:109], v[102:103], v[37:38]
	;; [unrolled: 2-line block ×4, first 2 shown]
	s_and_not1_b32 exec_lo, exec_lo, s7
	s_cbranch_execnz .LBB39_31
; %bb.32:
	s_or_b32 exec_lo, exec_lo, s7
.LBB39_33:
	s_delay_alu instid0(SALU_CYCLE_1) | instskip(NEXT) | instid1(SALU_CYCLE_1)
	s_or_b32 exec_lo, exec_lo, s6
	s_mov_b32 s6, exec_lo
	v_cmpx_lt_u64_e32 0xbf, v[0:1]
	s_cbranch_execz .LBB39_37
; %bb.34:
	v_lshlrev_b64 v[0:1], 2, v[25:26]
	s_mov_b32 s7, 0
	s_delay_alu instid0(VALU_DEP_1) | instskip(NEXT) | instid1(VALU_DEP_2)
	v_add_co_u32 v0, vcc_lo, v0, s8
	v_add_co_ci_u32_e32 v1, vcc_lo, s9, v1, vcc_lo
	s_delay_alu instid0(VALU_DEP_2) | instskip(NEXT) | instid1(VALU_DEP_2)
	v_add_co_u32 v0, vcc_lo, 0x200, v0
	v_add_co_ci_u32_e32 v1, vcc_lo, 0, v1, vcc_lo
.LBB39_35:                              ; =>This Inner Loop Header: Depth=1
	s_clause 0x1
	global_load_b32 v2, v[0:1], off offset:-512
	global_load_b32 v132, v[0:1], off offset:-256
	s_clause 0x3
	global_load_b128 v[4:7], v[29:30], off offset:48
	global_load_b128 v[8:11], v[29:30], off offset:32
	;; [unrolled: 1-line block ×3, first 2 shown]
	global_load_b128 v[47:50], v[29:30], off
	s_clause 0x1
	global_load_b32 v3, v[0:1], off
	global_load_b32 v152, v[0:1], off offset:256
	s_waitcnt vmcnt(7)
	v_subrev_nc_u32_e32 v2, s12, v2
	s_delay_alu instid0(VALU_DEP_1) | instskip(SKIP_2) | instid1(VALU_DEP_2)
	v_lshlrev_b32_e32 v51, 2, v2
	s_waitcnt vmcnt(6)
	v_subrev_nc_u32_e32 v2, s12, v132
	v_ashrrev_i32_e32 v52, 31, v51
	s_delay_alu instid0(VALU_DEP_2) | instskip(SKIP_2) | instid1(VALU_DEP_3)
	v_lshlrev_b32_e32 v132, 2, v2
	s_waitcnt vmcnt(1)
	v_subrev_nc_u32_e32 v2, s12, v3
	v_lshlrev_b64 v[51:52], 4, v[51:52]
	s_delay_alu instid0(VALU_DEP_3) | instskip(NEXT) | instid1(VALU_DEP_3)
	v_ashrrev_i32_e32 v133, 31, v132
	v_lshlrev_b32_e32 v2, 2, v2
	s_delay_alu instid0(VALU_DEP_2) | instskip(SKIP_1) | instid1(VALU_DEP_4)
	v_lshlrev_b64 v[132:133], 4, v[132:133]
	s_waitcnt lgkmcnt(0)
	v_add_co_u32 v112, vcc_lo, s4, v51
	v_add_co_ci_u32_e32 v113, vcc_lo, s5, v52, vcc_lo
	v_add_co_u32 v136, vcc_lo, 0x4000, v29
	global_load_b128 v[51:54], v[112:113], off
	s_clause 0x3
	global_load_b128 v[56:59], v[29:30], off offset:112
	global_load_b128 v[60:63], v[29:30], off offset:96
	global_load_b128 v[64:67], v[29:30], off offset:80
	global_load_b128 v[68:71], v[29:30], off offset:64
	global_load_b128 v[72:75], v[112:113], off offset:16
	s_clause 0x3
	global_load_b128 v[76:79], v[29:30], off offset:176
	global_load_b128 v[80:83], v[29:30], off offset:160
	global_load_b128 v[84:87], v[29:30], off offset:144
	global_load_b128 v[88:91], v[29:30], off offset:128
	global_load_b128 v[92:95], v[112:113], off offset:32
	;; [unrolled: 6-line block ×3, first 2 shown]
	v_add_co_ci_u32_e32 v137, vcc_lo, 0, v30, vcc_lo
	v_add_co_u32 v138, vcc_lo, s4, v132
	v_add_co_ci_u32_e32 v139, vcc_lo, s5, v133, vcc_lo
	s_clause 0x3
	global_load_b128 v[116:119], v[136:137], off offset:48
	global_load_b128 v[120:123], v[136:137], off offset:32
	global_load_b128 v[124:127], v[136:137], off
	global_load_b128 v[128:131], v[136:137], off offset:16
	v_ashrrev_i32_e32 v3, 31, v2
	v_add_co_u32 v150, vcc_lo, 0x8000, v29
	global_load_b128 v[132:135], v[138:139], off
	v_add_co_ci_u32_e32 v151, vcc_lo, 0, v30, vcc_lo
	v_lshlrev_b64 v[2:3], 4, v[2:3]
	s_waitcnt vmcnt(20)
	v_fma_f64 v[39:40], v[47:48], v[51:52], v[39:40]
	v_fma_f64 v[35:36], v[49:50], v[51:52], v[35:36]
	v_fma_f64 v[45:46], v[12:13], v[51:52], v[45:46]
	v_fma_f64 v[37:38], v[14:15], v[51:52], v[37:38]
	v_fma_f64 v[41:42], v[8:9], v[51:52], v[41:42]
	v_fma_f64 v[43:44], v[10:11], v[51:52], v[43:44]
	v_fma_f64 v[33:34], v[4:5], v[51:52], v[33:34]
	v_fma_f64 v[31:32], v[6:7], v[51:52], v[31:32]
	v_fma_f64 v[39:40], -v[49:50], v[53:54], v[39:40]
	v_fma_f64 v[47:48], v[47:48], v[53:54], v[35:36]
	v_fma_f64 v[45:46], -v[14:15], v[53:54], v[45:46]
	v_fma_f64 v[49:50], v[12:13], v[53:54], v[37:38]
	v_fma_f64 v[41:42], -v[10:11], v[53:54], v[41:42]
	v_fma_f64 v[43:44], v[8:9], v[53:54], v[43:44]
	v_fma_f64 v[51:52], -v[6:7], v[53:54], v[33:34]
	v_fma_f64 v[53:54], v[4:5], v[53:54], v[31:32]
	s_clause 0x3
	global_load_b128 v[4:7], v[136:137], off offset:112
	global_load_b128 v[8:11], v[136:137], off offset:96
	global_load_b128 v[12:15], v[136:137], off offset:80
	global_load_b128 v[31:34], v[136:137], off offset:64
	global_load_b128 v[35:38], v[138:139], off offset:16
	s_waitcnt vmcnt(20)
	v_fma_f64 v[39:40], v[68:69], v[72:73], v[39:40]
	v_fma_f64 v[47:48], v[70:71], v[72:73], v[47:48]
	v_fma_f64 v[45:46], v[64:65], v[72:73], v[45:46]
	v_fma_f64 v[49:50], v[66:67], v[72:73], v[49:50]
	v_fma_f64 v[41:42], v[60:61], v[72:73], v[41:42]
	v_fma_f64 v[43:44], v[62:63], v[72:73], v[43:44]
	v_fma_f64 v[51:52], v[56:57], v[72:73], v[51:52]
	v_fma_f64 v[53:54], v[58:59], v[72:73], v[53:54]
	v_fma_f64 v[70:71], -v[70:71], v[74:75], v[39:40]
	v_fma_f64 v[68:69], v[68:69], v[74:75], v[47:48]
	v_fma_f64 v[66:67], -v[66:67], v[74:75], v[45:46]
	v_fma_f64 v[64:65], v[64:65], v[74:75], v[49:50]
	v_fma_f64 v[62:63], -v[62:63], v[74:75], v[41:42]
	v_fma_f64 v[60:61], v[60:61], v[74:75], v[43:44]
	v_fma_f64 v[72:73], -v[58:59], v[74:75], v[51:52]
	v_fma_f64 v[74:75], v[56:57], v[74:75], v[53:54]
	s_clause 0x3
	global_load_b128 v[39:42], v[136:137], off offset:176
	global_load_b128 v[43:46], v[136:137], off offset:160
	global_load_b128 v[47:50], v[136:137], off offset:144
	global_load_b128 v[51:54], v[136:137], off offset:128
	global_load_b128 v[56:59], v[138:139], off offset:32
	;; [unrolled: 23-line block ×3, first 2 shown]
	s_waitcnt vmcnt(20)
	v_fma_f64 v[136:137], v[108:109], v[112:113], v[90:91]
	v_fma_f64 v[138:139], v[110:111], v[112:113], v[88:89]
	;; [unrolled: 1-line block ×8, first 2 shown]
	s_clause 0x3
	global_load_b128 v[80:83], v[150:151], off offset:48
	global_load_b128 v[84:87], v[150:151], off offset:32
	global_load_b128 v[88:91], v[150:151], off
	global_load_b128 v[92:95], v[150:151], off offset:16
	v_fma_f64 v[110:111], -v[110:111], v[114:115], v[136:137]
	v_fma_f64 v[108:109], v[108:109], v[114:115], v[138:139]
	v_fma_f64 v[106:107], -v[106:107], v[114:115], v[140:141]
	v_fma_f64 v[104:105], v[104:105], v[114:115], v[142:143]
	;; [unrolled: 2-line block ×4, first 2 shown]
	v_add_co_u32 v138, vcc_lo, s4, v2
	v_add_co_ci_u32_e32 v139, vcc_lo, s5, v3, vcc_lo
	v_add_co_u32 v148, vcc_lo, 0xc000, v29
	v_add_co_ci_u32_e32 v149, vcc_lo, 0, v30, vcc_lo
	global_load_b128 v[96:99], v[138:139], off
	v_add_co_u32 v29, s0, 0x10000, v29
	s_delay_alu instid0(VALU_DEP_1)
	v_add_co_ci_u32_e64 v30, s0, 0, v30, s0
	s_waitcnt vmcnt(20)
	v_fma_f64 v[2:3], v[124:125], v[132:133], v[110:111]
	v_fma_f64 v[108:109], v[126:127], v[132:133], v[108:109]
	v_fma_f64 v[106:107], v[128:129], v[132:133], v[106:107]
	v_fma_f64 v[104:105], v[130:131], v[132:133], v[104:105]
	v_fma_f64 v[102:103], v[120:121], v[132:133], v[102:103]
	v_fma_f64 v[100:101], v[122:123], v[132:133], v[100:101]
	v_fma_f64 v[110:111], v[116:117], v[132:133], v[136:137]
	v_fma_f64 v[112:113], v[118:119], v[132:133], v[112:113]
	v_fma_f64 v[2:3], -v[126:127], v[134:135], v[2:3]
	v_fma_f64 v[124:125], v[124:125], v[134:135], v[108:109]
	v_fma_f64 v[126:127], -v[130:131], v[134:135], v[106:107]
	v_fma_f64 v[128:129], v[128:129], v[134:135], v[104:105]
	v_fma_f64 v[122:123], -v[122:123], v[134:135], v[102:103]
	v_fma_f64 v[120:121], v[120:121], v[134:135], v[100:101]
	v_fma_f64 v[130:131], -v[118:119], v[134:135], v[110:111]
	v_fma_f64 v[132:133], v[116:117], v[134:135], v[112:113]
	s_clause 0x3
	global_load_b128 v[100:103], v[150:151], off offset:112
	global_load_b128 v[104:107], v[150:151], off offset:96
	global_load_b128 v[108:111], v[150:151], off offset:80
	global_load_b128 v[112:115], v[150:151], off offset:64
	global_load_b128 v[116:119], v[138:139], off offset:16
	s_waitcnt vmcnt(20)
	v_fma_f64 v[2:3], v[31:32], v[35:36], v[2:3]
	v_fma_f64 v[124:125], v[33:34], v[35:36], v[124:125]
	v_fma_f64 v[126:127], v[12:13], v[35:36], v[126:127]
	v_fma_f64 v[128:129], v[14:15], v[35:36], v[128:129]
	v_fma_f64 v[122:123], v[8:9], v[35:36], v[122:123]
	v_fma_f64 v[120:121], v[10:11], v[35:36], v[120:121]
	v_fma_f64 v[130:131], v[4:5], v[35:36], v[130:131]
	v_fma_f64 v[35:36], v[6:7], v[35:36], v[132:133]
	v_fma_f64 v[132:133], -v[33:34], v[37:38], v[2:3]
	v_fma_f64 v[124:125], v[31:32], v[37:38], v[124:125]
	v_fma_f64 v[14:15], -v[14:15], v[37:38], v[126:127]
	v_fma_f64 v[126:127], v[12:13], v[37:38], v[128:129]
	v_fma_f64 v[122:123], -v[10:11], v[37:38], v[122:123]
	v_fma_f64 v[120:121], v[8:9], v[37:38], v[120:121]
	v_fma_f64 v[128:129], -v[6:7], v[37:38], v[130:131]
	v_fma_f64 v[130:131], v[4:5], v[37:38], v[35:36]
	s_clause 0x3
	global_load_b128 v[2:5], v[150:151], off offset:176
	global_load_b128 v[6:9], v[150:151], off offset:160
	global_load_b128 v[10:13], v[150:151], off offset:144
	global_load_b128 v[31:34], v[150:151], off offset:128
	global_load_b128 v[35:38], v[138:139], off offset:32
	;; [unrolled: 23-line block ×3, first 2 shown]
	v_subrev_nc_u32_e32 v150, s12, v152
	s_delay_alu instid0(VALU_DEP_1) | instskip(NEXT) | instid1(VALU_DEP_1)
	v_lshlrev_b32_e32 v150, 2, v150
	v_ashrrev_i32_e32 v151, 31, v150
	s_waitcnt vmcnt(20)
	v_fma_f64 v[136:137], v[72:73], v[76:77], v[130:131]
	v_fma_f64 v[138:139], v[74:75], v[76:77], v[124:125]
	;; [unrolled: 1-line block ×8, first 2 shown]
	s_clause 0x3
	global_load_b128 v[120:123], v[148:149], off offset:48
	global_load_b128 v[124:127], v[148:149], off offset:32
	global_load_b128 v[128:131], v[148:149], off
	global_load_b128 v[132:135], v[148:149], off offset:16
	v_fma_f64 v[74:75], -v[74:75], v[78:79], v[136:137]
	v_fma_f64 v[72:73], v[72:73], v[78:79], v[138:139]
	v_fma_f64 v[14:15], -v[70:71], v[78:79], v[14:15]
	v_fma_f64 v[68:69], v[68:69], v[78:79], v[140:141]
	;; [unrolled: 2-line block ×4, first 2 shown]
	v_lshlrev_b64 v[60:61], 4, v[150:151]
	s_delay_alu instid0(VALU_DEP_1) | instskip(NEXT) | instid1(VALU_DEP_2)
	v_add_co_u32 v140, vcc_lo, s4, v60
	v_add_co_ci_u32_e32 v141, vcc_lo, s5, v61, vcc_lo
	s_clause 0x1
	global_load_b128 v[60:63], v[140:141], off
	global_load_b128 v[64:67], v[140:141], off offset:16
	v_add_co_u32 v25, vcc_lo, 0x100, v25
	v_add_co_ci_u32_e32 v26, vcc_lo, 0, v26, vcc_lo
	v_add_co_u32 v0, vcc_lo, 0x400, v0
	v_add_co_ci_u32_e32 v1, vcc_lo, 0, v1, vcc_lo
	s_delay_alu instid0(VALU_DEP_3)
	v_cmp_ge_i64_e32 vcc_lo, v[25:26], v[27:28]
	s_or_b32 s7, vcc_lo, s7
	s_waitcnt vmcnt(21)
	v_fma_f64 v[74:75], v[88:89], v[96:97], v[74:75]
	v_fma_f64 v[72:73], v[90:91], v[96:97], v[72:73]
	;; [unrolled: 1-line block ×8, first 2 shown]
	v_fma_f64 v[90:91], -v[90:91], v[98:99], v[74:75]
	v_fma_f64 v[88:89], v[88:89], v[98:99], v[72:73]
	v_fma_f64 v[14:15], -v[94:95], v[98:99], v[14:15]
	v_fma_f64 v[92:93], v[92:93], v[98:99], v[68:69]
	;; [unrolled: 2-line block ×4, first 2 shown]
	s_clause 0x3
	global_load_b128 v[68:71], v[148:149], off offset:64
	global_load_b128 v[72:75], v[148:149], off offset:80
	;; [unrolled: 1-line block ×4, first 2 shown]
	s_waitcnt vmcnt(20)
	v_fma_f64 v[90:91], v[112:113], v[116:117], v[90:91]
	v_fma_f64 v[88:89], v[114:115], v[116:117], v[88:89]
	;; [unrolled: 1-line block ×8, first 2 shown]
	v_fma_f64 v[114:115], -v[114:115], v[118:119], v[90:91]
	v_fma_f64 v[112:113], v[112:113], v[118:119], v[88:89]
	v_fma_f64 v[14:15], -v[110:111], v[118:119], v[14:15]
	v_fma_f64 v[108:109], v[108:109], v[118:119], v[92:93]
	;; [unrolled: 2-line block ×4, first 2 shown]
	s_clause 0x3
	global_load_b128 v[84:87], v[148:149], off offset:176
	global_load_b128 v[88:91], v[148:149], off offset:160
	;; [unrolled: 1-line block ×4, first 2 shown]
	s_clause 0x1
	global_load_b128 v[100:103], v[140:141], off offset:32
	global_load_b128 v[104:107], v[140:141], off offset:48
	s_waitcnt vmcnt(21)
	v_fma_f64 v[114:115], v[31:32], v[35:36], v[114:115]
	v_fma_f64 v[112:113], v[33:34], v[35:36], v[112:113]
	;; [unrolled: 1-line block ×8, first 2 shown]
	v_fma_f64 v[114:115], -v[33:34], v[37:38], v[114:115]
	v_fma_f64 v[112:113], v[31:32], v[37:38], v[112:113]
	v_fma_f64 v[14:15], -v[12:13], v[37:38], v[14:15]
	v_fma_f64 v[108:109], v[10:11], v[37:38], v[108:109]
	;; [unrolled: 2-line block ×4, first 2 shown]
	s_clause 0x3
	global_load_b128 v[2:5], v[148:149], off offset:192
	global_load_b128 v[6:9], v[148:149], off offset:208
	;; [unrolled: 1-line block ×4, first 2 shown]
	s_waitcnt vmcnt(20)
	v_fma_f64 v[37:38], v[51:52], v[56:57], v[114:115]
	v_fma_f64 v[112:113], v[53:54], v[56:57], v[112:113]
	;; [unrolled: 1-line block ×8, first 2 shown]
	v_fma_f64 v[37:38], -v[53:54], v[58:59], v[37:38]
	v_fma_f64 v[51:52], v[51:52], v[58:59], v[112:113]
	v_fma_f64 v[14:15], -v[49:50], v[58:59], v[14:15]
	v_fma_f64 v[47:48], v[47:48], v[58:59], v[108:109]
	;; [unrolled: 2-line block ×4, first 2 shown]
	s_waitcnt vmcnt(15)
	v_fma_f64 v[37:38], v[128:129], v[60:61], v[37:38]
	v_fma_f64 v[39:40], v[130:131], v[60:61], v[51:52]
	;; [unrolled: 1-line block ×8, first 2 shown]
	v_fma_f64 v[37:38], -v[130:131], v[62:63], v[37:38]
	v_fma_f64 v[39:40], v[128:129], v[62:63], v[39:40]
	v_fma_f64 v[14:15], -v[134:135], v[62:63], v[14:15]
	v_fma_f64 v[47:48], v[132:133], v[62:63], v[47:48]
	;; [unrolled: 2-line block ×4, first 2 shown]
	s_waitcnt vmcnt(13)
	v_fma_f64 v[37:38], v[68:69], v[64:65], v[37:38]
	v_fma_f64 v[39:40], v[70:71], v[64:65], v[39:40]
	s_waitcnt vmcnt(12)
	v_fma_f64 v[14:15], v[72:73], v[64:65], v[14:15]
	v_fma_f64 v[47:48], v[74:75], v[64:65], v[47:48]
	s_waitcnt vmcnt(11)
	v_fma_f64 v[45:46], v[76:77], v[64:65], v[45:46]
	v_fma_f64 v[43:44], v[78:79], v[64:65], v[43:44]
	s_waitcnt vmcnt(10)
	v_fma_f64 v[41:42], v[80:81], v[64:65], v[41:42]
	v_fma_f64 v[35:36], v[82:83], v[64:65], v[35:36]
	v_fma_f64 v[37:38], -v[70:71], v[66:67], v[37:38]
	v_fma_f64 v[39:40], v[68:69], v[66:67], v[39:40]
	v_fma_f64 v[14:15], -v[74:75], v[66:67], v[14:15]
	v_fma_f64 v[47:48], v[72:73], v[66:67], v[47:48]
	;; [unrolled: 2-line block ×4, first 2 shown]
	s_waitcnt vmcnt(5)
	v_fma_f64 v[37:38], v[96:97], v[100:101], v[37:38]
	v_fma_f64 v[39:40], v[98:99], v[100:101], v[39:40]
	;; [unrolled: 1-line block ×8, first 2 shown]
	v_fma_f64 v[37:38], -v[98:99], v[102:103], v[37:38]
	v_fma_f64 v[39:40], v[96:97], v[102:103], v[39:40]
	v_fma_f64 v[14:15], -v[94:95], v[102:103], v[14:15]
	v_fma_f64 v[47:48], v[92:93], v[102:103], v[47:48]
	;; [unrolled: 2-line block ×4, first 2 shown]
	s_waitcnt vmcnt(3)
	v_fma_f64 v[37:38], v[2:3], v[104:105], v[37:38]
	v_fma_f64 v[49:50], v[4:5], v[104:105], v[39:40]
	s_waitcnt vmcnt(2)
	v_fma_f64 v[14:15], v[6:7], v[104:105], v[14:15]
	v_fma_f64 v[47:48], v[8:9], v[104:105], v[47:48]
	;; [unrolled: 3-line block ×4, first 2 shown]
	v_fma_f64 v[39:40], -v[4:5], v[106:107], v[37:38]
	v_fma_f64 v[35:36], v[2:3], v[106:107], v[49:50]
	v_fma_f64 v[45:46], -v[8:9], v[106:107], v[14:15]
	v_fma_f64 v[37:38], v[6:7], v[106:107], v[47:48]
	;; [unrolled: 2-line block ×4, first 2 shown]
	s_and_not1_b32 exec_lo, exec_lo, s7
	s_cbranch_execnz .LBB39_35
; %bb.36:
	s_or_b32 exec_lo, exec_lo, s7
.LBB39_37:
	s_delay_alu instid0(SALU_CYCLE_1)
	s_or_b32 exec_lo, exec_lo, s6
.LBB39_38:
	s_delay_alu instid0(SALU_CYCLE_1)
	s_or_b32 exec_lo, exec_lo, s1
.LBB39_39:
	v_mbcnt_lo_u32_b32 v47, -1, 0
	s_delay_alu instid0(VALU_DEP_1) | instskip(SKIP_1) | instid1(VALU_DEP_2)
	v_or_b32_e32 v0, 32, v47
	v_xor_b32_e32 v25, 16, v47
	v_cmp_gt_i32_e32 vcc_lo, 32, v0
	v_cndmask_b32_e32 v0, v47, v0, vcc_lo
	s_delay_alu instid0(VALU_DEP_3) | instskip(NEXT) | instid1(VALU_DEP_2)
	v_cmp_gt_i32_e32 vcc_lo, 32, v25
	v_lshlrev_b32_e32 v15, 2, v0
	v_cndmask_b32_e32 v25, v47, v25, vcc_lo
	ds_bpermute_b32 v0, v15, v39
	ds_bpermute_b32 v1, v15, v40
	;; [unrolled: 1-line block ×16, first 2 shown]
	s_waitcnt lgkmcnt(0)
	v_add_f64 v[0:1], v[39:40], v[0:1]
	v_lshlrev_b32_e32 v40, 2, v25
	v_add_f64 v[2:3], v[35:36], v[2:3]
	v_add_f64 v[4:5], v[45:46], v[4:5]
	;; [unrolled: 1-line block ×7, first 2 shown]
	ds_bpermute_b32 v25, v40, v0
	ds_bpermute_b32 v26, v40, v1
	;; [unrolled: 1-line block ×16, first 2 shown]
	s_waitcnt lgkmcnt(14)
	v_add_f64 v[0:1], v[0:1], v[25:26]
	v_xor_b32_e32 v25, 8, v47
	s_waitcnt lgkmcnt(12)
	v_add_f64 v[2:3], v[2:3], v[27:28]
	s_waitcnt lgkmcnt(10)
	v_add_f64 v[4:5], v[4:5], v[29:30]
	;; [unrolled: 2-line block ×3, first 2 shown]
	v_cmp_gt_i32_e32 vcc_lo, 32, v25
	s_waitcnt lgkmcnt(6)
	v_add_f64 v[8:9], v[8:9], v[33:34]
	s_waitcnt lgkmcnt(4)
	v_add_f64 v[10:11], v[10:11], v[35:36]
	;; [unrolled: 2-line block ×3, first 2 shown]
	v_cndmask_b32_e32 v25, v47, v25, vcc_lo
	s_waitcnt lgkmcnt(0)
	v_add_f64 v[14:15], v[14:15], v[39:40]
	s_delay_alu instid0(VALU_DEP_2)
	v_lshlrev_b32_e32 v40, 2, v25
	ds_bpermute_b32 v25, v40, v0
	ds_bpermute_b32 v26, v40, v1
	;; [unrolled: 1-line block ×16, first 2 shown]
	s_waitcnt lgkmcnt(14)
	v_add_f64 v[0:1], v[0:1], v[25:26]
	v_xor_b32_e32 v25, 4, v47
	s_waitcnt lgkmcnt(12)
	v_add_f64 v[2:3], v[2:3], v[27:28]
	s_waitcnt lgkmcnt(10)
	v_add_f64 v[4:5], v[4:5], v[29:30]
	;; [unrolled: 2-line block ×3, first 2 shown]
	v_cmp_gt_i32_e32 vcc_lo, 32, v25
	s_waitcnt lgkmcnt(6)
	v_add_f64 v[8:9], v[8:9], v[33:34]
	s_waitcnt lgkmcnt(4)
	v_add_f64 v[10:11], v[10:11], v[35:36]
	;; [unrolled: 2-line block ×3, first 2 shown]
	v_cndmask_b32_e32 v25, v47, v25, vcc_lo
	s_waitcnt lgkmcnt(0)
	v_add_f64 v[14:15], v[14:15], v[39:40]
	s_delay_alu instid0(VALU_DEP_2)
	v_lshlrev_b32_e32 v40, 2, v25
	ds_bpermute_b32 v25, v40, v0
	ds_bpermute_b32 v26, v40, v1
	;; [unrolled: 1-line block ×16, first 2 shown]
	s_waitcnt lgkmcnt(14)
	v_add_f64 v[0:1], v[0:1], v[25:26]
	s_waitcnt lgkmcnt(12)
	v_add_f64 v[2:3], v[2:3], v[27:28]
	;; [unrolled: 2-line block ×8, first 2 shown]
	v_xor_b32_e32 v14, 2, v47
	s_delay_alu instid0(VALU_DEP_1) | instskip(SKIP_1) | instid1(VALU_DEP_1)
	v_cmp_gt_i32_e32 vcc_lo, 32, v14
	v_cndmask_b32_e32 v14, v47, v14, vcc_lo
	v_lshlrev_b32_e32 v40, 2, v14
	ds_bpermute_b32 v14, v40, v0
	ds_bpermute_b32 v15, v40, v1
	;; [unrolled: 1-line block ×16, first 2 shown]
	s_waitcnt lgkmcnt(14)
	v_add_f64 v[0:1], v[0:1], v[14:15]
	s_waitcnt lgkmcnt(12)
	v_add_f64 v[27:28], v[2:3], v[27:28]
	;; [unrolled: 2-line block ×7, first 2 shown]
	v_xor_b32_e32 v12, 1, v47
	s_waitcnt lgkmcnt(0)
	v_add_f64 v[8:9], v[25:26], v[39:40]
	s_delay_alu instid0(VALU_DEP_2) | instskip(SKIP_2) | instid1(VALU_DEP_2)
	v_cmp_gt_i32_e32 vcc_lo, 32, v12
	v_cndmask_b32_e32 v12, v47, v12, vcc_lo
	v_cmp_eq_u32_e32 vcc_lo, 63, v55
	v_lshlrev_b32_e32 v34, 2, v12
	ds_bpermute_b32 v12, v34, v0
	ds_bpermute_b32 v13, v34, v1
	;; [unrolled: 1-line block ×16, first 2 shown]
	s_and_b32 exec_lo, exec_lo, vcc_lo
	s_cbranch_execz .LBB39_12
; %bb.40:
	s_waitcnt lgkmcnt(12)
	v_add_f64 v[27:28], v[27:28], v[39:40]
	s_waitcnt lgkmcnt(8)
	v_add_f64 v[14:15], v[14:15], v[37:38]
	;; [unrolled: 2-line block ×4, first 2 shown]
	v_add_f64 v[0:1], v[0:1], v[12:13]
	v_add_f64 v[2:3], v[2:3], v[25:26]
	;; [unrolled: 1-line block ×4, first 2 shown]
	v_cmp_eq_f64_e32 vcc_lo, 0, v[16:17]
	v_cmp_eq_f64_e64 s0, 0, v[18:19]
	s_load_b64 s[2:3], s[2:3], 0x60
	v_mul_f64 v[4:5], v[27:28], -v[22:23]
	v_mul_f64 v[6:7], v[20:21], v[27:28]
	v_mul_f64 v[27:28], v[14:15], -v[22:23]
	v_mul_f64 v[31:32], v[20:21], v[14:15]
	;; [unrolled: 2-line block ×4, first 2 shown]
	s_and_b32 s0, vcc_lo, s0
	v_fma_f64 v[12:13], v[20:21], v[0:1], v[4:5]
	v_fma_f64 v[14:15], v[22:23], v[0:1], v[6:7]
	;; [unrolled: 1-line block ×8, first 2 shown]
	v_lshlrev_b32_e32 v20, 2, v24
	s_and_saveexec_b32 s1, s0
	s_delay_alu instid0(SALU_CYCLE_1)
	s_xor_b32 s0, exec_lo, s1
	s_cbranch_execz .LBB39_42
; %bb.41:
	s_delay_alu instid0(VALU_DEP_1) | instskip(NEXT) | instid1(VALU_DEP_1)
	v_ashrrev_i32_e32 v21, 31, v20
                                        ; implicit-def: $vgpr18_vgpr19
	v_lshlrev_b64 v[16:17], 4, v[20:21]
                                        ; implicit-def: $vgpr20
	s_waitcnt lgkmcnt(0)
	s_delay_alu instid0(VALU_DEP_1) | instskip(NEXT) | instid1(VALU_DEP_2)
	v_add_co_u32 v16, vcc_lo, s2, v16
	v_add_co_ci_u32_e32 v17, vcc_lo, s3, v17, vcc_lo
	s_clause 0x3
	global_store_b128 v[16:17], v[12:15], off
	global_store_b128 v[16:17], v[8:11], off offset:16
	global_store_b128 v[16:17], v[4:7], off offset:32
	;; [unrolled: 1-line block ×3, first 2 shown]
                                        ; implicit-def: $vgpr16_vgpr17
                                        ; implicit-def: $vgpr12_vgpr13
                                        ; implicit-def: $vgpr8_vgpr9
                                        ; implicit-def: $vgpr4_vgpr5
                                        ; implicit-def: $vgpr0_vgpr1
.LBB39_42:
	s_and_not1_saveexec_b32 s0, s0
	s_cbranch_execz .LBB39_12
; %bb.43:
	v_ashrrev_i32_e32 v21, 31, v20
	s_delay_alu instid0(VALU_DEP_1) | instskip(SKIP_1) | instid1(VALU_DEP_1)
	v_lshlrev_b64 v[20:21], 4, v[20:21]
	s_waitcnt lgkmcnt(0)
	v_add_co_u32 v36, vcc_lo, s2, v20
	s_delay_alu instid0(VALU_DEP_2)
	v_add_co_ci_u32_e32 v37, vcc_lo, s3, v21, vcc_lo
	s_clause 0x3
	global_load_b128 v[20:23], v[36:37], off
	global_load_b128 v[24:27], v[36:37], off offset:16
	global_load_b128 v[28:31], v[36:37], off offset:32
	;; [unrolled: 1-line block ×3, first 2 shown]
	s_waitcnt vmcnt(3)
	v_fma_f64 v[12:13], v[16:17], v[20:21], v[12:13]
	v_fma_f64 v[14:15], v[18:19], v[20:21], v[14:15]
	s_waitcnt vmcnt(2)
	v_fma_f64 v[8:9], v[16:17], v[24:25], v[8:9]
	v_fma_f64 v[10:11], v[18:19], v[24:25], v[10:11]
	;; [unrolled: 3-line block ×4, first 2 shown]
	v_fma_f64 v[0:1], -v[18:19], v[22:23], v[12:13]
	v_fma_f64 v[2:3], v[16:17], v[22:23], v[14:15]
	v_fma_f64 v[4:5], -v[18:19], v[26:27], v[8:9]
	v_fma_f64 v[6:7], v[16:17], v[26:27], v[10:11]
	;; [unrolled: 2-line block ×4, first 2 shown]
	s_clause 0x3
	global_store_b128 v[36:37], v[0:3], off
	global_store_b128 v[36:37], v[4:7], off offset:16
	global_store_b128 v[36:37], v[8:11], off offset:32
	;; [unrolled: 1-line block ×3, first 2 shown]
	s_nop 0
	s_sendmsg sendmsg(MSG_DEALLOC_VGPRS)
	s_endpgm
	.section	.rodata,"a",@progbits
	.p2align	6, 0x0
	.amdhsa_kernel _ZN9rocsparseL18bsrxmvn_4x4_kernelILj128ELj64E21rocsparse_complex_numIdEliS2_S2_S2_EEvT3_20rocsparse_direction_NS_24const_host_device_scalarIT1_EES3_PKS3_PKT2_SC_S9_PKT4_PKT5_S7_PT6_21rocsparse_index_base_b
		.amdhsa_group_segment_fixed_size 2048
		.amdhsa_private_segment_fixed_size 0
		.amdhsa_kernarg_size 112
		.amdhsa_user_sgpr_count 15
		.amdhsa_user_sgpr_dispatch_ptr 1
		.amdhsa_user_sgpr_queue_ptr 0
		.amdhsa_user_sgpr_kernarg_segment_ptr 1
		.amdhsa_user_sgpr_dispatch_id 0
		.amdhsa_user_sgpr_private_segment_size 0
		.amdhsa_wavefront_size32 1
		.amdhsa_uses_dynamic_stack 0
		.amdhsa_enable_private_segment 0
		.amdhsa_system_sgpr_workgroup_id_x 1
		.amdhsa_system_sgpr_workgroup_id_y 0
		.amdhsa_system_sgpr_workgroup_id_z 0
		.amdhsa_system_sgpr_workgroup_info 0
		.amdhsa_system_vgpr_workitem_id 2
		.amdhsa_next_free_vgpr 159
		.amdhsa_next_free_sgpr 18
		.amdhsa_reserve_vcc 1
		.amdhsa_float_round_mode_32 0
		.amdhsa_float_round_mode_16_64 0
		.amdhsa_float_denorm_mode_32 3
		.amdhsa_float_denorm_mode_16_64 3
		.amdhsa_dx10_clamp 1
		.amdhsa_ieee_mode 1
		.amdhsa_fp16_overflow 0
		.amdhsa_workgroup_processor_mode 1
		.amdhsa_memory_ordered 1
		.amdhsa_forward_progress 0
		.amdhsa_shared_vgpr_count 0
		.amdhsa_exception_fp_ieee_invalid_op 0
		.amdhsa_exception_fp_denorm_src 0
		.amdhsa_exception_fp_ieee_div_zero 0
		.amdhsa_exception_fp_ieee_overflow 0
		.amdhsa_exception_fp_ieee_underflow 0
		.amdhsa_exception_fp_ieee_inexact 0
		.amdhsa_exception_int_div_zero 0
	.end_amdhsa_kernel
	.section	.text._ZN9rocsparseL18bsrxmvn_4x4_kernelILj128ELj64E21rocsparse_complex_numIdEliS2_S2_S2_EEvT3_20rocsparse_direction_NS_24const_host_device_scalarIT1_EES3_PKS3_PKT2_SC_S9_PKT4_PKT5_S7_PT6_21rocsparse_index_base_b,"axG",@progbits,_ZN9rocsparseL18bsrxmvn_4x4_kernelILj128ELj64E21rocsparse_complex_numIdEliS2_S2_S2_EEvT3_20rocsparse_direction_NS_24const_host_device_scalarIT1_EES3_PKS3_PKT2_SC_S9_PKT4_PKT5_S7_PT6_21rocsparse_index_base_b,comdat
.Lfunc_end39:
	.size	_ZN9rocsparseL18bsrxmvn_4x4_kernelILj128ELj64E21rocsparse_complex_numIdEliS2_S2_S2_EEvT3_20rocsparse_direction_NS_24const_host_device_scalarIT1_EES3_PKS3_PKT2_SC_S9_PKT4_PKT5_S7_PT6_21rocsparse_index_base_b, .Lfunc_end39-_ZN9rocsparseL18bsrxmvn_4x4_kernelILj128ELj64E21rocsparse_complex_numIdEliS2_S2_S2_EEvT3_20rocsparse_direction_NS_24const_host_device_scalarIT1_EES3_PKS3_PKT2_SC_S9_PKT4_PKT5_S7_PT6_21rocsparse_index_base_b
                                        ; -- End function
	.section	.AMDGPU.csdata,"",@progbits
; Kernel info:
; codeLenInByte = 11760
; NumSgprs: 20
; NumVgprs: 159
; ScratchSize: 0
; MemoryBound: 1
; FloatMode: 240
; IeeeMode: 1
; LDSByteSize: 2048 bytes/workgroup (compile time only)
; SGPRBlocks: 2
; VGPRBlocks: 19
; NumSGPRsForWavesPerEU: 20
; NumVGPRsForWavesPerEU: 159
; Occupancy: 9
; WaveLimiterHint : 1
; COMPUTE_PGM_RSRC2:SCRATCH_EN: 0
; COMPUTE_PGM_RSRC2:USER_SGPR: 15
; COMPUTE_PGM_RSRC2:TRAP_HANDLER: 0
; COMPUTE_PGM_RSRC2:TGID_X_EN: 1
; COMPUTE_PGM_RSRC2:TGID_Y_EN: 0
; COMPUTE_PGM_RSRC2:TGID_Z_EN: 0
; COMPUTE_PGM_RSRC2:TIDIG_COMP_CNT: 2
	.section	.text._ZN9rocsparseL18bsrxmvn_4x4_kernelILj128ELj4EfllfffEEvT3_20rocsparse_direction_NS_24const_host_device_scalarIT1_EES1_PKS1_PKT2_SA_S7_PKT4_PKT5_S5_PT6_21rocsparse_index_base_b,"axG",@progbits,_ZN9rocsparseL18bsrxmvn_4x4_kernelILj128ELj4EfllfffEEvT3_20rocsparse_direction_NS_24const_host_device_scalarIT1_EES1_PKS1_PKT2_SA_S7_PKT4_PKT5_S5_PT6_21rocsparse_index_base_b,comdat
	.globl	_ZN9rocsparseL18bsrxmvn_4x4_kernelILj128ELj4EfllfffEEvT3_20rocsparse_direction_NS_24const_host_device_scalarIT1_EES1_PKS1_PKT2_SA_S7_PKT4_PKT5_S5_PT6_21rocsparse_index_base_b ; -- Begin function _ZN9rocsparseL18bsrxmvn_4x4_kernelILj128ELj4EfllfffEEvT3_20rocsparse_direction_NS_24const_host_device_scalarIT1_EES1_PKS1_PKT2_SA_S7_PKT4_PKT5_S5_PT6_21rocsparse_index_base_b
	.p2align	8
	.type	_ZN9rocsparseL18bsrxmvn_4x4_kernelILj128ELj4EfllfffEEvT3_20rocsparse_direction_NS_24const_host_device_scalarIT1_EES1_PKS1_PKT2_SA_S7_PKT4_PKT5_S5_PT6_21rocsparse_index_base_b,@function
_ZN9rocsparseL18bsrxmvn_4x4_kernelILj128ELj4EfllfffEEvT3_20rocsparse_direction_NS_24const_host_device_scalarIT1_EES1_PKS1_PKT2_SA_S7_PKT4_PKT5_S5_PT6_21rocsparse_index_base_b: ; @_ZN9rocsparseL18bsrxmvn_4x4_kernelILj128ELj4EfllfffEEvT3_20rocsparse_direction_NS_24const_host_device_scalarIT1_EES1_PKS1_PKT2_SA_S7_PKT4_PKT5_S5_PT6_21rocsparse_index_base_b
; %bb.0:
	s_clause 0x2
	s_load_b64 s[20:21], s[0:1], 0x60
	s_load_b128 s[16:19], s[0:1], 0x10
	s_load_b64 s[12:13], s[0:1], 0x50
	s_waitcnt lgkmcnt(0)
	s_bitcmp1_b32 s21, 0
	s_cselect_b32 s2, -1, 0
	s_delay_alu instid0(SALU_CYCLE_1)
	s_and_b32 vcc_lo, exec_lo, s2
	s_xor_b32 s2, s2, -1
	s_cbranch_vccnz .LBB40_2
; %bb.1:
	s_load_b32 s16, s[16:17], 0x0
.LBB40_2:
	s_and_not1_b32 vcc_lo, exec_lo, s2
	s_cbranch_vccnz .LBB40_4
; %bb.3:
	s_load_b32 s12, s[12:13], 0x0
.LBB40_4:
	s_waitcnt lgkmcnt(0)
	v_cmp_neq_f32_e64 s2, s16, 0
	v_cmp_neq_f32_e64 s3, s12, 1.0
	s_mov_b32 s4, 0
	s_delay_alu instid0(VALU_DEP_1) | instskip(NEXT) | instid1(SALU_CYCLE_1)
	s_or_b32 s2, s2, s3
	s_and_not1_b32 vcc_lo, exec_lo, s2
	s_cbranch_vccnz .LBB40_10
; %bb.5:
	s_load_b64 s[2:3], s[0:1], 0x20
	v_lshrrev_b32_e32 v1, 2, v0
	v_mov_b32_e32 v2, 0
	s_delay_alu instid0(VALU_DEP_2)
	v_lshl_or_b32 v1, s15, 5, v1
	s_waitcnt lgkmcnt(0)
	s_cmp_lg_u64 s[2:3], 0
	s_cbranch_scc0 .LBB40_11
; %bb.6:
	s_mov_b32 s5, 0
	s_mov_b32 s6, exec_lo
                                        ; implicit-def: $vgpr3_vgpr4
	v_cmpx_gt_i64_e64 s[18:19], v[1:2]
	s_xor_b32 s6, exec_lo, s6
                                        ; implicit-def: $sgpr14_sgpr15
	s_cbranch_execz .LBB40_8
; %bb.7:
	v_lshlrev_b64 v[3:4], 3, v[1:2]
	s_mov_b32 s4, exec_lo
	s_mov_b32 s15, 0
	s_delay_alu instid0(VALU_DEP_1) | instskip(NEXT) | instid1(VALU_DEP_2)
	v_add_co_u32 v3, vcc_lo, s2, v3
	v_add_co_ci_u32_e32 v4, vcc_lo, s3, v4, vcc_lo
	global_load_b64 v[3:4], v[3:4], off
	s_waitcnt vmcnt(0)
	v_sub_co_u32 v3, vcc_lo, v3, s20
	v_subrev_co_ci_u32_e32 v4, vcc_lo, 0, v4, vcc_lo
.LBB40_8:
	s_or_b32 exec_lo, exec_lo, s6
	s_delay_alu instid0(SALU_CYCLE_1)
	s_and_b32 vcc_lo, exec_lo, s5
	s_cbranch_vccnz .LBB40_12
.LBB40_9:
	s_and_saveexec_b32 s2, s4
	s_cbranch_execnz .LBB40_15
.LBB40_10:
	s_nop 0
	s_sendmsg sendmsg(MSG_DEALLOC_VGPRS)
	s_endpgm
.LBB40_11:
                                        ; implicit-def: $vgpr3_vgpr4
                                        ; implicit-def: $sgpr14_sgpr15
	s_cbranch_execz .LBB40_9
.LBB40_12:
	s_load_b64 s[2:3], s[0:1], 0x0
                                        ; implicit-def: $vgpr3_vgpr4
	s_waitcnt lgkmcnt(0)
	v_cmp_gt_i64_e32 vcc_lo, s[2:3], v[1:2]
	s_and_saveexec_b32 s2, vcc_lo
                                        ; implicit-def: $sgpr14_sgpr15
; %bb.13:
	v_dual_mov_b32 v4, v2 :: v_dual_mov_b32 v3, v1
	s_mov_b32 s15, 0
	s_or_b32 s4, s4, exec_lo
; %bb.14:
	s_or_b32 exec_lo, exec_lo, s2
	s_and_saveexec_b32 s2, s4
	s_cbranch_execz .LBB40_10
.LBB40_15:
	s_load_b256 s[4:11], s[0:1], 0x28
	v_lshlrev_b64 v[1:2], 3, v[3:4]
	s_load_b32 s3, s[0:1], 0x8
	v_mov_b32_e32 v21, 0
	s_waitcnt lgkmcnt(0)
	s_delay_alu instid0(VALU_DEP_2) | instskip(NEXT) | instid1(VALU_DEP_3)
	v_add_co_u32 v5, vcc_lo, s4, v1
	v_add_co_ci_u32_e32 v6, vcc_lo, s5, v2, vcc_lo
	v_add_co_u32 v1, vcc_lo, s6, v1
	v_add_co_ci_u32_e32 v2, vcc_lo, s7, v2, vcc_lo
	s_delay_alu instid0(VALU_DEP_4)
	v_add_co_u32 v7, vcc_lo, v5, 8
	global_load_b64 v[9:10], v[5:6], off
	v_add_co_ci_u32_e32 v8, vcc_lo, 0, v6, vcc_lo
	s_cmp_eq_u64 s[6:7], 0
	s_load_b64 s[4:5], s[0:1], 0x48
	s_cselect_b32 vcc_lo, -1, 0
	s_cmp_eq_u32 s3, 1
	v_dual_cndmask_b32 v2, v2, v8 :: v_dual_cndmask_b32 v1, v1, v7
	global_load_b64 v[5:6], v[1:2], off
	v_and_b32_e32 v2, 3, v0
	s_waitcnt vmcnt(1)
	v_sub_co_u32 v0, vcc_lo, v9, s20
	v_subrev_co_ci_u32_e32 v1, vcc_lo, s15, v10, vcc_lo
	s_delay_alu instid0(VALU_DEP_2) | instskip(NEXT) | instid1(VALU_DEP_2)
	v_add_co_u32 v0, vcc_lo, v0, v2
	v_add_co_ci_u32_e32 v1, vcc_lo, 0, v1, vcc_lo
	s_delay_alu instid0(VALU_DEP_1) | instskip(SKIP_3) | instid1(VALU_DEP_3)
	v_lshlrev_b64 v[7:8], 6, v[0:1]
	s_waitcnt vmcnt(0)
	v_sub_co_u32 v5, vcc_lo, v5, s20
	v_subrev_co_ci_u32_e32 v6, vcc_lo, s15, v6, vcc_lo
	v_add_co_u32 v7, vcc_lo, s10, v7
	s_delay_alu instid0(VALU_DEP_2)
	v_cmp_lt_i64_e64 s2, v[0:1], v[5:6]
	v_add_co_ci_u32_e32 v8, vcc_lo, s11, v8, vcc_lo
	s_cbranch_scc1 .LBB40_27
; %bb.16:
	v_dual_mov_b32 v23, 0 :: v_dual_mov_b32 v24, 0
	v_mov_b32_e32 v22, 0
	s_mov_b32 s6, 0
	s_and_saveexec_b32 s7, s2
	s_cbranch_execz .LBB40_26
; %bb.17:
	v_or_b32_e32 v11, 4, v2
	v_not_b32_e32 v14, v9
	v_not_b32_e32 v13, v10
	v_mov_b32_e32 v23, 0
	v_mov_b32_e32 v21, 0
	v_sub_co_u32 v11, s3, v11, s20
	s_delay_alu instid0(VALU_DEP_1) | instskip(SKIP_1) | instid1(VALU_DEP_3)
	v_sub_co_ci_u32_e64 v12, null, 0, s15, s3
	v_sub_co_u32 v15, s3, s20, v2
	v_add_co_u32 v11, vcc_lo, v11, v9
	s_delay_alu instid0(VALU_DEP_3) | instskip(SKIP_2) | instid1(VALU_DEP_2)
	v_add_co_ci_u32_e32 v12, vcc_lo, v12, v10, vcc_lo
	v_sub_co_ci_u32_e64 v16, null, s15, 0, s3
	s_mov_b32 s3, exec_lo
	v_cmp_gt_i64_e32 vcc_lo, v[11:12], v[5:6]
	v_mov_b32_e32 v22, 0
	v_mov_b32_e32 v24, 0
	v_dual_cndmask_b32 v12, v6, v12 :: v_dual_cndmask_b32 v11, v5, v11
	v_add_co_u32 v14, vcc_lo, v15, v14
	v_add_co_ci_u32_e32 v13, vcc_lo, v16, v13, vcc_lo
	s_delay_alu instid0(VALU_DEP_2) | instskip(NEXT) | instid1(VALU_DEP_2)
	v_add_co_u32 v15, vcc_lo, v14, v11
	v_add_co_ci_u32_e32 v16, vcc_lo, v13, v12, vcc_lo
	v_mov_b32_e32 v14, v8
	s_delay_alu instid0(VALU_DEP_3) | instskip(SKIP_1) | instid1(VALU_DEP_2)
	v_lshrrev_b32_e32 v11, 2, v15
	v_mov_b32_e32 v13, v7
	v_add_nc_u32_e32 v11, 1, v11
	s_delay_alu instid0(VALU_DEP_1) | instskip(SKIP_1) | instid1(VALU_DEP_2)
	v_dual_mov_b32 v12, v1 :: v_dual_and_b32 v17, 3, v11
	v_mov_b32_e32 v11, v0
	v_cmpx_ne_u32_e32 0, v17
	s_cbranch_execz .LBB40_21
; %bb.18:
	v_lshlrev_b64 v[11:12], 3, v[0:1]
	v_dual_mov_b32 v18, 0 :: v_dual_lshlrev_b32 v17, 3, v17
	v_dual_mov_b32 v14, v8 :: v_dual_mov_b32 v13, v7
	s_mov_b32 s10, 0
	s_delay_alu instid0(VALU_DEP_3) | instskip(NEXT) | instid1(VALU_DEP_4)
	v_add_co_u32 v19, vcc_lo, s8, v11
	v_add_co_ci_u32_e32 v20, vcc_lo, s9, v12, vcc_lo
	v_dual_mov_b32 v12, v1 :: v_dual_mov_b32 v11, v0
	v_mov_b32_e32 v21, v18
	v_mov_b32_e32 v23, v18
	;; [unrolled: 1-line block ×4, first 2 shown]
.LBB40_19:                              ; =>This Inner Loop Header: Depth=1
	global_load_b64 v[41:42], v[19:20], off
	s_clause 0x3
	global_load_b128 v[25:28], v[13:14], off offset:48
	global_load_b128 v[29:32], v[13:14], off offset:32
	;; [unrolled: 1-line block ×3, first 2 shown]
	global_load_b128 v[37:40], v[13:14], off
	s_waitcnt vmcnt(4)
	v_sub_co_u32 v41, vcc_lo, v41, s20
	v_subrev_co_ci_u32_e32 v42, vcc_lo, s15, v42, vcc_lo
	s_delay_alu instid0(VALU_DEP_1) | instskip(SKIP_1) | instid1(VALU_DEP_1)
	v_lshlrev_b64 v[41:42], 4, v[41:42]
	s_waitcnt lgkmcnt(0)
	v_add_co_u32 v41, vcc_lo, s4, v41
	s_delay_alu instid0(VALU_DEP_2)
	v_add_co_ci_u32_e32 v42, vcc_lo, s5, v42, vcc_lo
	v_add_co_u32 v13, vcc_lo, 0x100, v13
	v_add_co_ci_u32_e32 v14, vcc_lo, 0, v14, vcc_lo
	global_load_b128 v[41:44], v[41:42], off
	v_add_co_u32 v11, vcc_lo, v11, 4
	v_add_co_ci_u32_e32 v12, vcc_lo, 0, v12, vcc_lo
	v_add_co_u32 v19, vcc_lo, v19, 32
	v_add_co_ci_u32_e32 v20, vcc_lo, 0, v20, vcc_lo
	v_add_co_u32 v17, vcc_lo, v17, -8
	v_add_co_ci_u32_e32 v18, vcc_lo, -1, v18, vcc_lo
	s_delay_alu instid0(VALU_DEP_1)
	v_cmp_eq_u64_e32 vcc_lo, 0, v[17:18]
	s_or_b32 s10, vcc_lo, s10
	s_waitcnt vmcnt(0)
	v_fmac_f32_e32 v23, v29, v41
	v_fmac_f32_e32 v22, v37, v41
	;; [unrolled: 1-line block ×3, first 2 shown]
	s_delay_alu instid0(VALU_DEP_3) | instskip(NEXT) | instid1(VALU_DEP_3)
	v_dual_fmac_f32 v24, v33, v41 :: v_dual_fmac_f32 v23, v30, v42
	v_fmac_f32_e32 v22, v38, v42
	s_delay_alu instid0(VALU_DEP_3) | instskip(NEXT) | instid1(VALU_DEP_3)
	v_fmac_f32_e32 v21, v26, v42
	v_dual_fmac_f32 v24, v34, v42 :: v_dual_fmac_f32 v23, v31, v43
	s_delay_alu instid0(VALU_DEP_3) | instskip(NEXT) | instid1(VALU_DEP_3)
	v_fmac_f32_e32 v22, v39, v43
	v_fmac_f32_e32 v21, v27, v43
	s_delay_alu instid0(VALU_DEP_3) | instskip(NEXT) | instid1(VALU_DEP_3)
	v_dual_fmac_f32 v24, v35, v43 :: v_dual_fmac_f32 v23, v32, v44
	v_fmac_f32_e32 v22, v40, v44
	s_delay_alu instid0(VALU_DEP_3) | instskip(NEXT) | instid1(VALU_DEP_3)
	v_fmac_f32_e32 v21, v28, v44
	v_fmac_f32_e32 v24, v36, v44
	s_and_not1_b32 exec_lo, exec_lo, s10
	s_cbranch_execnz .LBB40_19
; %bb.20:
	s_or_b32 exec_lo, exec_lo, s10
.LBB40_21:
	s_delay_alu instid0(SALU_CYCLE_1) | instskip(NEXT) | instid1(SALU_CYCLE_1)
	s_or_b32 exec_lo, exec_lo, s3
	s_mov_b32 s10, exec_lo
	v_cmpx_lt_u64_e32 11, v[15:16]
	s_cbranch_execz .LBB40_25
; %bb.22:
	v_lshlrev_b64 v[15:16], 3, v[11:12]
	s_mov_b32 s11, 0
	s_delay_alu instid0(VALU_DEP_1) | instskip(NEXT) | instid1(VALU_DEP_2)
	v_add_co_u32 v15, vcc_lo, v15, s8
	v_add_co_ci_u32_e32 v16, vcc_lo, s9, v16, vcc_lo
	s_delay_alu instid0(VALU_DEP_2) | instskip(NEXT) | instid1(VALU_DEP_2)
	v_add_co_u32 v15, vcc_lo, v15, 64
	v_add_co_ci_u32_e32 v16, vcc_lo, 0, v16, vcc_lo
.LBB40_23:                              ; =>This Inner Loop Header: Depth=1
	s_clause 0x3
	global_load_b64 v[85:86], v[15:16], off offset:-64
	global_load_b64 v[87:88], v[15:16], off offset:-32
	global_load_b64 v[89:90], v[15:16], off
	global_load_b64 v[96:97], v[15:16], off offset:32
	s_clause 0xf
	global_load_b128 v[17:20], v[13:14], off offset:48
	global_load_b128 v[25:28], v[13:14], off offset:32
	global_load_b128 v[29:32], v[13:14], off offset:16
	global_load_b128 v[33:36], v[13:14], off
	global_load_b128 v[37:40], v[13:14], off offset:304
	global_load_b128 v[41:44], v[13:14], off offset:288
	;; [unrolled: 1-line block ×12, first 2 shown]
	s_waitcnt vmcnt(19)
	v_sub_co_u32 v85, vcc_lo, v85, s20
	v_subrev_co_ci_u32_e32 v86, vcc_lo, s15, v86, vcc_lo
	s_waitcnt vmcnt(18)
	v_sub_co_u32 v91, vcc_lo, v87, s20
	v_subrev_co_ci_u32_e32 v92, vcc_lo, s15, v88, vcc_lo
	s_delay_alu instid0(VALU_DEP_3)
	v_lshlrev_b64 v[85:86], 4, v[85:86]
	s_waitcnt vmcnt(17)
	v_sub_co_u32 v93, vcc_lo, v89, s20
	v_subrev_co_ci_u32_e32 v94, vcc_lo, s15, v90, vcc_lo
	v_lshlrev_b64 v[89:90], 4, v[91:92]
	s_waitcnt lgkmcnt(0)
	v_add_co_u32 v85, s3, s4, v85
	s_delay_alu instid0(VALU_DEP_1) | instskip(SKIP_1) | instid1(VALU_DEP_4)
	v_add_co_ci_u32_e64 v86, s3, s5, v86, s3
	v_lshlrev_b64 v[93:94], 4, v[93:94]
	v_add_co_u32 v89, vcc_lo, s4, v89
	global_load_b128 v[85:88], v[85:86], off
	v_add_co_ci_u32_e32 v90, vcc_lo, s5, v90, vcc_lo
	v_add_co_u32 v93, s3, s4, v93
	s_delay_alu instid0(VALU_DEP_1)
	v_add_co_ci_u32_e64 v94, s3, s5, v94, s3
	global_load_b128 v[89:92], v[89:90], off
	s_waitcnt vmcnt(18)
	v_sub_co_u32 v98, vcc_lo, v96, s20
	global_load_b128 v[93:96], v[93:94], off
	v_subrev_co_ci_u32_e32 v99, vcc_lo, s15, v97, vcc_lo
	s_delay_alu instid0(VALU_DEP_1) | instskip(NEXT) | instid1(VALU_DEP_1)
	v_lshlrev_b64 v[97:98], 4, v[98:99]
	v_add_co_u32 v97, vcc_lo, s4, v97
	s_delay_alu instid0(VALU_DEP_2)
	v_add_co_ci_u32_e32 v98, vcc_lo, s5, v98, vcc_lo
	v_add_co_u32 v13, vcc_lo, 0x400, v13
	v_add_co_ci_u32_e32 v14, vcc_lo, 0, v14, vcc_lo
	global_load_b128 v[97:100], v[97:98], off
	v_add_co_u32 v11, vcc_lo, v11, 16
	v_add_co_ci_u32_e32 v12, vcc_lo, 0, v12, vcc_lo
	v_add_co_u32 v15, vcc_lo, 0x80, v15
	v_add_co_ci_u32_e32 v16, vcc_lo, 0, v16, vcc_lo
	s_delay_alu instid0(VALU_DEP_3)
	v_cmp_ge_i64_e32 vcc_lo, v[11:12], v[5:6]
	s_or_b32 s11, vcc_lo, s11
	s_waitcnt vmcnt(3)
	v_fmac_f32_e32 v23, v25, v85
	v_fmac_f32_e32 v22, v33, v85
	;; [unrolled: 1-line block ×3, first 2 shown]
	s_delay_alu instid0(VALU_DEP_3) | instskip(NEXT) | instid1(VALU_DEP_3)
	v_dual_fmac_f32 v24, v29, v85 :: v_dual_fmac_f32 v23, v26, v86
	v_fmac_f32_e32 v22, v34, v86
	s_delay_alu instid0(VALU_DEP_3) | instskip(NEXT) | instid1(VALU_DEP_3)
	v_fmac_f32_e32 v21, v18, v86
	v_dual_fmac_f32 v24, v30, v86 :: v_dual_fmac_f32 v23, v27, v87
	s_delay_alu instid0(VALU_DEP_3) | instskip(NEXT) | instid1(VALU_DEP_3)
	v_fmac_f32_e32 v22, v35, v87
	v_fmac_f32_e32 v21, v19, v87
	s_delay_alu instid0(VALU_DEP_3) | instskip(NEXT) | instid1(VALU_DEP_3)
	v_dual_fmac_f32 v24, v31, v87 :: v_dual_fmac_f32 v23, v28, v88
	v_fmac_f32_e32 v22, v36, v88
	s_delay_alu instid0(VALU_DEP_3) | instskip(SKIP_1) | instid1(VALU_DEP_3)
	v_fmac_f32_e32 v21, v20, v88
	s_waitcnt vmcnt(2)
	v_dual_fmac_f32 v24, v32, v88 :: v_dual_fmac_f32 v23, v41, v89
	s_delay_alu instid0(VALU_DEP_3) | instskip(NEXT) | instid1(VALU_DEP_3)
	v_fmac_f32_e32 v22, v49, v89
	v_fmac_f32_e32 v21, v37, v89
	s_delay_alu instid0(VALU_DEP_3) | instskip(NEXT) | instid1(VALU_DEP_3)
	v_dual_fmac_f32 v24, v45, v89 :: v_dual_fmac_f32 v23, v42, v90
	v_fmac_f32_e32 v22, v50, v90
	s_delay_alu instid0(VALU_DEP_3) | instskip(NEXT) | instid1(VALU_DEP_3)
	v_fmac_f32_e32 v21, v38, v90
	v_dual_fmac_f32 v24, v46, v90 :: v_dual_fmac_f32 v23, v43, v91
	s_delay_alu instid0(VALU_DEP_3) | instskip(NEXT) | instid1(VALU_DEP_3)
	v_fmac_f32_e32 v22, v51, v91
	v_fmac_f32_e32 v21, v39, v91
	s_delay_alu instid0(VALU_DEP_3) | instskip(NEXT) | instid1(VALU_DEP_3)
	v_dual_fmac_f32 v24, v47, v91 :: v_dual_fmac_f32 v23, v44, v92
	v_fmac_f32_e32 v22, v52, v92
	s_delay_alu instid0(VALU_DEP_3) | instskip(SKIP_1) | instid1(VALU_DEP_3)
	v_fmac_f32_e32 v21, v40, v92
	s_waitcnt vmcnt(1)
	v_dual_fmac_f32 v24, v48, v92 :: v_dual_fmac_f32 v23, v57, v93
	s_delay_alu instid0(VALU_DEP_3) | instskip(NEXT) | instid1(VALU_DEP_3)
	v_fmac_f32_e32 v22, v65, v93
	v_fmac_f32_e32 v21, v53, v93
	;; [unrolled: 19-line block ×3, first 2 shown]
	s_delay_alu instid0(VALU_DEP_3) | instskip(NEXT) | instid1(VALU_DEP_3)
	v_dual_fmac_f32 v24, v77, v97 :: v_dual_fmac_f32 v23, v74, v98
	v_fmac_f32_e32 v22, v82, v98
	s_delay_alu instid0(VALU_DEP_3) | instskip(NEXT) | instid1(VALU_DEP_3)
	v_fmac_f32_e32 v21, v70, v98
	v_dual_fmac_f32 v24, v78, v98 :: v_dual_fmac_f32 v23, v75, v99
	s_delay_alu instid0(VALU_DEP_3) | instskip(NEXT) | instid1(VALU_DEP_3)
	v_fmac_f32_e32 v22, v83, v99
	v_fmac_f32_e32 v21, v71, v99
	s_delay_alu instid0(VALU_DEP_3) | instskip(NEXT) | instid1(VALU_DEP_3)
	v_dual_fmac_f32 v24, v79, v99 :: v_dual_fmac_f32 v23, v76, v100
	v_fmac_f32_e32 v22, v84, v100
	s_delay_alu instid0(VALU_DEP_3) | instskip(NEXT) | instid1(VALU_DEP_3)
	v_fmac_f32_e32 v21, v72, v100
	v_fmac_f32_e32 v24, v80, v100
	s_and_not1_b32 exec_lo, exec_lo, s11
	s_cbranch_execnz .LBB40_23
; %bb.24:
	s_or_b32 exec_lo, exec_lo, s11
.LBB40_25:
	s_delay_alu instid0(SALU_CYCLE_1)
	s_or_b32 exec_lo, exec_lo, s10
.LBB40_26:
	s_delay_alu instid0(SALU_CYCLE_1) | instskip(NEXT) | instid1(SALU_CYCLE_1)
	s_or_b32 exec_lo, exec_lo, s7
	s_and_not1_b32 vcc_lo, exec_lo, s6
	s_cbranch_vccz .LBB40_28
	s_branch .LBB40_39
.LBB40_27:
                                        ; implicit-def: $vgpr21
                                        ; implicit-def: $vgpr23
                                        ; implicit-def: $vgpr24
                                        ; implicit-def: $vgpr22
.LBB40_28:
	v_dual_mov_b32 v21, 0 :: v_dual_mov_b32 v24, 0
	v_dual_mov_b32 v23, 0 :: v_dual_mov_b32 v22, 0
	s_delay_alu instid0(VALU_DEP_4)
	s_and_saveexec_b32 s3, s2
	s_cbranch_execz .LBB40_38
; %bb.29:
	v_or_b32_e32 v11, 4, v2
	v_mov_b32_e32 v23, 0
	v_dual_mov_b32 v21, 0 :: v_dual_mov_b32 v22, 0
	v_mov_b32_e32 v24, 0
	s_delay_alu instid0(VALU_DEP_4) | instskip(NEXT) | instid1(VALU_DEP_1)
	v_sub_co_u32 v11, s2, v11, s20
	v_sub_co_ci_u32_e64 v12, null, 0, s15, s2
	v_sub_co_u32 v13, s2, s20, v2
	s_delay_alu instid0(VALU_DEP_3) | instskip(NEXT) | instid1(VALU_DEP_3)
	v_add_co_u32 v11, vcc_lo, v11, v9
	v_add_co_ci_u32_e32 v12, vcc_lo, v12, v10, vcc_lo
	v_not_b32_e32 v9, v9
	v_not_b32_e32 v10, v10
	v_sub_co_ci_u32_e64 v14, null, s15, 0, s2
	s_delay_alu instid0(VALU_DEP_4) | instskip(SKIP_4) | instid1(VALU_DEP_2)
	v_cmp_gt_i64_e32 vcc_lo, v[11:12], v[5:6]
	s_mov_b32 s2, exec_lo
	v_dual_cndmask_b32 v12, v6, v12 :: v_dual_cndmask_b32 v11, v5, v11
	v_add_co_u32 v9, vcc_lo, v13, v9
	v_add_co_ci_u32_e32 v10, vcc_lo, v14, v10, vcc_lo
	v_add_co_u32 v9, vcc_lo, v9, v11
	s_delay_alu instid0(VALU_DEP_2) | instskip(NEXT) | instid1(VALU_DEP_2)
	v_add_co_ci_u32_e32 v10, vcc_lo, v10, v12, vcc_lo
	v_lshrrev_b32_e32 v11, 2, v9
	s_delay_alu instid0(VALU_DEP_1) | instskip(NEXT) | instid1(VALU_DEP_1)
	v_add_nc_u32_e32 v11, 1, v11
	v_and_b32_e32 v11, 3, v11
	s_delay_alu instid0(VALU_DEP_1)
	v_cmpx_ne_u32_e32 0, v11
	s_cbranch_execz .LBB40_33
; %bb.30:
	v_lshlrev_b64 v[13:14], 3, v[0:1]
	v_dual_mov_b32 v12, 0 :: v_dual_lshlrev_b32 v11, 3, v11
	s_mov_b32 s6, 0
	s_delay_alu instid0(VALU_DEP_1) | instskip(NEXT) | instid1(VALU_DEP_3)
	v_mov_b32_e32 v21, v12
	v_add_co_u32 v13, vcc_lo, s8, v13
	s_delay_alu instid0(VALU_DEP_4)
	v_add_co_ci_u32_e32 v14, vcc_lo, s9, v14, vcc_lo
	v_mov_b32_e32 v23, v12
	v_mov_b32_e32 v24, v12
	;; [unrolled: 1-line block ×3, first 2 shown]
.LBB40_31:                              ; =>This Inner Loop Header: Depth=1
	global_load_b64 v[19:20], v[13:14], off
	s_clause 0x1
	global_load_b128 v[15:18], v[7:8], off offset:16
	global_load_b128 v[25:28], v[7:8], off
	s_waitcnt vmcnt(2)
	v_sub_co_u32 v19, vcc_lo, v19, s20
	v_subrev_co_ci_u32_e32 v20, vcc_lo, s15, v20, vcc_lo
	s_delay_alu instid0(VALU_DEP_1) | instskip(SKIP_1) | instid1(VALU_DEP_1)
	v_lshlrev_b64 v[19:20], 4, v[19:20]
	s_waitcnt lgkmcnt(0)
	v_add_co_u32 v19, vcc_lo, s4, v19
	s_delay_alu instid0(VALU_DEP_2)
	v_add_co_ci_u32_e32 v20, vcc_lo, s5, v20, vcc_lo
	global_load_b128 v[29:32], v[19:20], off
	s_clause 0x1
	global_load_b128 v[33:36], v[7:8], off offset:32
	global_load_b128 v[37:40], v[7:8], off offset:48
	v_add_co_u32 v7, vcc_lo, 0x100, v7
	v_add_co_ci_u32_e32 v8, vcc_lo, 0, v8, vcc_lo
	v_add_co_u32 v0, vcc_lo, v0, 4
	v_add_co_ci_u32_e32 v1, vcc_lo, 0, v1, vcc_lo
	;; [unrolled: 2-line block ×3, first 2 shown]
	v_add_co_u32 v11, vcc_lo, v11, -8
	v_add_co_ci_u32_e32 v12, vcc_lo, -1, v12, vcc_lo
	s_delay_alu instid0(VALU_DEP_1)
	v_cmp_eq_u64_e32 vcc_lo, 0, v[11:12]
	s_or_b32 s6, vcc_lo, s6
	s_waitcnt vmcnt(2)
	v_fmac_f32_e32 v23, v27, v29
	v_fmac_f32_e32 v24, v26, v29
	;; [unrolled: 1-line block ×4, first 2 shown]
	s_delay_alu instid0(VALU_DEP_4) | instskip(NEXT) | instid1(VALU_DEP_4)
	v_fmac_f32_e32 v23, v17, v30
	v_fmac_f32_e32 v24, v16, v30
	s_delay_alu instid0(VALU_DEP_4) | instskip(NEXT) | instid1(VALU_DEP_4)
	v_fmac_f32_e32 v21, v18, v30
	v_fmac_f32_e32 v22, v15, v30
	s_waitcnt vmcnt(1)
	v_fmac_f32_e32 v23, v35, v31
	s_delay_alu instid0(VALU_DEP_3) | instskip(NEXT) | instid1(VALU_DEP_3)
	v_fmac_f32_e32 v21, v36, v31
	v_fmac_f32_e32 v22, v33, v31
	s_waitcnt vmcnt(0)
	s_delay_alu instid0(VALU_DEP_3) | instskip(NEXT) | instid1(VALU_DEP_3)
	v_dual_fmac_f32 v24, v34, v31 :: v_dual_fmac_f32 v23, v39, v32
	v_fmac_f32_e32 v21, v40, v32
	s_delay_alu instid0(VALU_DEP_3) | instskip(NEXT) | instid1(VALU_DEP_3)
	v_fmac_f32_e32 v22, v37, v32
	v_fmac_f32_e32 v24, v38, v32
	s_and_not1_b32 exec_lo, exec_lo, s6
	s_cbranch_execnz .LBB40_31
; %bb.32:
	s_or_b32 exec_lo, exec_lo, s6
.LBB40_33:
	s_delay_alu instid0(SALU_CYCLE_1) | instskip(NEXT) | instid1(SALU_CYCLE_1)
	s_or_b32 exec_lo, exec_lo, s2
	s_mov_b32 s6, exec_lo
	v_cmpx_lt_u64_e32 11, v[9:10]
	s_cbranch_execz .LBB40_37
; %bb.34:
	v_lshlrev_b64 v[9:10], 3, v[0:1]
	s_mov_b32 s7, 0
	s_delay_alu instid0(VALU_DEP_1) | instskip(NEXT) | instid1(VALU_DEP_2)
	v_add_co_u32 v9, vcc_lo, v9, s8
	v_add_co_ci_u32_e32 v10, vcc_lo, s9, v10, vcc_lo
	s_delay_alu instid0(VALU_DEP_2) | instskip(NEXT) | instid1(VALU_DEP_2)
	v_add_co_u32 v9, vcc_lo, v9, 64
	v_add_co_ci_u32_e32 v10, vcc_lo, 0, v10, vcc_lo
.LBB40_35:                              ; =>This Inner Loop Header: Depth=1
	s_clause 0x3
	global_load_b64 v[19:20], v[9:10], off offset:-64
	global_load_b64 v[73:74], v[9:10], off offset:-32
	global_load_b64 v[76:77], v[9:10], off
	global_load_b64 v[84:85], v[9:10], off offset:32
	s_clause 0xd
	global_load_b128 v[11:14], v[7:8], off offset:48
	global_load_b128 v[15:18], v[7:8], off offset:32
	;; [unrolled: 1-line block ×3, first 2 shown]
	global_load_b128 v[29:32], v[7:8], off
	global_load_b128 v[33:36], v[7:8], off offset:304
	global_load_b128 v[37:40], v[7:8], off offset:288
	;; [unrolled: 1-line block ×10, first 2 shown]
	s_waitcnt vmcnt(17)
	v_sub_co_u32 v19, vcc_lo, v19, s20
	v_subrev_co_ci_u32_e32 v20, vcc_lo, s15, v20, vcc_lo
	s_waitcnt vmcnt(16)
	v_sub_co_u32 v78, vcc_lo, v73, s20
	v_subrev_co_ci_u32_e32 v79, vcc_lo, s15, v74, vcc_lo
	s_delay_alu instid0(VALU_DEP_3) | instskip(SKIP_4) | instid1(VALU_DEP_3)
	v_lshlrev_b64 v[19:20], 4, v[19:20]
	s_waitcnt vmcnt(15)
	v_sub_co_u32 v81, vcc_lo, v76, s20
	v_subrev_co_ci_u32_e32 v82, vcc_lo, s15, v77, vcc_lo
	s_waitcnt lgkmcnt(0)
	v_add_co_u32 v19, s2, s4, v19
	s_delay_alu instid0(VALU_DEP_1) | instskip(NEXT) | instid1(VALU_DEP_3)
	v_add_co_ci_u32_e64 v20, s2, s5, v20, s2
	v_lshlrev_b64 v[81:82], 4, v[81:82]
	global_load_b128 v[73:76], v[19:20], off
	v_lshlrev_b64 v[19:20], 4, v[78:79]
	v_add_co_u32 v81, s2, s4, v81
	s_delay_alu instid0(VALU_DEP_1) | instskip(NEXT) | instid1(VALU_DEP_3)
	v_add_co_ci_u32_e64 v82, s2, s5, v82, s2
	v_add_co_u32 v19, vcc_lo, s4, v19
	s_delay_alu instid0(VALU_DEP_4)
	v_add_co_ci_u32_e32 v20, vcc_lo, s5, v20, vcc_lo
	global_load_b128 v[77:80], v[19:20], off
	s_waitcnt vmcnt(16)
	v_sub_co_u32 v19, vcc_lo, v84, s20
	global_load_b128 v[81:84], v[81:82], off
	v_subrev_co_ci_u32_e32 v20, vcc_lo, s15, v85, vcc_lo
	s_delay_alu instid0(VALU_DEP_1) | instskip(NEXT) | instid1(VALU_DEP_1)
	v_lshlrev_b64 v[19:20], 4, v[19:20]
	v_add_co_u32 v19, vcc_lo, s4, v19
	s_delay_alu instid0(VALU_DEP_2)
	v_add_co_ci_u32_e32 v20, vcc_lo, s5, v20, vcc_lo
	global_load_b128 v[85:88], v[19:20], off
	s_clause 0x1
	global_load_b128 v[89:92], v[7:8], off offset:800
	global_load_b128 v[93:96], v[7:8], off offset:816
	v_add_co_u32 v7, vcc_lo, 0x400, v7
	v_add_co_ci_u32_e32 v8, vcc_lo, 0, v8, vcc_lo
	v_add_co_u32 v0, vcc_lo, v0, 16
	v_add_co_ci_u32_e32 v1, vcc_lo, 0, v1, vcc_lo
	;; [unrolled: 2-line block ×3, first 2 shown]
	s_delay_alu instid0(VALU_DEP_3)
	v_cmp_ge_i64_e32 vcc_lo, v[0:1], v[5:6]
	s_or_b32 s7, vcc_lo, s7
	s_waitcnt vmcnt(5)
	v_fmac_f32_e32 v23, v31, v73
	v_fmac_f32_e32 v22, v29, v73
	;; [unrolled: 1-line block ×3, first 2 shown]
	s_delay_alu instid0(VALU_DEP_3) | instskip(NEXT) | instid1(VALU_DEP_3)
	v_dual_fmac_f32 v24, v30, v73 :: v_dual_fmac_f32 v23, v27, v74
	v_fmac_f32_e32 v22, v25, v74
	s_delay_alu instid0(VALU_DEP_3) | instskip(NEXT) | instid1(VALU_DEP_3)
	v_fmac_f32_e32 v21, v28, v74
	v_dual_fmac_f32 v24, v26, v74 :: v_dual_fmac_f32 v23, v17, v75
	s_delay_alu instid0(VALU_DEP_3) | instskip(NEXT) | instid1(VALU_DEP_3)
	v_fmac_f32_e32 v22, v15, v75
	v_fmac_f32_e32 v21, v18, v75
	s_delay_alu instid0(VALU_DEP_3) | instskip(NEXT) | instid1(VALU_DEP_3)
	v_dual_fmac_f32 v24, v16, v75 :: v_dual_fmac_f32 v23, v13, v76
	v_fmac_f32_e32 v22, v11, v76
	s_delay_alu instid0(VALU_DEP_3) | instskip(SKIP_1) | instid1(VALU_DEP_3)
	v_fmac_f32_e32 v21, v14, v76
	s_waitcnt vmcnt(4)
	v_dual_fmac_f32 v24, v12, v76 :: v_dual_fmac_f32 v23, v47, v77
	s_delay_alu instid0(VALU_DEP_3) | instskip(NEXT) | instid1(VALU_DEP_3)
	v_fmac_f32_e32 v22, v45, v77
	v_fmac_f32_e32 v21, v48, v77
	s_delay_alu instid0(VALU_DEP_3) | instskip(NEXT) | instid1(VALU_DEP_3)
	v_dual_fmac_f32 v24, v46, v77 :: v_dual_fmac_f32 v23, v43, v78
	v_fmac_f32_e32 v22, v41, v78
	s_delay_alu instid0(VALU_DEP_3) | instskip(NEXT) | instid1(VALU_DEP_3)
	v_fmac_f32_e32 v21, v44, v78
	v_dual_fmac_f32 v24, v42, v78 :: v_dual_fmac_f32 v23, v39, v79
	s_delay_alu instid0(VALU_DEP_3) | instskip(NEXT) | instid1(VALU_DEP_3)
	v_fmac_f32_e32 v22, v37, v79
	v_fmac_f32_e32 v21, v40, v79
	s_delay_alu instid0(VALU_DEP_3) | instskip(NEXT) | instid1(VALU_DEP_3)
	v_dual_fmac_f32 v24, v38, v79 :: v_dual_fmac_f32 v23, v35, v80
	v_fmac_f32_e32 v22, v33, v80
	s_delay_alu instid0(VALU_DEP_3) | instskip(SKIP_1) | instid1(VALU_DEP_3)
	v_fmac_f32_e32 v21, v36, v80
	s_waitcnt vmcnt(3)
	v_dual_fmac_f32 v24, v34, v80 :: v_dual_fmac_f32 v23, v63, v81
	s_delay_alu instid0(VALU_DEP_3) | instskip(NEXT) | instid1(VALU_DEP_3)
	v_fmac_f32_e32 v22, v61, v81
	v_fmac_f32_e32 v21, v64, v81
	;; [unrolled: 19-line block ×3, first 2 shown]
	s_delay_alu instid0(VALU_DEP_3) | instskip(NEXT) | instid1(VALU_DEP_3)
	v_dual_fmac_f32 v24, v70, v85 :: v_dual_fmac_f32 v23, v67, v86
	v_fmac_f32_e32 v22, v65, v86
	s_delay_alu instid0(VALU_DEP_3) | instskip(SKIP_1) | instid1(VALU_DEP_3)
	v_fmac_f32_e32 v21, v68, v86
	s_waitcnt vmcnt(1)
	v_dual_fmac_f32 v24, v66, v86 :: v_dual_fmac_f32 v23, v91, v87
	s_delay_alu instid0(VALU_DEP_3) | instskip(NEXT) | instid1(VALU_DEP_3)
	v_fmac_f32_e32 v22, v89, v87
	v_fmac_f32_e32 v21, v92, v87
	s_waitcnt vmcnt(0)
	s_delay_alu instid0(VALU_DEP_3) | instskip(NEXT) | instid1(VALU_DEP_3)
	v_dual_fmac_f32 v24, v90, v87 :: v_dual_fmac_f32 v23, v95, v88
	v_fmac_f32_e32 v22, v93, v88
	s_delay_alu instid0(VALU_DEP_3) | instskip(NEXT) | instid1(VALU_DEP_3)
	v_fmac_f32_e32 v21, v96, v88
	v_fmac_f32_e32 v24, v94, v88
	s_and_not1_b32 exec_lo, exec_lo, s7
	s_cbranch_execnz .LBB40_35
; %bb.36:
	s_or_b32 exec_lo, exec_lo, s7
.LBB40_37:
	s_delay_alu instid0(SALU_CYCLE_1)
	s_or_b32 exec_lo, exec_lo, s6
.LBB40_38:
	s_delay_alu instid0(SALU_CYCLE_1)
	s_or_b32 exec_lo, exec_lo, s3
.LBB40_39:
	v_mbcnt_lo_u32_b32 v0, -1, 0
	s_mov_b32 s2, -1
	s_delay_alu instid0(VALU_DEP_1) | instskip(NEXT) | instid1(VALU_DEP_1)
	v_xor_b32_e32 v1, 2, v0
	v_cmp_gt_i32_e32 vcc_lo, 32, v1
	v_cndmask_b32_e32 v1, v0, v1, vcc_lo
	s_delay_alu instid0(VALU_DEP_1)
	v_lshlrev_b32_e32 v1, 2, v1
	ds_bpermute_b32 v5, v1, v22
	ds_bpermute_b32 v6, v1, v24
	ds_bpermute_b32 v7, v1, v23
	ds_bpermute_b32 v8, v1, v21
	v_xor_b32_e32 v1, 1, v0
	s_delay_alu instid0(VALU_DEP_1) | instskip(SKIP_2) | instid1(VALU_DEP_2)
	v_cmp_gt_i32_e32 vcc_lo, 32, v1
	v_cndmask_b32_e32 v0, v0, v1, vcc_lo
	v_cmp_eq_u32_e32 vcc_lo, 3, v2
	v_lshlrev_b32_e32 v10, 2, v0
	s_waitcnt lgkmcnt(0)
	v_dual_add_f32 v0, v22, v5 :: v_dual_add_f32 v1, v24, v6
	v_dual_add_f32 v5, v23, v7 :: v_dual_add_f32 v6, v21, v8
	ds_bpermute_b32 v7, v10, v0
	ds_bpermute_b32 v8, v10, v1
	;; [unrolled: 1-line block ×4, first 2 shown]
	s_and_b32 exec_lo, exec_lo, vcc_lo
	s_cbranch_execz .LBB40_10
; %bb.40:
	s_load_b64 s[0:1], s[0:1], 0x58
	s_waitcnt lgkmcnt(0)
	v_dual_add_f32 v0, v0, v7 :: v_dual_add_f32 v1, v1, v8
	v_add_f32_e32 v6, v6, v10
	v_cmp_eq_f32_e64 s3, s12, 0
	s_delay_alu instid0(VALU_DEP_3) | instskip(SKIP_4) | instid1(VALU_DEP_3)
	v_dual_mul_f32 v0, s16, v0 :: v_dual_mul_f32 v1, s16, v1
	v_add_f32_e32 v2, v5, v9
	v_lshlrev_b64 v[4:5], 4, v[3:4]
	v_mul_f32_e32 v3, s16, v6
	s_and_b32 vcc_lo, exec_lo, s3
	v_mul_f32_e32 v2, s16, v2
	s_cbranch_vccz .LBB40_42
; %bb.41:
	s_delay_alu instid0(VALU_DEP_3)
	v_add_co_u32 v6, vcc_lo, s0, v4
	v_add_co_ci_u32_e32 v7, vcc_lo, s1, v5, vcc_lo
	s_mov_b32 s2, 0
	global_store_b128 v[6:7], v[0:3], off
.LBB40_42:
	s_and_not1_b32 vcc_lo, exec_lo, s2
	s_cbranch_vccnz .LBB40_10
; %bb.43:
	v_add_co_u32 v8, vcc_lo, s0, v4
	v_add_co_ci_u32_e32 v9, vcc_lo, s1, v5, vcc_lo
	global_load_b128 v[4:7], v[8:9], off
	s_waitcnt vmcnt(0)
	v_dual_fmac_f32 v0, s12, v4 :: v_dual_fmac_f32 v1, s12, v5
	v_dual_fmac_f32 v2, s12, v6 :: v_dual_fmac_f32 v3, s12, v7
	global_store_b128 v[8:9], v[0:3], off
	s_nop 0
	s_sendmsg sendmsg(MSG_DEALLOC_VGPRS)
	s_endpgm
	.section	.rodata,"a",@progbits
	.p2align	6, 0x0
	.amdhsa_kernel _ZN9rocsparseL18bsrxmvn_4x4_kernelILj128ELj4EfllfffEEvT3_20rocsparse_direction_NS_24const_host_device_scalarIT1_EES1_PKS1_PKT2_SA_S7_PKT4_PKT5_S5_PT6_21rocsparse_index_base_b
		.amdhsa_group_segment_fixed_size 0
		.amdhsa_private_segment_fixed_size 0
		.amdhsa_kernarg_size 104
		.amdhsa_user_sgpr_count 15
		.amdhsa_user_sgpr_dispatch_ptr 0
		.amdhsa_user_sgpr_queue_ptr 0
		.amdhsa_user_sgpr_kernarg_segment_ptr 1
		.amdhsa_user_sgpr_dispatch_id 0
		.amdhsa_user_sgpr_private_segment_size 0
		.amdhsa_wavefront_size32 1
		.amdhsa_uses_dynamic_stack 0
		.amdhsa_enable_private_segment 0
		.amdhsa_system_sgpr_workgroup_id_x 1
		.amdhsa_system_sgpr_workgroup_id_y 0
		.amdhsa_system_sgpr_workgroup_id_z 0
		.amdhsa_system_sgpr_workgroup_info 0
		.amdhsa_system_vgpr_workitem_id 0
		.amdhsa_next_free_vgpr 101
		.amdhsa_next_free_sgpr 22
		.amdhsa_reserve_vcc 1
		.amdhsa_float_round_mode_32 0
		.amdhsa_float_round_mode_16_64 0
		.amdhsa_float_denorm_mode_32 3
		.amdhsa_float_denorm_mode_16_64 3
		.amdhsa_dx10_clamp 1
		.amdhsa_ieee_mode 1
		.amdhsa_fp16_overflow 0
		.amdhsa_workgroup_processor_mode 1
		.amdhsa_memory_ordered 1
		.amdhsa_forward_progress 0
		.amdhsa_shared_vgpr_count 0
		.amdhsa_exception_fp_ieee_invalid_op 0
		.amdhsa_exception_fp_denorm_src 0
		.amdhsa_exception_fp_ieee_div_zero 0
		.amdhsa_exception_fp_ieee_overflow 0
		.amdhsa_exception_fp_ieee_underflow 0
		.amdhsa_exception_fp_ieee_inexact 0
		.amdhsa_exception_int_div_zero 0
	.end_amdhsa_kernel
	.section	.text._ZN9rocsparseL18bsrxmvn_4x4_kernelILj128ELj4EfllfffEEvT3_20rocsparse_direction_NS_24const_host_device_scalarIT1_EES1_PKS1_PKT2_SA_S7_PKT4_PKT5_S5_PT6_21rocsparse_index_base_b,"axG",@progbits,_ZN9rocsparseL18bsrxmvn_4x4_kernelILj128ELj4EfllfffEEvT3_20rocsparse_direction_NS_24const_host_device_scalarIT1_EES1_PKS1_PKT2_SA_S7_PKT4_PKT5_S5_PT6_21rocsparse_index_base_b,comdat
.Lfunc_end40:
	.size	_ZN9rocsparseL18bsrxmvn_4x4_kernelILj128ELj4EfllfffEEvT3_20rocsparse_direction_NS_24const_host_device_scalarIT1_EES1_PKS1_PKT2_SA_S7_PKT4_PKT5_S5_PT6_21rocsparse_index_base_b, .Lfunc_end40-_ZN9rocsparseL18bsrxmvn_4x4_kernelILj128ELj4EfllfffEEvT3_20rocsparse_direction_NS_24const_host_device_scalarIT1_EES1_PKS1_PKT2_SA_S7_PKT4_PKT5_S5_PT6_21rocsparse_index_base_b
                                        ; -- End function
	.section	.AMDGPU.csdata,"",@progbits
; Kernel info:
; codeLenInByte = 3704
; NumSgprs: 24
; NumVgprs: 101
; ScratchSize: 0
; MemoryBound: 0
; FloatMode: 240
; IeeeMode: 1
; LDSByteSize: 0 bytes/workgroup (compile time only)
; SGPRBlocks: 2
; VGPRBlocks: 12
; NumSGPRsForWavesPerEU: 24
; NumVGPRsForWavesPerEU: 101
; Occupancy: 12
; WaveLimiterHint : 1
; COMPUTE_PGM_RSRC2:SCRATCH_EN: 0
; COMPUTE_PGM_RSRC2:USER_SGPR: 15
; COMPUTE_PGM_RSRC2:TRAP_HANDLER: 0
; COMPUTE_PGM_RSRC2:TGID_X_EN: 1
; COMPUTE_PGM_RSRC2:TGID_Y_EN: 0
; COMPUTE_PGM_RSRC2:TGID_Z_EN: 0
; COMPUTE_PGM_RSRC2:TIDIG_COMP_CNT: 0
	.section	.text._ZN9rocsparseL18bsrxmvn_4x4_kernelILj128ELj8EfllfffEEvT3_20rocsparse_direction_NS_24const_host_device_scalarIT1_EES1_PKS1_PKT2_SA_S7_PKT4_PKT5_S5_PT6_21rocsparse_index_base_b,"axG",@progbits,_ZN9rocsparseL18bsrxmvn_4x4_kernelILj128ELj8EfllfffEEvT3_20rocsparse_direction_NS_24const_host_device_scalarIT1_EES1_PKS1_PKT2_SA_S7_PKT4_PKT5_S5_PT6_21rocsparse_index_base_b,comdat
	.globl	_ZN9rocsparseL18bsrxmvn_4x4_kernelILj128ELj8EfllfffEEvT3_20rocsparse_direction_NS_24const_host_device_scalarIT1_EES1_PKS1_PKT2_SA_S7_PKT4_PKT5_S5_PT6_21rocsparse_index_base_b ; -- Begin function _ZN9rocsparseL18bsrxmvn_4x4_kernelILj128ELj8EfllfffEEvT3_20rocsparse_direction_NS_24const_host_device_scalarIT1_EES1_PKS1_PKT2_SA_S7_PKT4_PKT5_S5_PT6_21rocsparse_index_base_b
	.p2align	8
	.type	_ZN9rocsparseL18bsrxmvn_4x4_kernelILj128ELj8EfllfffEEvT3_20rocsparse_direction_NS_24const_host_device_scalarIT1_EES1_PKS1_PKT2_SA_S7_PKT4_PKT5_S5_PT6_21rocsparse_index_base_b,@function
_ZN9rocsparseL18bsrxmvn_4x4_kernelILj128ELj8EfllfffEEvT3_20rocsparse_direction_NS_24const_host_device_scalarIT1_EES1_PKS1_PKT2_SA_S7_PKT4_PKT5_S5_PT6_21rocsparse_index_base_b: ; @_ZN9rocsparseL18bsrxmvn_4x4_kernelILj128ELj8EfllfffEEvT3_20rocsparse_direction_NS_24const_host_device_scalarIT1_EES1_PKS1_PKT2_SA_S7_PKT4_PKT5_S5_PT6_21rocsparse_index_base_b
; %bb.0:
	s_clause 0x2
	s_load_b64 s[20:21], s[0:1], 0x60
	s_load_b128 s[16:19], s[0:1], 0x10
	s_load_b64 s[12:13], s[0:1], 0x50
	s_waitcnt lgkmcnt(0)
	s_bitcmp1_b32 s21, 0
	s_cselect_b32 s2, -1, 0
	s_delay_alu instid0(SALU_CYCLE_1)
	s_and_b32 vcc_lo, exec_lo, s2
	s_xor_b32 s2, s2, -1
	s_cbranch_vccnz .LBB41_2
; %bb.1:
	s_load_b32 s16, s[16:17], 0x0
.LBB41_2:
	s_and_not1_b32 vcc_lo, exec_lo, s2
	s_cbranch_vccnz .LBB41_4
; %bb.3:
	s_load_b32 s12, s[12:13], 0x0
.LBB41_4:
	s_waitcnt lgkmcnt(0)
	v_cmp_neq_f32_e64 s2, s16, 0
	v_cmp_neq_f32_e64 s3, s12, 1.0
	s_mov_b32 s4, 0
	s_delay_alu instid0(VALU_DEP_1) | instskip(NEXT) | instid1(SALU_CYCLE_1)
	s_or_b32 s2, s2, s3
	s_and_not1_b32 vcc_lo, exec_lo, s2
	s_cbranch_vccnz .LBB41_10
; %bb.5:
	s_load_b64 s[2:3], s[0:1], 0x20
	v_lshrrev_b32_e32 v1, 3, v0
	v_mov_b32_e32 v2, 0
	s_delay_alu instid0(VALU_DEP_2)
	v_lshl_or_b32 v1, s15, 4, v1
	s_waitcnt lgkmcnt(0)
	s_cmp_lg_u64 s[2:3], 0
	s_cbranch_scc0 .LBB41_11
; %bb.6:
	s_mov_b32 s5, 0
	s_mov_b32 s6, exec_lo
                                        ; implicit-def: $vgpr3_vgpr4
	v_cmpx_gt_i64_e64 s[18:19], v[1:2]
	s_xor_b32 s6, exec_lo, s6
                                        ; implicit-def: $sgpr14_sgpr15
	s_cbranch_execz .LBB41_8
; %bb.7:
	v_lshlrev_b64 v[3:4], 3, v[1:2]
	s_mov_b32 s4, exec_lo
	s_mov_b32 s15, 0
	s_delay_alu instid0(VALU_DEP_1) | instskip(NEXT) | instid1(VALU_DEP_2)
	v_add_co_u32 v3, vcc_lo, s2, v3
	v_add_co_ci_u32_e32 v4, vcc_lo, s3, v4, vcc_lo
	global_load_b64 v[3:4], v[3:4], off
	s_waitcnt vmcnt(0)
	v_sub_co_u32 v3, vcc_lo, v3, s20
	v_subrev_co_ci_u32_e32 v4, vcc_lo, 0, v4, vcc_lo
.LBB41_8:
	s_or_b32 exec_lo, exec_lo, s6
	s_delay_alu instid0(SALU_CYCLE_1)
	s_and_b32 vcc_lo, exec_lo, s5
	s_cbranch_vccnz .LBB41_12
.LBB41_9:
	s_and_saveexec_b32 s2, s4
	s_cbranch_execnz .LBB41_15
.LBB41_10:
	s_nop 0
	s_sendmsg sendmsg(MSG_DEALLOC_VGPRS)
	s_endpgm
.LBB41_11:
                                        ; implicit-def: $vgpr3_vgpr4
                                        ; implicit-def: $sgpr14_sgpr15
	s_cbranch_execz .LBB41_9
.LBB41_12:
	s_load_b64 s[2:3], s[0:1], 0x0
                                        ; implicit-def: $vgpr3_vgpr4
	s_waitcnt lgkmcnt(0)
	v_cmp_gt_i64_e32 vcc_lo, s[2:3], v[1:2]
	s_and_saveexec_b32 s2, vcc_lo
                                        ; implicit-def: $sgpr14_sgpr15
; %bb.13:
	v_dual_mov_b32 v4, v2 :: v_dual_mov_b32 v3, v1
	s_mov_b32 s15, 0
	s_or_b32 s4, s4, exec_lo
; %bb.14:
	s_or_b32 exec_lo, exec_lo, s2
	s_and_saveexec_b32 s2, s4
	s_cbranch_execz .LBB41_10
.LBB41_15:
	s_load_b256 s[4:11], s[0:1], 0x28
	v_lshlrev_b64 v[1:2], 3, v[3:4]
	s_load_b32 s3, s[0:1], 0x8
	v_mov_b32_e32 v21, 0
	s_waitcnt lgkmcnt(0)
	s_delay_alu instid0(VALU_DEP_2) | instskip(NEXT) | instid1(VALU_DEP_3)
	v_add_co_u32 v5, vcc_lo, s4, v1
	v_add_co_ci_u32_e32 v6, vcc_lo, s5, v2, vcc_lo
	v_add_co_u32 v1, vcc_lo, s6, v1
	v_add_co_ci_u32_e32 v2, vcc_lo, s7, v2, vcc_lo
	s_delay_alu instid0(VALU_DEP_4)
	v_add_co_u32 v7, vcc_lo, v5, 8
	global_load_b64 v[9:10], v[5:6], off
	v_add_co_ci_u32_e32 v8, vcc_lo, 0, v6, vcc_lo
	s_cmp_eq_u64 s[6:7], 0
	s_load_b64 s[4:5], s[0:1], 0x48
	s_cselect_b32 vcc_lo, -1, 0
	s_cmp_eq_u32 s3, 1
	v_dual_cndmask_b32 v2, v2, v8 :: v_dual_cndmask_b32 v1, v1, v7
	global_load_b64 v[5:6], v[1:2], off
	v_and_b32_e32 v2, 7, v0
	s_waitcnt vmcnt(1)
	v_sub_co_u32 v0, vcc_lo, v9, s20
	v_subrev_co_ci_u32_e32 v1, vcc_lo, s15, v10, vcc_lo
	s_delay_alu instid0(VALU_DEP_2) | instskip(NEXT) | instid1(VALU_DEP_2)
	v_add_co_u32 v0, vcc_lo, v0, v2
	v_add_co_ci_u32_e32 v1, vcc_lo, 0, v1, vcc_lo
	s_delay_alu instid0(VALU_DEP_1) | instskip(SKIP_3) | instid1(VALU_DEP_3)
	v_lshlrev_b64 v[7:8], 6, v[0:1]
	s_waitcnt vmcnt(0)
	v_sub_co_u32 v5, vcc_lo, v5, s20
	v_subrev_co_ci_u32_e32 v6, vcc_lo, s15, v6, vcc_lo
	v_add_co_u32 v7, vcc_lo, s10, v7
	s_delay_alu instid0(VALU_DEP_2)
	v_cmp_lt_i64_e64 s2, v[0:1], v[5:6]
	v_add_co_ci_u32_e32 v8, vcc_lo, s11, v8, vcc_lo
	s_cbranch_scc1 .LBB41_27
; %bb.16:
	v_dual_mov_b32 v23, 0 :: v_dual_mov_b32 v24, 0
	v_mov_b32_e32 v22, 0
	s_mov_b32 s6, 0
	s_and_saveexec_b32 s7, s2
	s_cbranch_execz .LBB41_26
; %bb.17:
	v_or_b32_e32 v11, 8, v2
	v_not_b32_e32 v14, v9
	v_not_b32_e32 v13, v10
	v_mov_b32_e32 v23, 0
	v_mov_b32_e32 v21, 0
	v_sub_co_u32 v11, s3, v11, s20
	s_delay_alu instid0(VALU_DEP_1) | instskip(SKIP_1) | instid1(VALU_DEP_3)
	v_sub_co_ci_u32_e64 v12, null, 0, s15, s3
	v_sub_co_u32 v15, s3, s20, v2
	v_add_co_u32 v11, vcc_lo, v11, v9
	s_delay_alu instid0(VALU_DEP_3) | instskip(SKIP_2) | instid1(VALU_DEP_2)
	v_add_co_ci_u32_e32 v12, vcc_lo, v12, v10, vcc_lo
	v_sub_co_ci_u32_e64 v16, null, s15, 0, s3
	s_mov_b32 s3, exec_lo
	v_cmp_gt_i64_e32 vcc_lo, v[11:12], v[5:6]
	v_mov_b32_e32 v22, 0
	v_mov_b32_e32 v24, 0
	v_dual_cndmask_b32 v12, v6, v12 :: v_dual_cndmask_b32 v11, v5, v11
	v_add_co_u32 v14, vcc_lo, v15, v14
	v_add_co_ci_u32_e32 v13, vcc_lo, v16, v13, vcc_lo
	s_delay_alu instid0(VALU_DEP_2) | instskip(NEXT) | instid1(VALU_DEP_2)
	v_add_co_u32 v15, vcc_lo, v14, v11
	v_add_co_ci_u32_e32 v16, vcc_lo, v13, v12, vcc_lo
	v_mov_b32_e32 v14, v8
	s_delay_alu instid0(VALU_DEP_3) | instskip(SKIP_1) | instid1(VALU_DEP_2)
	v_lshrrev_b32_e32 v11, 3, v15
	v_mov_b32_e32 v13, v7
	v_add_nc_u32_e32 v11, 1, v11
	s_delay_alu instid0(VALU_DEP_1) | instskip(SKIP_1) | instid1(VALU_DEP_2)
	v_dual_mov_b32 v12, v1 :: v_dual_and_b32 v17, 3, v11
	v_mov_b32_e32 v11, v0
	v_cmpx_ne_u32_e32 0, v17
	s_cbranch_execz .LBB41_21
; %bb.18:
	v_lshlrev_b64 v[11:12], 3, v[0:1]
	v_dual_mov_b32 v18, 0 :: v_dual_lshlrev_b32 v17, 3, v17
	v_dual_mov_b32 v14, v8 :: v_dual_mov_b32 v13, v7
	s_mov_b32 s10, 0
	s_delay_alu instid0(VALU_DEP_3) | instskip(NEXT) | instid1(VALU_DEP_4)
	v_add_co_u32 v19, vcc_lo, s8, v11
	v_add_co_ci_u32_e32 v20, vcc_lo, s9, v12, vcc_lo
	v_dual_mov_b32 v12, v1 :: v_dual_mov_b32 v11, v0
	v_mov_b32_e32 v21, v18
	v_mov_b32_e32 v23, v18
	;; [unrolled: 1-line block ×4, first 2 shown]
.LBB41_19:                              ; =>This Inner Loop Header: Depth=1
	global_load_b64 v[41:42], v[19:20], off
	s_clause 0x3
	global_load_b128 v[25:28], v[13:14], off offset:48
	global_load_b128 v[29:32], v[13:14], off offset:32
	;; [unrolled: 1-line block ×3, first 2 shown]
	global_load_b128 v[37:40], v[13:14], off
	s_waitcnt vmcnt(4)
	v_sub_co_u32 v41, vcc_lo, v41, s20
	v_subrev_co_ci_u32_e32 v42, vcc_lo, s15, v42, vcc_lo
	s_delay_alu instid0(VALU_DEP_1) | instskip(SKIP_1) | instid1(VALU_DEP_1)
	v_lshlrev_b64 v[41:42], 4, v[41:42]
	s_waitcnt lgkmcnt(0)
	v_add_co_u32 v41, vcc_lo, s4, v41
	s_delay_alu instid0(VALU_DEP_2)
	v_add_co_ci_u32_e32 v42, vcc_lo, s5, v42, vcc_lo
	v_add_co_u32 v13, vcc_lo, 0x200, v13
	v_add_co_ci_u32_e32 v14, vcc_lo, 0, v14, vcc_lo
	global_load_b128 v[41:44], v[41:42], off
	v_add_co_u32 v11, vcc_lo, v11, 8
	v_add_co_ci_u32_e32 v12, vcc_lo, 0, v12, vcc_lo
	v_add_co_u32 v19, vcc_lo, v19, 64
	v_add_co_ci_u32_e32 v20, vcc_lo, 0, v20, vcc_lo
	v_add_co_u32 v17, vcc_lo, v17, -8
	v_add_co_ci_u32_e32 v18, vcc_lo, -1, v18, vcc_lo
	s_delay_alu instid0(VALU_DEP_1)
	v_cmp_eq_u64_e32 vcc_lo, 0, v[17:18]
	s_or_b32 s10, vcc_lo, s10
	s_waitcnt vmcnt(0)
	v_fmac_f32_e32 v23, v29, v41
	v_fmac_f32_e32 v22, v37, v41
	;; [unrolled: 1-line block ×3, first 2 shown]
	s_delay_alu instid0(VALU_DEP_3) | instskip(NEXT) | instid1(VALU_DEP_3)
	v_dual_fmac_f32 v24, v33, v41 :: v_dual_fmac_f32 v23, v30, v42
	v_fmac_f32_e32 v22, v38, v42
	s_delay_alu instid0(VALU_DEP_3) | instskip(NEXT) | instid1(VALU_DEP_3)
	v_fmac_f32_e32 v21, v26, v42
	v_dual_fmac_f32 v24, v34, v42 :: v_dual_fmac_f32 v23, v31, v43
	s_delay_alu instid0(VALU_DEP_3) | instskip(NEXT) | instid1(VALU_DEP_3)
	v_fmac_f32_e32 v22, v39, v43
	v_fmac_f32_e32 v21, v27, v43
	s_delay_alu instid0(VALU_DEP_3) | instskip(NEXT) | instid1(VALU_DEP_3)
	v_dual_fmac_f32 v24, v35, v43 :: v_dual_fmac_f32 v23, v32, v44
	v_fmac_f32_e32 v22, v40, v44
	s_delay_alu instid0(VALU_DEP_3) | instskip(NEXT) | instid1(VALU_DEP_3)
	v_fmac_f32_e32 v21, v28, v44
	v_fmac_f32_e32 v24, v36, v44
	s_and_not1_b32 exec_lo, exec_lo, s10
	s_cbranch_execnz .LBB41_19
; %bb.20:
	s_or_b32 exec_lo, exec_lo, s10
.LBB41_21:
	s_delay_alu instid0(SALU_CYCLE_1) | instskip(NEXT) | instid1(SALU_CYCLE_1)
	s_or_b32 exec_lo, exec_lo, s3
	s_mov_b32 s10, exec_lo
	v_cmpx_lt_u64_e32 23, v[15:16]
	s_cbranch_execz .LBB41_25
; %bb.22:
	v_lshlrev_b64 v[15:16], 3, v[11:12]
	s_mov_b32 s11, 0
	s_delay_alu instid0(VALU_DEP_1) | instskip(NEXT) | instid1(VALU_DEP_2)
	v_add_co_u32 v15, vcc_lo, v15, s8
	v_add_co_ci_u32_e32 v16, vcc_lo, s9, v16, vcc_lo
	s_delay_alu instid0(VALU_DEP_2) | instskip(NEXT) | instid1(VALU_DEP_2)
	v_add_co_u32 v15, vcc_lo, 0x80, v15
	v_add_co_ci_u32_e32 v16, vcc_lo, 0, v16, vcc_lo
.LBB41_23:                              ; =>This Inner Loop Header: Depth=1
	s_clause 0x3
	global_load_b64 v[85:86], v[15:16], off offset:-128
	global_load_b64 v[87:88], v[15:16], off offset:-64
	global_load_b64 v[89:90], v[15:16], off
	global_load_b64 v[96:97], v[15:16], off offset:64
	s_clause 0xf
	global_load_b128 v[17:20], v[13:14], off offset:48
	global_load_b128 v[25:28], v[13:14], off offset:32
	global_load_b128 v[29:32], v[13:14], off offset:16
	global_load_b128 v[33:36], v[13:14], off
	global_load_b128 v[37:40], v[13:14], off offset:560
	global_load_b128 v[41:44], v[13:14], off offset:544
	;; [unrolled: 1-line block ×12, first 2 shown]
	s_waitcnt vmcnt(19)
	v_sub_co_u32 v85, vcc_lo, v85, s20
	v_subrev_co_ci_u32_e32 v86, vcc_lo, s15, v86, vcc_lo
	s_waitcnt vmcnt(18)
	v_sub_co_u32 v91, vcc_lo, v87, s20
	v_subrev_co_ci_u32_e32 v92, vcc_lo, s15, v88, vcc_lo
	s_delay_alu instid0(VALU_DEP_3)
	v_lshlrev_b64 v[85:86], 4, v[85:86]
	s_waitcnt vmcnt(17)
	v_sub_co_u32 v93, vcc_lo, v89, s20
	v_subrev_co_ci_u32_e32 v94, vcc_lo, s15, v90, vcc_lo
	v_lshlrev_b64 v[89:90], 4, v[91:92]
	s_waitcnt lgkmcnt(0)
	v_add_co_u32 v85, s3, s4, v85
	s_delay_alu instid0(VALU_DEP_1) | instskip(SKIP_1) | instid1(VALU_DEP_4)
	v_add_co_ci_u32_e64 v86, s3, s5, v86, s3
	v_lshlrev_b64 v[93:94], 4, v[93:94]
	v_add_co_u32 v89, vcc_lo, s4, v89
	global_load_b128 v[85:88], v[85:86], off
	v_add_co_ci_u32_e32 v90, vcc_lo, s5, v90, vcc_lo
	v_add_co_u32 v93, s3, s4, v93
	s_delay_alu instid0(VALU_DEP_1)
	v_add_co_ci_u32_e64 v94, s3, s5, v94, s3
	global_load_b128 v[89:92], v[89:90], off
	s_waitcnt vmcnt(18)
	v_sub_co_u32 v98, vcc_lo, v96, s20
	global_load_b128 v[93:96], v[93:94], off
	v_subrev_co_ci_u32_e32 v99, vcc_lo, s15, v97, vcc_lo
	s_delay_alu instid0(VALU_DEP_1) | instskip(NEXT) | instid1(VALU_DEP_1)
	v_lshlrev_b64 v[97:98], 4, v[98:99]
	v_add_co_u32 v97, vcc_lo, s4, v97
	s_delay_alu instid0(VALU_DEP_2)
	v_add_co_ci_u32_e32 v98, vcc_lo, s5, v98, vcc_lo
	v_add_co_u32 v13, vcc_lo, 0x800, v13
	v_add_co_ci_u32_e32 v14, vcc_lo, 0, v14, vcc_lo
	global_load_b128 v[97:100], v[97:98], off
	v_add_co_u32 v11, vcc_lo, v11, 32
	v_add_co_ci_u32_e32 v12, vcc_lo, 0, v12, vcc_lo
	v_add_co_u32 v15, vcc_lo, 0x100, v15
	v_add_co_ci_u32_e32 v16, vcc_lo, 0, v16, vcc_lo
	s_delay_alu instid0(VALU_DEP_3)
	v_cmp_ge_i64_e32 vcc_lo, v[11:12], v[5:6]
	s_or_b32 s11, vcc_lo, s11
	s_waitcnt vmcnt(3)
	v_fmac_f32_e32 v23, v25, v85
	v_fmac_f32_e32 v22, v33, v85
	;; [unrolled: 1-line block ×3, first 2 shown]
	s_delay_alu instid0(VALU_DEP_3) | instskip(NEXT) | instid1(VALU_DEP_3)
	v_dual_fmac_f32 v24, v29, v85 :: v_dual_fmac_f32 v23, v26, v86
	v_fmac_f32_e32 v22, v34, v86
	s_delay_alu instid0(VALU_DEP_3) | instskip(NEXT) | instid1(VALU_DEP_3)
	v_fmac_f32_e32 v21, v18, v86
	v_dual_fmac_f32 v24, v30, v86 :: v_dual_fmac_f32 v23, v27, v87
	s_delay_alu instid0(VALU_DEP_3) | instskip(NEXT) | instid1(VALU_DEP_3)
	v_fmac_f32_e32 v22, v35, v87
	v_fmac_f32_e32 v21, v19, v87
	s_delay_alu instid0(VALU_DEP_3) | instskip(NEXT) | instid1(VALU_DEP_3)
	v_dual_fmac_f32 v24, v31, v87 :: v_dual_fmac_f32 v23, v28, v88
	v_fmac_f32_e32 v22, v36, v88
	s_delay_alu instid0(VALU_DEP_3) | instskip(SKIP_1) | instid1(VALU_DEP_3)
	v_fmac_f32_e32 v21, v20, v88
	s_waitcnt vmcnt(2)
	v_dual_fmac_f32 v24, v32, v88 :: v_dual_fmac_f32 v23, v41, v89
	s_delay_alu instid0(VALU_DEP_3) | instskip(NEXT) | instid1(VALU_DEP_3)
	v_fmac_f32_e32 v22, v49, v89
	v_fmac_f32_e32 v21, v37, v89
	s_delay_alu instid0(VALU_DEP_3) | instskip(NEXT) | instid1(VALU_DEP_3)
	v_dual_fmac_f32 v24, v45, v89 :: v_dual_fmac_f32 v23, v42, v90
	v_fmac_f32_e32 v22, v50, v90
	s_delay_alu instid0(VALU_DEP_3) | instskip(NEXT) | instid1(VALU_DEP_3)
	v_fmac_f32_e32 v21, v38, v90
	v_dual_fmac_f32 v24, v46, v90 :: v_dual_fmac_f32 v23, v43, v91
	s_delay_alu instid0(VALU_DEP_3) | instskip(NEXT) | instid1(VALU_DEP_3)
	v_fmac_f32_e32 v22, v51, v91
	v_fmac_f32_e32 v21, v39, v91
	s_delay_alu instid0(VALU_DEP_3) | instskip(NEXT) | instid1(VALU_DEP_3)
	v_dual_fmac_f32 v24, v47, v91 :: v_dual_fmac_f32 v23, v44, v92
	v_fmac_f32_e32 v22, v52, v92
	s_delay_alu instid0(VALU_DEP_3) | instskip(SKIP_1) | instid1(VALU_DEP_3)
	v_fmac_f32_e32 v21, v40, v92
	s_waitcnt vmcnt(1)
	v_dual_fmac_f32 v24, v48, v92 :: v_dual_fmac_f32 v23, v57, v93
	s_delay_alu instid0(VALU_DEP_3) | instskip(NEXT) | instid1(VALU_DEP_3)
	v_fmac_f32_e32 v22, v65, v93
	v_fmac_f32_e32 v21, v53, v93
	;; [unrolled: 19-line block ×3, first 2 shown]
	s_delay_alu instid0(VALU_DEP_3) | instskip(NEXT) | instid1(VALU_DEP_3)
	v_dual_fmac_f32 v24, v77, v97 :: v_dual_fmac_f32 v23, v74, v98
	v_fmac_f32_e32 v22, v82, v98
	s_delay_alu instid0(VALU_DEP_3) | instskip(NEXT) | instid1(VALU_DEP_3)
	v_fmac_f32_e32 v21, v70, v98
	v_dual_fmac_f32 v24, v78, v98 :: v_dual_fmac_f32 v23, v75, v99
	s_delay_alu instid0(VALU_DEP_3) | instskip(NEXT) | instid1(VALU_DEP_3)
	v_fmac_f32_e32 v22, v83, v99
	v_fmac_f32_e32 v21, v71, v99
	s_delay_alu instid0(VALU_DEP_3) | instskip(NEXT) | instid1(VALU_DEP_3)
	v_dual_fmac_f32 v24, v79, v99 :: v_dual_fmac_f32 v23, v76, v100
	v_fmac_f32_e32 v22, v84, v100
	s_delay_alu instid0(VALU_DEP_3) | instskip(NEXT) | instid1(VALU_DEP_3)
	v_fmac_f32_e32 v21, v72, v100
	v_fmac_f32_e32 v24, v80, v100
	s_and_not1_b32 exec_lo, exec_lo, s11
	s_cbranch_execnz .LBB41_23
; %bb.24:
	s_or_b32 exec_lo, exec_lo, s11
.LBB41_25:
	s_delay_alu instid0(SALU_CYCLE_1)
	s_or_b32 exec_lo, exec_lo, s10
.LBB41_26:
	s_delay_alu instid0(SALU_CYCLE_1) | instskip(NEXT) | instid1(SALU_CYCLE_1)
	s_or_b32 exec_lo, exec_lo, s7
	s_and_not1_b32 vcc_lo, exec_lo, s6
	s_cbranch_vccz .LBB41_28
	s_branch .LBB41_39
.LBB41_27:
                                        ; implicit-def: $vgpr21
                                        ; implicit-def: $vgpr23
                                        ; implicit-def: $vgpr24
                                        ; implicit-def: $vgpr22
.LBB41_28:
	v_dual_mov_b32 v21, 0 :: v_dual_mov_b32 v24, 0
	v_dual_mov_b32 v23, 0 :: v_dual_mov_b32 v22, 0
	s_delay_alu instid0(VALU_DEP_4)
	s_and_saveexec_b32 s3, s2
	s_cbranch_execz .LBB41_38
; %bb.29:
	v_or_b32_e32 v11, 8, v2
	v_mov_b32_e32 v23, 0
	v_dual_mov_b32 v21, 0 :: v_dual_mov_b32 v22, 0
	v_mov_b32_e32 v24, 0
	s_delay_alu instid0(VALU_DEP_4) | instskip(NEXT) | instid1(VALU_DEP_1)
	v_sub_co_u32 v11, s2, v11, s20
	v_sub_co_ci_u32_e64 v12, null, 0, s15, s2
	v_sub_co_u32 v13, s2, s20, v2
	s_delay_alu instid0(VALU_DEP_3) | instskip(NEXT) | instid1(VALU_DEP_3)
	v_add_co_u32 v11, vcc_lo, v11, v9
	v_add_co_ci_u32_e32 v12, vcc_lo, v12, v10, vcc_lo
	v_not_b32_e32 v9, v9
	v_not_b32_e32 v10, v10
	v_sub_co_ci_u32_e64 v14, null, s15, 0, s2
	s_delay_alu instid0(VALU_DEP_4) | instskip(SKIP_4) | instid1(VALU_DEP_2)
	v_cmp_gt_i64_e32 vcc_lo, v[11:12], v[5:6]
	s_mov_b32 s2, exec_lo
	v_dual_cndmask_b32 v12, v6, v12 :: v_dual_cndmask_b32 v11, v5, v11
	v_add_co_u32 v9, vcc_lo, v13, v9
	v_add_co_ci_u32_e32 v10, vcc_lo, v14, v10, vcc_lo
	v_add_co_u32 v9, vcc_lo, v9, v11
	s_delay_alu instid0(VALU_DEP_2) | instskip(NEXT) | instid1(VALU_DEP_2)
	v_add_co_ci_u32_e32 v10, vcc_lo, v10, v12, vcc_lo
	v_lshrrev_b32_e32 v11, 3, v9
	s_delay_alu instid0(VALU_DEP_1) | instskip(NEXT) | instid1(VALU_DEP_1)
	v_add_nc_u32_e32 v11, 1, v11
	v_and_b32_e32 v11, 3, v11
	s_delay_alu instid0(VALU_DEP_1)
	v_cmpx_ne_u32_e32 0, v11
	s_cbranch_execz .LBB41_33
; %bb.30:
	v_lshlrev_b64 v[13:14], 3, v[0:1]
	v_dual_mov_b32 v12, 0 :: v_dual_lshlrev_b32 v11, 3, v11
	s_mov_b32 s6, 0
	s_delay_alu instid0(VALU_DEP_1) | instskip(NEXT) | instid1(VALU_DEP_3)
	v_mov_b32_e32 v21, v12
	v_add_co_u32 v13, vcc_lo, s8, v13
	s_delay_alu instid0(VALU_DEP_4)
	v_add_co_ci_u32_e32 v14, vcc_lo, s9, v14, vcc_lo
	v_mov_b32_e32 v23, v12
	v_mov_b32_e32 v24, v12
	;; [unrolled: 1-line block ×3, first 2 shown]
.LBB41_31:                              ; =>This Inner Loop Header: Depth=1
	global_load_b64 v[19:20], v[13:14], off
	s_clause 0x1
	global_load_b128 v[15:18], v[7:8], off offset:16
	global_load_b128 v[25:28], v[7:8], off
	s_waitcnt vmcnt(2)
	v_sub_co_u32 v19, vcc_lo, v19, s20
	v_subrev_co_ci_u32_e32 v20, vcc_lo, s15, v20, vcc_lo
	s_delay_alu instid0(VALU_DEP_1) | instskip(SKIP_1) | instid1(VALU_DEP_1)
	v_lshlrev_b64 v[19:20], 4, v[19:20]
	s_waitcnt lgkmcnt(0)
	v_add_co_u32 v19, vcc_lo, s4, v19
	s_delay_alu instid0(VALU_DEP_2)
	v_add_co_ci_u32_e32 v20, vcc_lo, s5, v20, vcc_lo
	global_load_b128 v[29:32], v[19:20], off
	s_clause 0x1
	global_load_b128 v[33:36], v[7:8], off offset:32
	global_load_b128 v[37:40], v[7:8], off offset:48
	v_add_co_u32 v7, vcc_lo, 0x200, v7
	v_add_co_ci_u32_e32 v8, vcc_lo, 0, v8, vcc_lo
	v_add_co_u32 v0, vcc_lo, v0, 8
	v_add_co_ci_u32_e32 v1, vcc_lo, 0, v1, vcc_lo
	;; [unrolled: 2-line block ×3, first 2 shown]
	v_add_co_u32 v11, vcc_lo, v11, -8
	v_add_co_ci_u32_e32 v12, vcc_lo, -1, v12, vcc_lo
	s_delay_alu instid0(VALU_DEP_1)
	v_cmp_eq_u64_e32 vcc_lo, 0, v[11:12]
	s_or_b32 s6, vcc_lo, s6
	s_waitcnt vmcnt(2)
	v_fmac_f32_e32 v23, v27, v29
	v_fmac_f32_e32 v24, v26, v29
	;; [unrolled: 1-line block ×4, first 2 shown]
	s_delay_alu instid0(VALU_DEP_4) | instskip(NEXT) | instid1(VALU_DEP_4)
	v_fmac_f32_e32 v23, v17, v30
	v_fmac_f32_e32 v24, v16, v30
	s_delay_alu instid0(VALU_DEP_4) | instskip(NEXT) | instid1(VALU_DEP_4)
	v_fmac_f32_e32 v21, v18, v30
	v_fmac_f32_e32 v22, v15, v30
	s_waitcnt vmcnt(1)
	v_fmac_f32_e32 v23, v35, v31
	s_delay_alu instid0(VALU_DEP_3) | instskip(NEXT) | instid1(VALU_DEP_3)
	v_fmac_f32_e32 v21, v36, v31
	v_fmac_f32_e32 v22, v33, v31
	s_waitcnt vmcnt(0)
	s_delay_alu instid0(VALU_DEP_3) | instskip(NEXT) | instid1(VALU_DEP_3)
	v_dual_fmac_f32 v24, v34, v31 :: v_dual_fmac_f32 v23, v39, v32
	v_fmac_f32_e32 v21, v40, v32
	s_delay_alu instid0(VALU_DEP_3) | instskip(NEXT) | instid1(VALU_DEP_3)
	v_fmac_f32_e32 v22, v37, v32
	v_fmac_f32_e32 v24, v38, v32
	s_and_not1_b32 exec_lo, exec_lo, s6
	s_cbranch_execnz .LBB41_31
; %bb.32:
	s_or_b32 exec_lo, exec_lo, s6
.LBB41_33:
	s_delay_alu instid0(SALU_CYCLE_1) | instskip(NEXT) | instid1(SALU_CYCLE_1)
	s_or_b32 exec_lo, exec_lo, s2
	s_mov_b32 s6, exec_lo
	v_cmpx_lt_u64_e32 23, v[9:10]
	s_cbranch_execz .LBB41_37
; %bb.34:
	v_lshlrev_b64 v[9:10], 3, v[0:1]
	s_mov_b32 s7, 0
	s_delay_alu instid0(VALU_DEP_1) | instskip(NEXT) | instid1(VALU_DEP_2)
	v_add_co_u32 v9, vcc_lo, v9, s8
	v_add_co_ci_u32_e32 v10, vcc_lo, s9, v10, vcc_lo
	s_delay_alu instid0(VALU_DEP_2) | instskip(NEXT) | instid1(VALU_DEP_2)
	v_add_co_u32 v9, vcc_lo, 0x80, v9
	v_add_co_ci_u32_e32 v10, vcc_lo, 0, v10, vcc_lo
.LBB41_35:                              ; =>This Inner Loop Header: Depth=1
	s_clause 0x3
	global_load_b64 v[19:20], v[9:10], off offset:-128
	global_load_b64 v[73:74], v[9:10], off offset:-64
	global_load_b64 v[76:77], v[9:10], off
	global_load_b64 v[84:85], v[9:10], off offset:64
	s_clause 0xd
	global_load_b128 v[11:14], v[7:8], off offset:48
	global_load_b128 v[15:18], v[7:8], off offset:32
	;; [unrolled: 1-line block ×3, first 2 shown]
	global_load_b128 v[29:32], v[7:8], off
	global_load_b128 v[33:36], v[7:8], off offset:560
	global_load_b128 v[37:40], v[7:8], off offset:544
	;; [unrolled: 1-line block ×10, first 2 shown]
	s_waitcnt vmcnt(17)
	v_sub_co_u32 v19, vcc_lo, v19, s20
	v_subrev_co_ci_u32_e32 v20, vcc_lo, s15, v20, vcc_lo
	s_waitcnt vmcnt(16)
	v_sub_co_u32 v78, vcc_lo, v73, s20
	v_subrev_co_ci_u32_e32 v79, vcc_lo, s15, v74, vcc_lo
	s_delay_alu instid0(VALU_DEP_3) | instskip(SKIP_4) | instid1(VALU_DEP_3)
	v_lshlrev_b64 v[19:20], 4, v[19:20]
	s_waitcnt vmcnt(15)
	v_sub_co_u32 v81, vcc_lo, v76, s20
	v_subrev_co_ci_u32_e32 v82, vcc_lo, s15, v77, vcc_lo
	s_waitcnt lgkmcnt(0)
	v_add_co_u32 v19, s2, s4, v19
	s_delay_alu instid0(VALU_DEP_1) | instskip(NEXT) | instid1(VALU_DEP_3)
	v_add_co_ci_u32_e64 v20, s2, s5, v20, s2
	v_lshlrev_b64 v[81:82], 4, v[81:82]
	global_load_b128 v[73:76], v[19:20], off
	v_lshlrev_b64 v[19:20], 4, v[78:79]
	v_add_co_u32 v81, s2, s4, v81
	s_delay_alu instid0(VALU_DEP_1) | instskip(NEXT) | instid1(VALU_DEP_3)
	v_add_co_ci_u32_e64 v82, s2, s5, v82, s2
	v_add_co_u32 v19, vcc_lo, s4, v19
	s_delay_alu instid0(VALU_DEP_4)
	v_add_co_ci_u32_e32 v20, vcc_lo, s5, v20, vcc_lo
	global_load_b128 v[77:80], v[19:20], off
	s_waitcnt vmcnt(16)
	v_sub_co_u32 v19, vcc_lo, v84, s20
	global_load_b128 v[81:84], v[81:82], off
	v_subrev_co_ci_u32_e32 v20, vcc_lo, s15, v85, vcc_lo
	s_delay_alu instid0(VALU_DEP_1) | instskip(NEXT) | instid1(VALU_DEP_1)
	v_lshlrev_b64 v[19:20], 4, v[19:20]
	v_add_co_u32 v19, vcc_lo, s4, v19
	s_delay_alu instid0(VALU_DEP_2)
	v_add_co_ci_u32_e32 v20, vcc_lo, s5, v20, vcc_lo
	global_load_b128 v[85:88], v[19:20], off
	s_clause 0x1
	global_load_b128 v[89:92], v[7:8], off offset:1568
	global_load_b128 v[93:96], v[7:8], off offset:1584
	v_add_co_u32 v7, vcc_lo, 0x800, v7
	v_add_co_ci_u32_e32 v8, vcc_lo, 0, v8, vcc_lo
	v_add_co_u32 v0, vcc_lo, v0, 32
	v_add_co_ci_u32_e32 v1, vcc_lo, 0, v1, vcc_lo
	;; [unrolled: 2-line block ×3, first 2 shown]
	s_delay_alu instid0(VALU_DEP_3)
	v_cmp_ge_i64_e32 vcc_lo, v[0:1], v[5:6]
	s_or_b32 s7, vcc_lo, s7
	s_waitcnt vmcnt(5)
	v_fmac_f32_e32 v23, v31, v73
	v_fmac_f32_e32 v22, v29, v73
	;; [unrolled: 1-line block ×3, first 2 shown]
	s_delay_alu instid0(VALU_DEP_3) | instskip(NEXT) | instid1(VALU_DEP_3)
	v_dual_fmac_f32 v24, v30, v73 :: v_dual_fmac_f32 v23, v27, v74
	v_fmac_f32_e32 v22, v25, v74
	s_delay_alu instid0(VALU_DEP_3) | instskip(NEXT) | instid1(VALU_DEP_3)
	v_fmac_f32_e32 v21, v28, v74
	v_dual_fmac_f32 v24, v26, v74 :: v_dual_fmac_f32 v23, v17, v75
	s_delay_alu instid0(VALU_DEP_3) | instskip(NEXT) | instid1(VALU_DEP_3)
	v_fmac_f32_e32 v22, v15, v75
	v_fmac_f32_e32 v21, v18, v75
	s_delay_alu instid0(VALU_DEP_3) | instskip(NEXT) | instid1(VALU_DEP_3)
	v_dual_fmac_f32 v24, v16, v75 :: v_dual_fmac_f32 v23, v13, v76
	v_fmac_f32_e32 v22, v11, v76
	s_delay_alu instid0(VALU_DEP_3) | instskip(SKIP_1) | instid1(VALU_DEP_3)
	v_fmac_f32_e32 v21, v14, v76
	s_waitcnt vmcnt(4)
	v_dual_fmac_f32 v24, v12, v76 :: v_dual_fmac_f32 v23, v47, v77
	s_delay_alu instid0(VALU_DEP_3) | instskip(NEXT) | instid1(VALU_DEP_3)
	v_fmac_f32_e32 v22, v45, v77
	v_fmac_f32_e32 v21, v48, v77
	s_delay_alu instid0(VALU_DEP_3) | instskip(NEXT) | instid1(VALU_DEP_3)
	v_dual_fmac_f32 v24, v46, v77 :: v_dual_fmac_f32 v23, v43, v78
	v_fmac_f32_e32 v22, v41, v78
	s_delay_alu instid0(VALU_DEP_3) | instskip(NEXT) | instid1(VALU_DEP_3)
	v_fmac_f32_e32 v21, v44, v78
	v_dual_fmac_f32 v24, v42, v78 :: v_dual_fmac_f32 v23, v39, v79
	s_delay_alu instid0(VALU_DEP_3) | instskip(NEXT) | instid1(VALU_DEP_3)
	v_fmac_f32_e32 v22, v37, v79
	v_fmac_f32_e32 v21, v40, v79
	s_delay_alu instid0(VALU_DEP_3) | instskip(NEXT) | instid1(VALU_DEP_3)
	v_dual_fmac_f32 v24, v38, v79 :: v_dual_fmac_f32 v23, v35, v80
	v_fmac_f32_e32 v22, v33, v80
	s_delay_alu instid0(VALU_DEP_3) | instskip(SKIP_1) | instid1(VALU_DEP_3)
	v_fmac_f32_e32 v21, v36, v80
	s_waitcnt vmcnt(3)
	v_dual_fmac_f32 v24, v34, v80 :: v_dual_fmac_f32 v23, v63, v81
	s_delay_alu instid0(VALU_DEP_3) | instskip(NEXT) | instid1(VALU_DEP_3)
	v_fmac_f32_e32 v22, v61, v81
	v_fmac_f32_e32 v21, v64, v81
	;; [unrolled: 19-line block ×3, first 2 shown]
	s_delay_alu instid0(VALU_DEP_3) | instskip(NEXT) | instid1(VALU_DEP_3)
	v_dual_fmac_f32 v24, v70, v85 :: v_dual_fmac_f32 v23, v67, v86
	v_fmac_f32_e32 v22, v65, v86
	s_delay_alu instid0(VALU_DEP_3) | instskip(SKIP_1) | instid1(VALU_DEP_3)
	v_fmac_f32_e32 v21, v68, v86
	s_waitcnt vmcnt(1)
	v_dual_fmac_f32 v24, v66, v86 :: v_dual_fmac_f32 v23, v91, v87
	s_delay_alu instid0(VALU_DEP_3) | instskip(NEXT) | instid1(VALU_DEP_3)
	v_fmac_f32_e32 v22, v89, v87
	v_fmac_f32_e32 v21, v92, v87
	s_waitcnt vmcnt(0)
	s_delay_alu instid0(VALU_DEP_3) | instskip(NEXT) | instid1(VALU_DEP_3)
	v_dual_fmac_f32 v24, v90, v87 :: v_dual_fmac_f32 v23, v95, v88
	v_fmac_f32_e32 v22, v93, v88
	s_delay_alu instid0(VALU_DEP_3) | instskip(NEXT) | instid1(VALU_DEP_3)
	v_fmac_f32_e32 v21, v96, v88
	v_fmac_f32_e32 v24, v94, v88
	s_and_not1_b32 exec_lo, exec_lo, s7
	s_cbranch_execnz .LBB41_35
; %bb.36:
	s_or_b32 exec_lo, exec_lo, s7
.LBB41_37:
	s_delay_alu instid0(SALU_CYCLE_1)
	s_or_b32 exec_lo, exec_lo, s6
.LBB41_38:
	s_delay_alu instid0(SALU_CYCLE_1)
	s_or_b32 exec_lo, exec_lo, s3
.LBB41_39:
	v_mbcnt_lo_u32_b32 v0, -1, 0
	s_mov_b32 s2, -1
	s_delay_alu instid0(VALU_DEP_1) | instskip(SKIP_2) | instid1(VALU_DEP_3)
	v_xor_b32_e32 v1, 4, v0
	v_xor_b32_e32 v8, 2, v0
	;; [unrolled: 1-line block ×3, first 2 shown]
	v_cmp_gt_i32_e32 vcc_lo, 32, v1
	v_cndmask_b32_e32 v1, v0, v1, vcc_lo
	s_delay_alu instid0(VALU_DEP_4) | instskip(SKIP_2) | instid1(VALU_DEP_2)
	v_cmp_gt_i32_e32 vcc_lo, 32, v8
	v_cndmask_b32_e32 v8, v0, v8, vcc_lo
	v_cmp_gt_i32_e32 vcc_lo, 32, v12
	v_lshlrev_b32_e32 v8, 2, v8
	v_dual_cndmask_b32 v0, v0, v12 :: v_dual_lshlrev_b32 v1, 2, v1
	v_cmp_eq_u32_e32 vcc_lo, 7, v2
	ds_bpermute_b32 v6, v1, v24
	v_lshlrev_b32_e32 v12, 2, v0
	s_waitcnt lgkmcnt(0)
	v_add_f32_e32 v6, v24, v6
	ds_bpermute_b32 v5, v1, v22
	ds_bpermute_b32 v7, v1, v23
	;; [unrolled: 1-line block ×4, first 2 shown]
	s_waitcnt lgkmcnt(3)
	v_add_f32_e32 v5, v22, v5
	s_waitcnt lgkmcnt(2)
	v_add_f32_e32 v7, v23, v7
	;; [unrolled: 2-line block ×3, first 2 shown]
	ds_bpermute_b32 v1, v8, v5
	ds_bpermute_b32 v11, v8, v7
	;; [unrolled: 1-line block ×3, first 2 shown]
	s_waitcnt lgkmcnt(2)
	v_dual_add_f32 v0, v5, v1 :: v_dual_add_f32 v1, v6, v10
	s_waitcnt lgkmcnt(0)
	v_dual_add_f32 v5, v7, v11 :: v_dual_add_f32 v6, v9, v8
	ds_bpermute_b32 v7, v12, v0
	ds_bpermute_b32 v8, v12, v1
	;; [unrolled: 1-line block ×4, first 2 shown]
	s_and_b32 exec_lo, exec_lo, vcc_lo
	s_cbranch_execz .LBB41_10
; %bb.40:
	s_load_b64 s[0:1], s[0:1], 0x58
	s_waitcnt lgkmcnt(0)
	v_dual_add_f32 v0, v0, v7 :: v_dual_add_f32 v1, v1, v8
	v_add_f32_e32 v6, v6, v10
	v_cmp_eq_f32_e64 s3, s12, 0
	s_delay_alu instid0(VALU_DEP_3) | instskip(SKIP_4) | instid1(VALU_DEP_3)
	v_dual_mul_f32 v0, s16, v0 :: v_dual_mul_f32 v1, s16, v1
	v_add_f32_e32 v2, v5, v9
	v_lshlrev_b64 v[4:5], 4, v[3:4]
	v_mul_f32_e32 v3, s16, v6
	s_and_b32 vcc_lo, exec_lo, s3
	v_mul_f32_e32 v2, s16, v2
	s_cbranch_vccz .LBB41_42
; %bb.41:
	s_delay_alu instid0(VALU_DEP_3)
	v_add_co_u32 v6, vcc_lo, s0, v4
	v_add_co_ci_u32_e32 v7, vcc_lo, s1, v5, vcc_lo
	s_mov_b32 s2, 0
	global_store_b128 v[6:7], v[0:3], off
.LBB41_42:
	s_and_not1_b32 vcc_lo, exec_lo, s2
	s_cbranch_vccnz .LBB41_10
; %bb.43:
	v_add_co_u32 v8, vcc_lo, s0, v4
	v_add_co_ci_u32_e32 v9, vcc_lo, s1, v5, vcc_lo
	global_load_b128 v[4:7], v[8:9], off
	s_waitcnt vmcnt(0)
	v_dual_fmac_f32 v0, s12, v4 :: v_dual_fmac_f32 v1, s12, v5
	v_dual_fmac_f32 v2, s12, v6 :: v_dual_fmac_f32 v3, s12, v7
	global_store_b128 v[8:9], v[0:3], off
	s_nop 0
	s_sendmsg sendmsg(MSG_DEALLOC_VGPRS)
	s_endpgm
	.section	.rodata,"a",@progbits
	.p2align	6, 0x0
	.amdhsa_kernel _ZN9rocsparseL18bsrxmvn_4x4_kernelILj128ELj8EfllfffEEvT3_20rocsparse_direction_NS_24const_host_device_scalarIT1_EES1_PKS1_PKT2_SA_S7_PKT4_PKT5_S5_PT6_21rocsparse_index_base_b
		.amdhsa_group_segment_fixed_size 0
		.amdhsa_private_segment_fixed_size 0
		.amdhsa_kernarg_size 104
		.amdhsa_user_sgpr_count 15
		.amdhsa_user_sgpr_dispatch_ptr 0
		.amdhsa_user_sgpr_queue_ptr 0
		.amdhsa_user_sgpr_kernarg_segment_ptr 1
		.amdhsa_user_sgpr_dispatch_id 0
		.amdhsa_user_sgpr_private_segment_size 0
		.amdhsa_wavefront_size32 1
		.amdhsa_uses_dynamic_stack 0
		.amdhsa_enable_private_segment 0
		.amdhsa_system_sgpr_workgroup_id_x 1
		.amdhsa_system_sgpr_workgroup_id_y 0
		.amdhsa_system_sgpr_workgroup_id_z 0
		.amdhsa_system_sgpr_workgroup_info 0
		.amdhsa_system_vgpr_workitem_id 0
		.amdhsa_next_free_vgpr 101
		.amdhsa_next_free_sgpr 22
		.amdhsa_reserve_vcc 1
		.amdhsa_float_round_mode_32 0
		.amdhsa_float_round_mode_16_64 0
		.amdhsa_float_denorm_mode_32 3
		.amdhsa_float_denorm_mode_16_64 3
		.amdhsa_dx10_clamp 1
		.amdhsa_ieee_mode 1
		.amdhsa_fp16_overflow 0
		.amdhsa_workgroup_processor_mode 1
		.amdhsa_memory_ordered 1
		.amdhsa_forward_progress 0
		.amdhsa_shared_vgpr_count 0
		.amdhsa_exception_fp_ieee_invalid_op 0
		.amdhsa_exception_fp_denorm_src 0
		.amdhsa_exception_fp_ieee_div_zero 0
		.amdhsa_exception_fp_ieee_overflow 0
		.amdhsa_exception_fp_ieee_underflow 0
		.amdhsa_exception_fp_ieee_inexact 0
		.amdhsa_exception_int_div_zero 0
	.end_amdhsa_kernel
	.section	.text._ZN9rocsparseL18bsrxmvn_4x4_kernelILj128ELj8EfllfffEEvT3_20rocsparse_direction_NS_24const_host_device_scalarIT1_EES1_PKS1_PKT2_SA_S7_PKT4_PKT5_S5_PT6_21rocsparse_index_base_b,"axG",@progbits,_ZN9rocsparseL18bsrxmvn_4x4_kernelILj128ELj8EfllfffEEvT3_20rocsparse_direction_NS_24const_host_device_scalarIT1_EES1_PKS1_PKT2_SA_S7_PKT4_PKT5_S5_PT6_21rocsparse_index_base_b,comdat
.Lfunc_end41:
	.size	_ZN9rocsparseL18bsrxmvn_4x4_kernelILj128ELj8EfllfffEEvT3_20rocsparse_direction_NS_24const_host_device_scalarIT1_EES1_PKS1_PKT2_SA_S7_PKT4_PKT5_S5_PT6_21rocsparse_index_base_b, .Lfunc_end41-_ZN9rocsparseL18bsrxmvn_4x4_kernelILj128ELj8EfllfffEEvT3_20rocsparse_direction_NS_24const_host_device_scalarIT1_EES1_PKS1_PKT2_SA_S7_PKT4_PKT5_S5_PT6_21rocsparse_index_base_b
                                        ; -- End function
	.section	.AMDGPU.csdata,"",@progbits
; Kernel info:
; codeLenInByte = 3792
; NumSgprs: 24
; NumVgprs: 101
; ScratchSize: 0
; MemoryBound: 0
; FloatMode: 240
; IeeeMode: 1
; LDSByteSize: 0 bytes/workgroup (compile time only)
; SGPRBlocks: 2
; VGPRBlocks: 12
; NumSGPRsForWavesPerEU: 24
; NumVGPRsForWavesPerEU: 101
; Occupancy: 12
; WaveLimiterHint : 1
; COMPUTE_PGM_RSRC2:SCRATCH_EN: 0
; COMPUTE_PGM_RSRC2:USER_SGPR: 15
; COMPUTE_PGM_RSRC2:TRAP_HANDLER: 0
; COMPUTE_PGM_RSRC2:TGID_X_EN: 1
; COMPUTE_PGM_RSRC2:TGID_Y_EN: 0
; COMPUTE_PGM_RSRC2:TGID_Z_EN: 0
; COMPUTE_PGM_RSRC2:TIDIG_COMP_CNT: 0
	.section	.text._ZN9rocsparseL18bsrxmvn_4x4_kernelILj128ELj16EfllfffEEvT3_20rocsparse_direction_NS_24const_host_device_scalarIT1_EES1_PKS1_PKT2_SA_S7_PKT4_PKT5_S5_PT6_21rocsparse_index_base_b,"axG",@progbits,_ZN9rocsparseL18bsrxmvn_4x4_kernelILj128ELj16EfllfffEEvT3_20rocsparse_direction_NS_24const_host_device_scalarIT1_EES1_PKS1_PKT2_SA_S7_PKT4_PKT5_S5_PT6_21rocsparse_index_base_b,comdat
	.globl	_ZN9rocsparseL18bsrxmvn_4x4_kernelILj128ELj16EfllfffEEvT3_20rocsparse_direction_NS_24const_host_device_scalarIT1_EES1_PKS1_PKT2_SA_S7_PKT4_PKT5_S5_PT6_21rocsparse_index_base_b ; -- Begin function _ZN9rocsparseL18bsrxmvn_4x4_kernelILj128ELj16EfllfffEEvT3_20rocsparse_direction_NS_24const_host_device_scalarIT1_EES1_PKS1_PKT2_SA_S7_PKT4_PKT5_S5_PT6_21rocsparse_index_base_b
	.p2align	8
	.type	_ZN9rocsparseL18bsrxmvn_4x4_kernelILj128ELj16EfllfffEEvT3_20rocsparse_direction_NS_24const_host_device_scalarIT1_EES1_PKS1_PKT2_SA_S7_PKT4_PKT5_S5_PT6_21rocsparse_index_base_b,@function
_ZN9rocsparseL18bsrxmvn_4x4_kernelILj128ELj16EfllfffEEvT3_20rocsparse_direction_NS_24const_host_device_scalarIT1_EES1_PKS1_PKT2_SA_S7_PKT4_PKT5_S5_PT6_21rocsparse_index_base_b: ; @_ZN9rocsparseL18bsrxmvn_4x4_kernelILj128ELj16EfllfffEEvT3_20rocsparse_direction_NS_24const_host_device_scalarIT1_EES1_PKS1_PKT2_SA_S7_PKT4_PKT5_S5_PT6_21rocsparse_index_base_b
; %bb.0:
	s_clause 0x2
	s_load_b64 s[20:21], s[0:1], 0x60
	s_load_b128 s[16:19], s[0:1], 0x10
	s_load_b64 s[12:13], s[0:1], 0x50
	s_waitcnt lgkmcnt(0)
	s_bitcmp1_b32 s21, 0
	s_cselect_b32 s2, -1, 0
	s_delay_alu instid0(SALU_CYCLE_1)
	s_and_b32 vcc_lo, exec_lo, s2
	s_xor_b32 s2, s2, -1
	s_cbranch_vccnz .LBB42_2
; %bb.1:
	s_load_b32 s16, s[16:17], 0x0
.LBB42_2:
	s_and_not1_b32 vcc_lo, exec_lo, s2
	s_cbranch_vccnz .LBB42_4
; %bb.3:
	s_load_b32 s12, s[12:13], 0x0
.LBB42_4:
	s_waitcnt lgkmcnt(0)
	v_cmp_neq_f32_e64 s2, s16, 0
	v_cmp_neq_f32_e64 s3, s12, 1.0
	s_mov_b32 s4, 0
	s_delay_alu instid0(VALU_DEP_1) | instskip(NEXT) | instid1(SALU_CYCLE_1)
	s_or_b32 s2, s2, s3
	s_and_not1_b32 vcc_lo, exec_lo, s2
	s_cbranch_vccnz .LBB42_10
; %bb.5:
	s_load_b64 s[2:3], s[0:1], 0x20
	v_lshrrev_b32_e32 v1, 4, v0
	v_mov_b32_e32 v2, 0
	s_delay_alu instid0(VALU_DEP_2)
	v_lshl_or_b32 v1, s15, 3, v1
	s_waitcnt lgkmcnt(0)
	s_cmp_lg_u64 s[2:3], 0
	s_cbranch_scc0 .LBB42_11
; %bb.6:
	s_mov_b32 s5, 0
	s_mov_b32 s6, exec_lo
                                        ; implicit-def: $vgpr3_vgpr4
	v_cmpx_gt_i64_e64 s[18:19], v[1:2]
	s_xor_b32 s6, exec_lo, s6
                                        ; implicit-def: $sgpr14_sgpr15
	s_cbranch_execz .LBB42_8
; %bb.7:
	v_lshlrev_b64 v[3:4], 3, v[1:2]
	s_mov_b32 s4, exec_lo
	s_mov_b32 s15, 0
	s_delay_alu instid0(VALU_DEP_1) | instskip(NEXT) | instid1(VALU_DEP_2)
	v_add_co_u32 v3, vcc_lo, s2, v3
	v_add_co_ci_u32_e32 v4, vcc_lo, s3, v4, vcc_lo
	global_load_b64 v[3:4], v[3:4], off
	s_waitcnt vmcnt(0)
	v_sub_co_u32 v3, vcc_lo, v3, s20
	v_subrev_co_ci_u32_e32 v4, vcc_lo, 0, v4, vcc_lo
.LBB42_8:
	s_or_b32 exec_lo, exec_lo, s6
	s_delay_alu instid0(SALU_CYCLE_1)
	s_and_b32 vcc_lo, exec_lo, s5
	s_cbranch_vccnz .LBB42_12
.LBB42_9:
	s_and_saveexec_b32 s2, s4
	s_cbranch_execnz .LBB42_15
.LBB42_10:
	s_nop 0
	s_sendmsg sendmsg(MSG_DEALLOC_VGPRS)
	s_endpgm
.LBB42_11:
                                        ; implicit-def: $vgpr3_vgpr4
                                        ; implicit-def: $sgpr14_sgpr15
	s_cbranch_execz .LBB42_9
.LBB42_12:
	s_load_b64 s[2:3], s[0:1], 0x0
                                        ; implicit-def: $vgpr3_vgpr4
	s_waitcnt lgkmcnt(0)
	v_cmp_gt_i64_e32 vcc_lo, s[2:3], v[1:2]
	s_and_saveexec_b32 s2, vcc_lo
                                        ; implicit-def: $sgpr14_sgpr15
; %bb.13:
	v_dual_mov_b32 v4, v2 :: v_dual_mov_b32 v3, v1
	s_mov_b32 s15, 0
	s_or_b32 s4, s4, exec_lo
; %bb.14:
	s_or_b32 exec_lo, exec_lo, s2
	s_and_saveexec_b32 s2, s4
	s_cbranch_execz .LBB42_10
.LBB42_15:
	s_load_b256 s[4:11], s[0:1], 0x28
	v_lshlrev_b64 v[1:2], 3, v[3:4]
	s_load_b32 s3, s[0:1], 0x8
	v_mov_b32_e32 v21, 0
	s_waitcnt lgkmcnt(0)
	s_delay_alu instid0(VALU_DEP_2) | instskip(NEXT) | instid1(VALU_DEP_3)
	v_add_co_u32 v5, vcc_lo, s4, v1
	v_add_co_ci_u32_e32 v6, vcc_lo, s5, v2, vcc_lo
	v_add_co_u32 v1, vcc_lo, s6, v1
	v_add_co_ci_u32_e32 v2, vcc_lo, s7, v2, vcc_lo
	s_delay_alu instid0(VALU_DEP_4)
	v_add_co_u32 v7, vcc_lo, v5, 8
	global_load_b64 v[9:10], v[5:6], off
	v_add_co_ci_u32_e32 v8, vcc_lo, 0, v6, vcc_lo
	s_cmp_eq_u64 s[6:7], 0
	s_load_b64 s[4:5], s[0:1], 0x48
	s_cselect_b32 vcc_lo, -1, 0
	s_cmp_eq_u32 s3, 1
	v_dual_cndmask_b32 v2, v2, v8 :: v_dual_cndmask_b32 v1, v1, v7
	global_load_b64 v[5:6], v[1:2], off
	v_and_b32_e32 v2, 15, v0
	s_waitcnt vmcnt(1)
	v_sub_co_u32 v0, vcc_lo, v9, s20
	v_subrev_co_ci_u32_e32 v1, vcc_lo, s15, v10, vcc_lo
	s_delay_alu instid0(VALU_DEP_2) | instskip(NEXT) | instid1(VALU_DEP_2)
	v_add_co_u32 v0, vcc_lo, v0, v2
	v_add_co_ci_u32_e32 v1, vcc_lo, 0, v1, vcc_lo
	s_delay_alu instid0(VALU_DEP_1) | instskip(SKIP_3) | instid1(VALU_DEP_3)
	v_lshlrev_b64 v[7:8], 6, v[0:1]
	s_waitcnt vmcnt(0)
	v_sub_co_u32 v5, vcc_lo, v5, s20
	v_subrev_co_ci_u32_e32 v6, vcc_lo, s15, v6, vcc_lo
	v_add_co_u32 v7, vcc_lo, s10, v7
	s_delay_alu instid0(VALU_DEP_2)
	v_cmp_lt_i64_e64 s2, v[0:1], v[5:6]
	v_add_co_ci_u32_e32 v8, vcc_lo, s11, v8, vcc_lo
	s_cbranch_scc1 .LBB42_27
; %bb.16:
	v_dual_mov_b32 v23, 0 :: v_dual_mov_b32 v24, 0
	v_mov_b32_e32 v22, 0
	s_mov_b32 s6, 0
	s_and_saveexec_b32 s7, s2
	s_cbranch_execz .LBB42_26
; %bb.17:
	v_or_b32_e32 v11, 16, v2
	v_not_b32_e32 v14, v9
	v_not_b32_e32 v13, v10
	v_mov_b32_e32 v23, 0
	v_mov_b32_e32 v21, 0
	v_sub_co_u32 v11, s3, v11, s20
	s_delay_alu instid0(VALU_DEP_1) | instskip(SKIP_1) | instid1(VALU_DEP_3)
	v_sub_co_ci_u32_e64 v12, null, 0, s15, s3
	v_sub_co_u32 v15, s3, s20, v2
	v_add_co_u32 v11, vcc_lo, v11, v9
	s_delay_alu instid0(VALU_DEP_3) | instskip(SKIP_2) | instid1(VALU_DEP_2)
	v_add_co_ci_u32_e32 v12, vcc_lo, v12, v10, vcc_lo
	v_sub_co_ci_u32_e64 v16, null, s15, 0, s3
	s_mov_b32 s3, exec_lo
	v_cmp_gt_i64_e32 vcc_lo, v[11:12], v[5:6]
	v_mov_b32_e32 v22, 0
	v_mov_b32_e32 v24, 0
	v_dual_cndmask_b32 v12, v6, v12 :: v_dual_cndmask_b32 v11, v5, v11
	v_add_co_u32 v14, vcc_lo, v15, v14
	v_add_co_ci_u32_e32 v13, vcc_lo, v16, v13, vcc_lo
	s_delay_alu instid0(VALU_DEP_2) | instskip(NEXT) | instid1(VALU_DEP_2)
	v_add_co_u32 v15, vcc_lo, v14, v11
	v_add_co_ci_u32_e32 v16, vcc_lo, v13, v12, vcc_lo
	v_mov_b32_e32 v14, v8
	s_delay_alu instid0(VALU_DEP_3) | instskip(SKIP_1) | instid1(VALU_DEP_2)
	v_lshrrev_b32_e32 v11, 4, v15
	v_mov_b32_e32 v13, v7
	v_add_nc_u32_e32 v11, 1, v11
	s_delay_alu instid0(VALU_DEP_1) | instskip(SKIP_1) | instid1(VALU_DEP_2)
	v_dual_mov_b32 v12, v1 :: v_dual_and_b32 v17, 3, v11
	v_mov_b32_e32 v11, v0
	v_cmpx_ne_u32_e32 0, v17
	s_cbranch_execz .LBB42_21
; %bb.18:
	v_lshlrev_b64 v[11:12], 3, v[0:1]
	v_dual_mov_b32 v18, 0 :: v_dual_lshlrev_b32 v17, 3, v17
	v_dual_mov_b32 v14, v8 :: v_dual_mov_b32 v13, v7
	s_mov_b32 s10, 0
	s_delay_alu instid0(VALU_DEP_3) | instskip(NEXT) | instid1(VALU_DEP_4)
	v_add_co_u32 v19, vcc_lo, s8, v11
	v_add_co_ci_u32_e32 v20, vcc_lo, s9, v12, vcc_lo
	v_dual_mov_b32 v12, v1 :: v_dual_mov_b32 v11, v0
	v_mov_b32_e32 v21, v18
	v_mov_b32_e32 v23, v18
	;; [unrolled: 1-line block ×4, first 2 shown]
.LBB42_19:                              ; =>This Inner Loop Header: Depth=1
	global_load_b64 v[41:42], v[19:20], off
	s_clause 0x3
	global_load_b128 v[25:28], v[13:14], off offset:48
	global_load_b128 v[29:32], v[13:14], off offset:32
	;; [unrolled: 1-line block ×3, first 2 shown]
	global_load_b128 v[37:40], v[13:14], off
	s_waitcnt vmcnt(4)
	v_sub_co_u32 v41, vcc_lo, v41, s20
	v_subrev_co_ci_u32_e32 v42, vcc_lo, s15, v42, vcc_lo
	s_delay_alu instid0(VALU_DEP_1) | instskip(SKIP_1) | instid1(VALU_DEP_1)
	v_lshlrev_b64 v[41:42], 4, v[41:42]
	s_waitcnt lgkmcnt(0)
	v_add_co_u32 v41, vcc_lo, s4, v41
	s_delay_alu instid0(VALU_DEP_2)
	v_add_co_ci_u32_e32 v42, vcc_lo, s5, v42, vcc_lo
	v_add_co_u32 v13, vcc_lo, 0x400, v13
	v_add_co_ci_u32_e32 v14, vcc_lo, 0, v14, vcc_lo
	global_load_b128 v[41:44], v[41:42], off
	v_add_co_u32 v11, vcc_lo, v11, 16
	v_add_co_ci_u32_e32 v12, vcc_lo, 0, v12, vcc_lo
	v_add_co_u32 v19, vcc_lo, 0x80, v19
	v_add_co_ci_u32_e32 v20, vcc_lo, 0, v20, vcc_lo
	v_add_co_u32 v17, vcc_lo, v17, -8
	v_add_co_ci_u32_e32 v18, vcc_lo, -1, v18, vcc_lo
	s_delay_alu instid0(VALU_DEP_1)
	v_cmp_eq_u64_e32 vcc_lo, 0, v[17:18]
	s_or_b32 s10, vcc_lo, s10
	s_waitcnt vmcnt(0)
	v_fmac_f32_e32 v23, v29, v41
	v_fmac_f32_e32 v22, v37, v41
	v_fmac_f32_e32 v21, v25, v41
	s_delay_alu instid0(VALU_DEP_3) | instskip(NEXT) | instid1(VALU_DEP_3)
	v_dual_fmac_f32 v24, v33, v41 :: v_dual_fmac_f32 v23, v30, v42
	v_fmac_f32_e32 v22, v38, v42
	s_delay_alu instid0(VALU_DEP_3) | instskip(NEXT) | instid1(VALU_DEP_3)
	v_fmac_f32_e32 v21, v26, v42
	v_dual_fmac_f32 v24, v34, v42 :: v_dual_fmac_f32 v23, v31, v43
	s_delay_alu instid0(VALU_DEP_3) | instskip(NEXT) | instid1(VALU_DEP_3)
	v_fmac_f32_e32 v22, v39, v43
	v_fmac_f32_e32 v21, v27, v43
	s_delay_alu instid0(VALU_DEP_3) | instskip(NEXT) | instid1(VALU_DEP_3)
	v_dual_fmac_f32 v24, v35, v43 :: v_dual_fmac_f32 v23, v32, v44
	v_fmac_f32_e32 v22, v40, v44
	s_delay_alu instid0(VALU_DEP_3) | instskip(NEXT) | instid1(VALU_DEP_3)
	v_fmac_f32_e32 v21, v28, v44
	v_fmac_f32_e32 v24, v36, v44
	s_and_not1_b32 exec_lo, exec_lo, s10
	s_cbranch_execnz .LBB42_19
; %bb.20:
	s_or_b32 exec_lo, exec_lo, s10
.LBB42_21:
	s_delay_alu instid0(SALU_CYCLE_1) | instskip(NEXT) | instid1(SALU_CYCLE_1)
	s_or_b32 exec_lo, exec_lo, s3
	s_mov_b32 s10, exec_lo
	v_cmpx_lt_u64_e32 47, v[15:16]
	s_cbranch_execz .LBB42_25
; %bb.22:
	v_lshlrev_b64 v[15:16], 3, v[11:12]
	s_mov_b32 s11, 0
	s_delay_alu instid0(VALU_DEP_1) | instskip(NEXT) | instid1(VALU_DEP_2)
	v_add_co_u32 v15, vcc_lo, v15, s8
	v_add_co_ci_u32_e32 v16, vcc_lo, s9, v16, vcc_lo
	s_delay_alu instid0(VALU_DEP_2) | instskip(NEXT) | instid1(VALU_DEP_2)
	v_add_co_u32 v15, vcc_lo, 0x100, v15
	v_add_co_ci_u32_e32 v16, vcc_lo, 0, v16, vcc_lo
.LBB42_23:                              ; =>This Inner Loop Header: Depth=1
	s_clause 0x3
	global_load_b64 v[85:86], v[15:16], off offset:-256
	global_load_b64 v[87:88], v[15:16], off offset:-128
	global_load_b64 v[89:90], v[15:16], off
	global_load_b64 v[96:97], v[15:16], off offset:128
	s_clause 0xf
	global_load_b128 v[17:20], v[13:14], off offset:48
	global_load_b128 v[25:28], v[13:14], off offset:32
	;; [unrolled: 1-line block ×3, first 2 shown]
	global_load_b128 v[33:36], v[13:14], off
	global_load_b128 v[37:40], v[13:14], off offset:1072
	global_load_b128 v[41:44], v[13:14], off offset:1056
	;; [unrolled: 1-line block ×12, first 2 shown]
	s_waitcnt vmcnt(19)
	v_sub_co_u32 v85, vcc_lo, v85, s20
	v_subrev_co_ci_u32_e32 v86, vcc_lo, s15, v86, vcc_lo
	s_waitcnt vmcnt(18)
	v_sub_co_u32 v91, vcc_lo, v87, s20
	v_subrev_co_ci_u32_e32 v92, vcc_lo, s15, v88, vcc_lo
	s_delay_alu instid0(VALU_DEP_3)
	v_lshlrev_b64 v[85:86], 4, v[85:86]
	s_waitcnt vmcnt(17)
	v_sub_co_u32 v93, vcc_lo, v89, s20
	v_subrev_co_ci_u32_e32 v94, vcc_lo, s15, v90, vcc_lo
	v_lshlrev_b64 v[89:90], 4, v[91:92]
	s_waitcnt lgkmcnt(0)
	v_add_co_u32 v85, s3, s4, v85
	s_delay_alu instid0(VALU_DEP_1) | instskip(SKIP_1) | instid1(VALU_DEP_4)
	v_add_co_ci_u32_e64 v86, s3, s5, v86, s3
	v_lshlrev_b64 v[93:94], 4, v[93:94]
	v_add_co_u32 v89, vcc_lo, s4, v89
	global_load_b128 v[85:88], v[85:86], off
	v_add_co_ci_u32_e32 v90, vcc_lo, s5, v90, vcc_lo
	v_add_co_u32 v93, s3, s4, v93
	s_delay_alu instid0(VALU_DEP_1)
	v_add_co_ci_u32_e64 v94, s3, s5, v94, s3
	global_load_b128 v[89:92], v[89:90], off
	s_waitcnt vmcnt(18)
	v_sub_co_u32 v98, vcc_lo, v96, s20
	global_load_b128 v[93:96], v[93:94], off
	v_subrev_co_ci_u32_e32 v99, vcc_lo, s15, v97, vcc_lo
	s_delay_alu instid0(VALU_DEP_1) | instskip(NEXT) | instid1(VALU_DEP_1)
	v_lshlrev_b64 v[97:98], 4, v[98:99]
	v_add_co_u32 v97, vcc_lo, s4, v97
	s_delay_alu instid0(VALU_DEP_2)
	v_add_co_ci_u32_e32 v98, vcc_lo, s5, v98, vcc_lo
	v_add_co_u32 v13, vcc_lo, 0x1000, v13
	v_add_co_ci_u32_e32 v14, vcc_lo, 0, v14, vcc_lo
	global_load_b128 v[97:100], v[97:98], off
	v_add_co_u32 v11, vcc_lo, v11, 64
	v_add_co_ci_u32_e32 v12, vcc_lo, 0, v12, vcc_lo
	v_add_co_u32 v15, vcc_lo, 0x200, v15
	v_add_co_ci_u32_e32 v16, vcc_lo, 0, v16, vcc_lo
	s_delay_alu instid0(VALU_DEP_3)
	v_cmp_ge_i64_e32 vcc_lo, v[11:12], v[5:6]
	s_or_b32 s11, vcc_lo, s11
	s_waitcnt vmcnt(3)
	v_fmac_f32_e32 v23, v25, v85
	v_fmac_f32_e32 v22, v33, v85
	;; [unrolled: 1-line block ×3, first 2 shown]
	s_delay_alu instid0(VALU_DEP_3) | instskip(NEXT) | instid1(VALU_DEP_3)
	v_dual_fmac_f32 v24, v29, v85 :: v_dual_fmac_f32 v23, v26, v86
	v_fmac_f32_e32 v22, v34, v86
	s_delay_alu instid0(VALU_DEP_3) | instskip(NEXT) | instid1(VALU_DEP_3)
	v_fmac_f32_e32 v21, v18, v86
	v_dual_fmac_f32 v24, v30, v86 :: v_dual_fmac_f32 v23, v27, v87
	s_delay_alu instid0(VALU_DEP_3) | instskip(NEXT) | instid1(VALU_DEP_3)
	v_fmac_f32_e32 v22, v35, v87
	v_fmac_f32_e32 v21, v19, v87
	s_delay_alu instid0(VALU_DEP_3) | instskip(NEXT) | instid1(VALU_DEP_3)
	v_dual_fmac_f32 v24, v31, v87 :: v_dual_fmac_f32 v23, v28, v88
	v_fmac_f32_e32 v22, v36, v88
	s_delay_alu instid0(VALU_DEP_3) | instskip(SKIP_1) | instid1(VALU_DEP_3)
	v_fmac_f32_e32 v21, v20, v88
	s_waitcnt vmcnt(2)
	v_dual_fmac_f32 v24, v32, v88 :: v_dual_fmac_f32 v23, v41, v89
	s_delay_alu instid0(VALU_DEP_3) | instskip(NEXT) | instid1(VALU_DEP_3)
	v_fmac_f32_e32 v22, v49, v89
	v_fmac_f32_e32 v21, v37, v89
	s_delay_alu instid0(VALU_DEP_3) | instskip(NEXT) | instid1(VALU_DEP_3)
	v_dual_fmac_f32 v24, v45, v89 :: v_dual_fmac_f32 v23, v42, v90
	v_fmac_f32_e32 v22, v50, v90
	s_delay_alu instid0(VALU_DEP_3) | instskip(NEXT) | instid1(VALU_DEP_3)
	v_fmac_f32_e32 v21, v38, v90
	v_dual_fmac_f32 v24, v46, v90 :: v_dual_fmac_f32 v23, v43, v91
	s_delay_alu instid0(VALU_DEP_3) | instskip(NEXT) | instid1(VALU_DEP_3)
	v_fmac_f32_e32 v22, v51, v91
	v_fmac_f32_e32 v21, v39, v91
	s_delay_alu instid0(VALU_DEP_3) | instskip(NEXT) | instid1(VALU_DEP_3)
	v_dual_fmac_f32 v24, v47, v91 :: v_dual_fmac_f32 v23, v44, v92
	v_fmac_f32_e32 v22, v52, v92
	s_delay_alu instid0(VALU_DEP_3) | instskip(SKIP_1) | instid1(VALU_DEP_3)
	v_fmac_f32_e32 v21, v40, v92
	s_waitcnt vmcnt(1)
	v_dual_fmac_f32 v24, v48, v92 :: v_dual_fmac_f32 v23, v57, v93
	s_delay_alu instid0(VALU_DEP_3) | instskip(NEXT) | instid1(VALU_DEP_3)
	v_fmac_f32_e32 v22, v65, v93
	v_fmac_f32_e32 v21, v53, v93
	;; [unrolled: 19-line block ×3, first 2 shown]
	s_delay_alu instid0(VALU_DEP_3) | instskip(NEXT) | instid1(VALU_DEP_3)
	v_dual_fmac_f32 v24, v77, v97 :: v_dual_fmac_f32 v23, v74, v98
	v_fmac_f32_e32 v22, v82, v98
	s_delay_alu instid0(VALU_DEP_3) | instskip(NEXT) | instid1(VALU_DEP_3)
	v_fmac_f32_e32 v21, v70, v98
	v_dual_fmac_f32 v24, v78, v98 :: v_dual_fmac_f32 v23, v75, v99
	s_delay_alu instid0(VALU_DEP_3) | instskip(NEXT) | instid1(VALU_DEP_3)
	v_fmac_f32_e32 v22, v83, v99
	v_fmac_f32_e32 v21, v71, v99
	s_delay_alu instid0(VALU_DEP_3) | instskip(NEXT) | instid1(VALU_DEP_3)
	v_dual_fmac_f32 v24, v79, v99 :: v_dual_fmac_f32 v23, v76, v100
	v_fmac_f32_e32 v22, v84, v100
	s_delay_alu instid0(VALU_DEP_3) | instskip(NEXT) | instid1(VALU_DEP_3)
	v_fmac_f32_e32 v21, v72, v100
	v_fmac_f32_e32 v24, v80, v100
	s_and_not1_b32 exec_lo, exec_lo, s11
	s_cbranch_execnz .LBB42_23
; %bb.24:
	s_or_b32 exec_lo, exec_lo, s11
.LBB42_25:
	s_delay_alu instid0(SALU_CYCLE_1)
	s_or_b32 exec_lo, exec_lo, s10
.LBB42_26:
	s_delay_alu instid0(SALU_CYCLE_1) | instskip(NEXT) | instid1(SALU_CYCLE_1)
	s_or_b32 exec_lo, exec_lo, s7
	s_and_not1_b32 vcc_lo, exec_lo, s6
	s_cbranch_vccz .LBB42_28
	s_branch .LBB42_39
.LBB42_27:
                                        ; implicit-def: $vgpr21
                                        ; implicit-def: $vgpr23
                                        ; implicit-def: $vgpr24
                                        ; implicit-def: $vgpr22
.LBB42_28:
	v_dual_mov_b32 v21, 0 :: v_dual_mov_b32 v24, 0
	v_dual_mov_b32 v23, 0 :: v_dual_mov_b32 v22, 0
	s_delay_alu instid0(VALU_DEP_4)
	s_and_saveexec_b32 s3, s2
	s_cbranch_execz .LBB42_38
; %bb.29:
	v_or_b32_e32 v11, 16, v2
	v_mov_b32_e32 v23, 0
	v_dual_mov_b32 v21, 0 :: v_dual_mov_b32 v22, 0
	v_mov_b32_e32 v24, 0
	s_delay_alu instid0(VALU_DEP_4) | instskip(NEXT) | instid1(VALU_DEP_1)
	v_sub_co_u32 v11, s2, v11, s20
	v_sub_co_ci_u32_e64 v12, null, 0, s15, s2
	v_sub_co_u32 v13, s2, s20, v2
	s_delay_alu instid0(VALU_DEP_3) | instskip(NEXT) | instid1(VALU_DEP_3)
	v_add_co_u32 v11, vcc_lo, v11, v9
	v_add_co_ci_u32_e32 v12, vcc_lo, v12, v10, vcc_lo
	v_not_b32_e32 v9, v9
	v_not_b32_e32 v10, v10
	v_sub_co_ci_u32_e64 v14, null, s15, 0, s2
	s_delay_alu instid0(VALU_DEP_4) | instskip(SKIP_4) | instid1(VALU_DEP_2)
	v_cmp_gt_i64_e32 vcc_lo, v[11:12], v[5:6]
	s_mov_b32 s2, exec_lo
	v_dual_cndmask_b32 v12, v6, v12 :: v_dual_cndmask_b32 v11, v5, v11
	v_add_co_u32 v9, vcc_lo, v13, v9
	v_add_co_ci_u32_e32 v10, vcc_lo, v14, v10, vcc_lo
	v_add_co_u32 v9, vcc_lo, v9, v11
	s_delay_alu instid0(VALU_DEP_2) | instskip(NEXT) | instid1(VALU_DEP_2)
	v_add_co_ci_u32_e32 v10, vcc_lo, v10, v12, vcc_lo
	v_lshrrev_b32_e32 v11, 4, v9
	s_delay_alu instid0(VALU_DEP_1) | instskip(NEXT) | instid1(VALU_DEP_1)
	v_add_nc_u32_e32 v11, 1, v11
	v_and_b32_e32 v11, 3, v11
	s_delay_alu instid0(VALU_DEP_1)
	v_cmpx_ne_u32_e32 0, v11
	s_cbranch_execz .LBB42_33
; %bb.30:
	v_lshlrev_b64 v[13:14], 3, v[0:1]
	v_dual_mov_b32 v12, 0 :: v_dual_lshlrev_b32 v11, 3, v11
	s_mov_b32 s6, 0
	s_delay_alu instid0(VALU_DEP_1) | instskip(NEXT) | instid1(VALU_DEP_3)
	v_mov_b32_e32 v21, v12
	v_add_co_u32 v13, vcc_lo, s8, v13
	s_delay_alu instid0(VALU_DEP_4)
	v_add_co_ci_u32_e32 v14, vcc_lo, s9, v14, vcc_lo
	v_mov_b32_e32 v23, v12
	v_mov_b32_e32 v24, v12
	;; [unrolled: 1-line block ×3, first 2 shown]
.LBB42_31:                              ; =>This Inner Loop Header: Depth=1
	global_load_b64 v[19:20], v[13:14], off
	s_clause 0x1
	global_load_b128 v[15:18], v[7:8], off offset:16
	global_load_b128 v[25:28], v[7:8], off
	s_waitcnt vmcnt(2)
	v_sub_co_u32 v19, vcc_lo, v19, s20
	v_subrev_co_ci_u32_e32 v20, vcc_lo, s15, v20, vcc_lo
	s_delay_alu instid0(VALU_DEP_1) | instskip(SKIP_1) | instid1(VALU_DEP_1)
	v_lshlrev_b64 v[19:20], 4, v[19:20]
	s_waitcnt lgkmcnt(0)
	v_add_co_u32 v19, vcc_lo, s4, v19
	s_delay_alu instid0(VALU_DEP_2)
	v_add_co_ci_u32_e32 v20, vcc_lo, s5, v20, vcc_lo
	global_load_b128 v[29:32], v[19:20], off
	s_clause 0x1
	global_load_b128 v[33:36], v[7:8], off offset:32
	global_load_b128 v[37:40], v[7:8], off offset:48
	v_add_co_u32 v7, vcc_lo, 0x400, v7
	v_add_co_ci_u32_e32 v8, vcc_lo, 0, v8, vcc_lo
	v_add_co_u32 v0, vcc_lo, v0, 16
	v_add_co_ci_u32_e32 v1, vcc_lo, 0, v1, vcc_lo
	;; [unrolled: 2-line block ×3, first 2 shown]
	v_add_co_u32 v11, vcc_lo, v11, -8
	v_add_co_ci_u32_e32 v12, vcc_lo, -1, v12, vcc_lo
	s_delay_alu instid0(VALU_DEP_1)
	v_cmp_eq_u64_e32 vcc_lo, 0, v[11:12]
	s_or_b32 s6, vcc_lo, s6
	s_waitcnt vmcnt(2)
	v_fmac_f32_e32 v23, v27, v29
	v_fmac_f32_e32 v24, v26, v29
	;; [unrolled: 1-line block ×4, first 2 shown]
	s_delay_alu instid0(VALU_DEP_4) | instskip(NEXT) | instid1(VALU_DEP_4)
	v_fmac_f32_e32 v23, v17, v30
	v_fmac_f32_e32 v24, v16, v30
	s_delay_alu instid0(VALU_DEP_4) | instskip(NEXT) | instid1(VALU_DEP_4)
	v_fmac_f32_e32 v21, v18, v30
	v_fmac_f32_e32 v22, v15, v30
	s_waitcnt vmcnt(1)
	v_fmac_f32_e32 v23, v35, v31
	s_delay_alu instid0(VALU_DEP_3) | instskip(NEXT) | instid1(VALU_DEP_3)
	v_fmac_f32_e32 v21, v36, v31
	v_fmac_f32_e32 v22, v33, v31
	s_waitcnt vmcnt(0)
	s_delay_alu instid0(VALU_DEP_3) | instskip(NEXT) | instid1(VALU_DEP_3)
	v_dual_fmac_f32 v24, v34, v31 :: v_dual_fmac_f32 v23, v39, v32
	v_fmac_f32_e32 v21, v40, v32
	s_delay_alu instid0(VALU_DEP_3) | instskip(NEXT) | instid1(VALU_DEP_3)
	v_fmac_f32_e32 v22, v37, v32
	v_fmac_f32_e32 v24, v38, v32
	s_and_not1_b32 exec_lo, exec_lo, s6
	s_cbranch_execnz .LBB42_31
; %bb.32:
	s_or_b32 exec_lo, exec_lo, s6
.LBB42_33:
	s_delay_alu instid0(SALU_CYCLE_1) | instskip(NEXT) | instid1(SALU_CYCLE_1)
	s_or_b32 exec_lo, exec_lo, s2
	s_mov_b32 s6, exec_lo
	v_cmpx_lt_u64_e32 47, v[9:10]
	s_cbranch_execz .LBB42_37
; %bb.34:
	v_lshlrev_b64 v[9:10], 3, v[0:1]
	s_mov_b32 s7, 0
	s_delay_alu instid0(VALU_DEP_1) | instskip(NEXT) | instid1(VALU_DEP_2)
	v_add_co_u32 v9, vcc_lo, v9, s8
	v_add_co_ci_u32_e32 v10, vcc_lo, s9, v10, vcc_lo
	s_delay_alu instid0(VALU_DEP_2) | instskip(NEXT) | instid1(VALU_DEP_2)
	v_add_co_u32 v9, vcc_lo, 0x100, v9
	v_add_co_ci_u32_e32 v10, vcc_lo, 0, v10, vcc_lo
.LBB42_35:                              ; =>This Inner Loop Header: Depth=1
	s_clause 0x3
	global_load_b64 v[19:20], v[9:10], off offset:-256
	global_load_b64 v[73:74], v[9:10], off offset:-128
	global_load_b64 v[76:77], v[9:10], off
	global_load_b64 v[84:85], v[9:10], off offset:128
	s_clause 0xd
	global_load_b128 v[11:14], v[7:8], off offset:48
	global_load_b128 v[15:18], v[7:8], off offset:32
	;; [unrolled: 1-line block ×3, first 2 shown]
	global_load_b128 v[29:32], v[7:8], off
	global_load_b128 v[33:36], v[7:8], off offset:1072
	global_load_b128 v[37:40], v[7:8], off offset:1056
	;; [unrolled: 1-line block ×10, first 2 shown]
	s_waitcnt vmcnt(17)
	v_sub_co_u32 v19, vcc_lo, v19, s20
	v_subrev_co_ci_u32_e32 v20, vcc_lo, s15, v20, vcc_lo
	s_waitcnt vmcnt(16)
	v_sub_co_u32 v78, vcc_lo, v73, s20
	v_subrev_co_ci_u32_e32 v79, vcc_lo, s15, v74, vcc_lo
	s_delay_alu instid0(VALU_DEP_3) | instskip(SKIP_4) | instid1(VALU_DEP_3)
	v_lshlrev_b64 v[19:20], 4, v[19:20]
	s_waitcnt vmcnt(15)
	v_sub_co_u32 v81, vcc_lo, v76, s20
	v_subrev_co_ci_u32_e32 v82, vcc_lo, s15, v77, vcc_lo
	s_waitcnt lgkmcnt(0)
	v_add_co_u32 v19, s2, s4, v19
	s_delay_alu instid0(VALU_DEP_1) | instskip(NEXT) | instid1(VALU_DEP_3)
	v_add_co_ci_u32_e64 v20, s2, s5, v20, s2
	v_lshlrev_b64 v[81:82], 4, v[81:82]
	global_load_b128 v[73:76], v[19:20], off
	v_lshlrev_b64 v[19:20], 4, v[78:79]
	v_add_co_u32 v81, s2, s4, v81
	s_delay_alu instid0(VALU_DEP_1) | instskip(NEXT) | instid1(VALU_DEP_3)
	v_add_co_ci_u32_e64 v82, s2, s5, v82, s2
	v_add_co_u32 v19, vcc_lo, s4, v19
	s_delay_alu instid0(VALU_DEP_4)
	v_add_co_ci_u32_e32 v20, vcc_lo, s5, v20, vcc_lo
	global_load_b128 v[77:80], v[19:20], off
	s_waitcnt vmcnt(16)
	v_sub_co_u32 v19, vcc_lo, v84, s20
	global_load_b128 v[81:84], v[81:82], off
	v_subrev_co_ci_u32_e32 v20, vcc_lo, s15, v85, vcc_lo
	s_delay_alu instid0(VALU_DEP_1) | instskip(NEXT) | instid1(VALU_DEP_1)
	v_lshlrev_b64 v[19:20], 4, v[19:20]
	v_add_co_u32 v19, vcc_lo, s4, v19
	s_delay_alu instid0(VALU_DEP_2)
	v_add_co_ci_u32_e32 v20, vcc_lo, s5, v20, vcc_lo
	global_load_b128 v[85:88], v[19:20], off
	s_clause 0x1
	global_load_b128 v[89:92], v[7:8], off offset:3104
	global_load_b128 v[93:96], v[7:8], off offset:3120
	v_add_co_u32 v7, vcc_lo, 0x1000, v7
	v_add_co_ci_u32_e32 v8, vcc_lo, 0, v8, vcc_lo
	v_add_co_u32 v0, vcc_lo, v0, 64
	v_add_co_ci_u32_e32 v1, vcc_lo, 0, v1, vcc_lo
	;; [unrolled: 2-line block ×3, first 2 shown]
	s_delay_alu instid0(VALU_DEP_3)
	v_cmp_ge_i64_e32 vcc_lo, v[0:1], v[5:6]
	s_or_b32 s7, vcc_lo, s7
	s_waitcnt vmcnt(5)
	v_fmac_f32_e32 v23, v31, v73
	v_fmac_f32_e32 v22, v29, v73
	v_fmac_f32_e32 v21, v32, v73
	s_delay_alu instid0(VALU_DEP_3) | instskip(NEXT) | instid1(VALU_DEP_3)
	v_dual_fmac_f32 v24, v30, v73 :: v_dual_fmac_f32 v23, v27, v74
	v_fmac_f32_e32 v22, v25, v74
	s_delay_alu instid0(VALU_DEP_3) | instskip(NEXT) | instid1(VALU_DEP_3)
	v_fmac_f32_e32 v21, v28, v74
	v_dual_fmac_f32 v24, v26, v74 :: v_dual_fmac_f32 v23, v17, v75
	s_delay_alu instid0(VALU_DEP_3) | instskip(NEXT) | instid1(VALU_DEP_3)
	v_fmac_f32_e32 v22, v15, v75
	v_fmac_f32_e32 v21, v18, v75
	s_delay_alu instid0(VALU_DEP_3) | instskip(NEXT) | instid1(VALU_DEP_3)
	v_dual_fmac_f32 v24, v16, v75 :: v_dual_fmac_f32 v23, v13, v76
	v_fmac_f32_e32 v22, v11, v76
	s_delay_alu instid0(VALU_DEP_3) | instskip(SKIP_1) | instid1(VALU_DEP_3)
	v_fmac_f32_e32 v21, v14, v76
	s_waitcnt vmcnt(4)
	v_dual_fmac_f32 v24, v12, v76 :: v_dual_fmac_f32 v23, v47, v77
	s_delay_alu instid0(VALU_DEP_3) | instskip(NEXT) | instid1(VALU_DEP_3)
	v_fmac_f32_e32 v22, v45, v77
	v_fmac_f32_e32 v21, v48, v77
	s_delay_alu instid0(VALU_DEP_3) | instskip(NEXT) | instid1(VALU_DEP_3)
	v_dual_fmac_f32 v24, v46, v77 :: v_dual_fmac_f32 v23, v43, v78
	v_fmac_f32_e32 v22, v41, v78
	s_delay_alu instid0(VALU_DEP_3) | instskip(NEXT) | instid1(VALU_DEP_3)
	v_fmac_f32_e32 v21, v44, v78
	v_dual_fmac_f32 v24, v42, v78 :: v_dual_fmac_f32 v23, v39, v79
	s_delay_alu instid0(VALU_DEP_3) | instskip(NEXT) | instid1(VALU_DEP_3)
	v_fmac_f32_e32 v22, v37, v79
	v_fmac_f32_e32 v21, v40, v79
	s_delay_alu instid0(VALU_DEP_3) | instskip(NEXT) | instid1(VALU_DEP_3)
	v_dual_fmac_f32 v24, v38, v79 :: v_dual_fmac_f32 v23, v35, v80
	v_fmac_f32_e32 v22, v33, v80
	s_delay_alu instid0(VALU_DEP_3) | instskip(SKIP_1) | instid1(VALU_DEP_3)
	v_fmac_f32_e32 v21, v36, v80
	s_waitcnt vmcnt(3)
	v_dual_fmac_f32 v24, v34, v80 :: v_dual_fmac_f32 v23, v63, v81
	s_delay_alu instid0(VALU_DEP_3) | instskip(NEXT) | instid1(VALU_DEP_3)
	v_fmac_f32_e32 v22, v61, v81
	v_fmac_f32_e32 v21, v64, v81
	;; [unrolled: 19-line block ×3, first 2 shown]
	s_delay_alu instid0(VALU_DEP_3) | instskip(NEXT) | instid1(VALU_DEP_3)
	v_dual_fmac_f32 v24, v70, v85 :: v_dual_fmac_f32 v23, v67, v86
	v_fmac_f32_e32 v22, v65, v86
	s_delay_alu instid0(VALU_DEP_3) | instskip(SKIP_1) | instid1(VALU_DEP_3)
	v_fmac_f32_e32 v21, v68, v86
	s_waitcnt vmcnt(1)
	v_dual_fmac_f32 v24, v66, v86 :: v_dual_fmac_f32 v23, v91, v87
	s_delay_alu instid0(VALU_DEP_3) | instskip(NEXT) | instid1(VALU_DEP_3)
	v_fmac_f32_e32 v22, v89, v87
	v_fmac_f32_e32 v21, v92, v87
	s_waitcnt vmcnt(0)
	s_delay_alu instid0(VALU_DEP_3) | instskip(NEXT) | instid1(VALU_DEP_3)
	v_dual_fmac_f32 v24, v90, v87 :: v_dual_fmac_f32 v23, v95, v88
	v_fmac_f32_e32 v22, v93, v88
	s_delay_alu instid0(VALU_DEP_3) | instskip(NEXT) | instid1(VALU_DEP_3)
	v_fmac_f32_e32 v21, v96, v88
	v_fmac_f32_e32 v24, v94, v88
	s_and_not1_b32 exec_lo, exec_lo, s7
	s_cbranch_execnz .LBB42_35
; %bb.36:
	s_or_b32 exec_lo, exec_lo, s7
.LBB42_37:
	s_delay_alu instid0(SALU_CYCLE_1)
	s_or_b32 exec_lo, exec_lo, s6
.LBB42_38:
	s_delay_alu instid0(SALU_CYCLE_1)
	s_or_b32 exec_lo, exec_lo, s3
.LBB42_39:
	v_mbcnt_lo_u32_b32 v0, -1, 0
	s_mov_b32 s2, -1
	s_delay_alu instid0(VALU_DEP_1) | instskip(SKIP_2) | instid1(VALU_DEP_3)
	v_xor_b32_e32 v1, 8, v0
	v_xor_b32_e32 v8, 4, v0
	;; [unrolled: 1-line block ×3, first 2 shown]
	v_cmp_gt_i32_e32 vcc_lo, 32, v1
	v_cndmask_b32_e32 v1, v0, v1, vcc_lo
	s_delay_alu instid0(VALU_DEP_4) | instskip(SKIP_2) | instid1(VALU_DEP_2)
	v_cmp_gt_i32_e32 vcc_lo, 32, v8
	v_cndmask_b32_e32 v8, v0, v8, vcc_lo
	v_cmp_gt_i32_e32 vcc_lo, 32, v12
	v_lshlrev_b32_e32 v8, 2, v8
	v_dual_cndmask_b32 v12, v0, v12 :: v_dual_lshlrev_b32 v1, 2, v1
	ds_bpermute_b32 v6, v1, v24
	v_lshlrev_b32_e32 v12, 2, v12
	s_waitcnt lgkmcnt(0)
	v_add_f32_e32 v6, v24, v6
	ds_bpermute_b32 v5, v1, v22
	ds_bpermute_b32 v7, v1, v23
	;; [unrolled: 1-line block ×4, first 2 shown]
	s_waitcnt lgkmcnt(3)
	v_add_f32_e32 v5, v22, v5
	s_waitcnt lgkmcnt(2)
	v_add_f32_e32 v7, v23, v7
	s_waitcnt lgkmcnt(0)
	v_dual_add_f32 v1, v21, v1 :: v_dual_add_f32 v6, v6, v10
	ds_bpermute_b32 v9, v8, v5
	ds_bpermute_b32 v11, v8, v7
	;; [unrolled: 1-line block ×3, first 2 shown]
	s_waitcnt lgkmcnt(2)
	v_add_f32_e32 v5, v5, v9
	s_waitcnt lgkmcnt(0)
	v_dual_add_f32 v7, v7, v11 :: v_dual_add_f32 v8, v1, v8
	ds_bpermute_b32 v9, v12, v6
	ds_bpermute_b32 v1, v12, v5
	;; [unrolled: 1-line block ×4, first 2 shown]
	v_xor_b32_e32 v12, 1, v0
	s_delay_alu instid0(VALU_DEP_1) | instskip(SKIP_2) | instid1(VALU_DEP_2)
	v_cmp_gt_i32_e32 vcc_lo, 32, v12
	v_cndmask_b32_e32 v0, v0, v12, vcc_lo
	v_cmp_eq_u32_e32 vcc_lo, 15, v2
	v_lshlrev_b32_e32 v12, 2, v0
	s_waitcnt lgkmcnt(1)
	v_dual_add_f32 v0, v5, v1 :: v_dual_add_f32 v5, v7, v10
	s_waitcnt lgkmcnt(0)
	v_dual_add_f32 v1, v6, v9 :: v_dual_add_f32 v6, v8, v11
	ds_bpermute_b32 v7, v12, v0
	ds_bpermute_b32 v9, v12, v5
	;; [unrolled: 1-line block ×4, first 2 shown]
	s_and_b32 exec_lo, exec_lo, vcc_lo
	s_cbranch_execz .LBB42_10
; %bb.40:
	s_load_b64 s[0:1], s[0:1], 0x58
	s_waitcnt lgkmcnt(0)
	v_dual_add_f32 v0, v0, v7 :: v_dual_add_f32 v1, v1, v8
	v_add_f32_e32 v6, v6, v10
	v_cmp_eq_f32_e64 s3, s12, 0
	s_delay_alu instid0(VALU_DEP_3) | instskip(SKIP_4) | instid1(VALU_DEP_3)
	v_dual_mul_f32 v0, s16, v0 :: v_dual_mul_f32 v1, s16, v1
	v_add_f32_e32 v2, v5, v9
	v_lshlrev_b64 v[4:5], 4, v[3:4]
	v_mul_f32_e32 v3, s16, v6
	s_and_b32 vcc_lo, exec_lo, s3
	v_mul_f32_e32 v2, s16, v2
	s_cbranch_vccz .LBB42_42
; %bb.41:
	s_delay_alu instid0(VALU_DEP_3)
	v_add_co_u32 v6, vcc_lo, s0, v4
	v_add_co_ci_u32_e32 v7, vcc_lo, s1, v5, vcc_lo
	s_mov_b32 s2, 0
	global_store_b128 v[6:7], v[0:3], off
.LBB42_42:
	s_and_not1_b32 vcc_lo, exec_lo, s2
	s_cbranch_vccnz .LBB42_10
; %bb.43:
	v_add_co_u32 v8, vcc_lo, s0, v4
	v_add_co_ci_u32_e32 v9, vcc_lo, s1, v5, vcc_lo
	global_load_b128 v[4:7], v[8:9], off
	s_waitcnt vmcnt(0)
	v_dual_fmac_f32 v0, s12, v4 :: v_dual_fmac_f32 v1, s12, v5
	v_dual_fmac_f32 v2, s12, v6 :: v_dual_fmac_f32 v3, s12, v7
	global_store_b128 v[8:9], v[0:3], off
	s_nop 0
	s_sendmsg sendmsg(MSG_DEALLOC_VGPRS)
	s_endpgm
	.section	.rodata,"a",@progbits
	.p2align	6, 0x0
	.amdhsa_kernel _ZN9rocsparseL18bsrxmvn_4x4_kernelILj128ELj16EfllfffEEvT3_20rocsparse_direction_NS_24const_host_device_scalarIT1_EES1_PKS1_PKT2_SA_S7_PKT4_PKT5_S5_PT6_21rocsparse_index_base_b
		.amdhsa_group_segment_fixed_size 0
		.amdhsa_private_segment_fixed_size 0
		.amdhsa_kernarg_size 104
		.amdhsa_user_sgpr_count 15
		.amdhsa_user_sgpr_dispatch_ptr 0
		.amdhsa_user_sgpr_queue_ptr 0
		.amdhsa_user_sgpr_kernarg_segment_ptr 1
		.amdhsa_user_sgpr_dispatch_id 0
		.amdhsa_user_sgpr_private_segment_size 0
		.amdhsa_wavefront_size32 1
		.amdhsa_uses_dynamic_stack 0
		.amdhsa_enable_private_segment 0
		.amdhsa_system_sgpr_workgroup_id_x 1
		.amdhsa_system_sgpr_workgroup_id_y 0
		.amdhsa_system_sgpr_workgroup_id_z 0
		.amdhsa_system_sgpr_workgroup_info 0
		.amdhsa_system_vgpr_workitem_id 0
		.amdhsa_next_free_vgpr 101
		.amdhsa_next_free_sgpr 22
		.amdhsa_reserve_vcc 1
		.amdhsa_float_round_mode_32 0
		.amdhsa_float_round_mode_16_64 0
		.amdhsa_float_denorm_mode_32 3
		.amdhsa_float_denorm_mode_16_64 3
		.amdhsa_dx10_clamp 1
		.amdhsa_ieee_mode 1
		.amdhsa_fp16_overflow 0
		.amdhsa_workgroup_processor_mode 1
		.amdhsa_memory_ordered 1
		.amdhsa_forward_progress 0
		.amdhsa_shared_vgpr_count 0
		.amdhsa_exception_fp_ieee_invalid_op 0
		.amdhsa_exception_fp_denorm_src 0
		.amdhsa_exception_fp_ieee_div_zero 0
		.amdhsa_exception_fp_ieee_overflow 0
		.amdhsa_exception_fp_ieee_underflow 0
		.amdhsa_exception_fp_ieee_inexact 0
		.amdhsa_exception_int_div_zero 0
	.end_amdhsa_kernel
	.section	.text._ZN9rocsparseL18bsrxmvn_4x4_kernelILj128ELj16EfllfffEEvT3_20rocsparse_direction_NS_24const_host_device_scalarIT1_EES1_PKS1_PKT2_SA_S7_PKT4_PKT5_S5_PT6_21rocsparse_index_base_b,"axG",@progbits,_ZN9rocsparseL18bsrxmvn_4x4_kernelILj128ELj16EfllfffEEvT3_20rocsparse_direction_NS_24const_host_device_scalarIT1_EES1_PKS1_PKT2_SA_S7_PKT4_PKT5_S5_PT6_21rocsparse_index_base_b,comdat
.Lfunc_end42:
	.size	_ZN9rocsparseL18bsrxmvn_4x4_kernelILj128ELj16EfllfffEEvT3_20rocsparse_direction_NS_24const_host_device_scalarIT1_EES1_PKS1_PKT2_SA_S7_PKT4_PKT5_S5_PT6_21rocsparse_index_base_b, .Lfunc_end42-_ZN9rocsparseL18bsrxmvn_4x4_kernelILj128ELj16EfllfffEEvT3_20rocsparse_direction_NS_24const_host_device_scalarIT1_EES1_PKS1_PKT2_SA_S7_PKT4_PKT5_S5_PT6_21rocsparse_index_base_b
                                        ; -- End function
	.section	.AMDGPU.csdata,"",@progbits
; Kernel info:
; codeLenInByte = 3876
; NumSgprs: 24
; NumVgprs: 101
; ScratchSize: 0
; MemoryBound: 0
; FloatMode: 240
; IeeeMode: 1
; LDSByteSize: 0 bytes/workgroup (compile time only)
; SGPRBlocks: 2
; VGPRBlocks: 12
; NumSGPRsForWavesPerEU: 24
; NumVGPRsForWavesPerEU: 101
; Occupancy: 12
; WaveLimiterHint : 1
; COMPUTE_PGM_RSRC2:SCRATCH_EN: 0
; COMPUTE_PGM_RSRC2:USER_SGPR: 15
; COMPUTE_PGM_RSRC2:TRAP_HANDLER: 0
; COMPUTE_PGM_RSRC2:TGID_X_EN: 1
; COMPUTE_PGM_RSRC2:TGID_Y_EN: 0
; COMPUTE_PGM_RSRC2:TGID_Z_EN: 0
; COMPUTE_PGM_RSRC2:TIDIG_COMP_CNT: 0
	.section	.text._ZN9rocsparseL18bsrxmvn_4x4_kernelILj128ELj32EfllfffEEvT3_20rocsparse_direction_NS_24const_host_device_scalarIT1_EES1_PKS1_PKT2_SA_S7_PKT4_PKT5_S5_PT6_21rocsparse_index_base_b,"axG",@progbits,_ZN9rocsparseL18bsrxmvn_4x4_kernelILj128ELj32EfllfffEEvT3_20rocsparse_direction_NS_24const_host_device_scalarIT1_EES1_PKS1_PKT2_SA_S7_PKT4_PKT5_S5_PT6_21rocsparse_index_base_b,comdat
	.globl	_ZN9rocsparseL18bsrxmvn_4x4_kernelILj128ELj32EfllfffEEvT3_20rocsparse_direction_NS_24const_host_device_scalarIT1_EES1_PKS1_PKT2_SA_S7_PKT4_PKT5_S5_PT6_21rocsparse_index_base_b ; -- Begin function _ZN9rocsparseL18bsrxmvn_4x4_kernelILj128ELj32EfllfffEEvT3_20rocsparse_direction_NS_24const_host_device_scalarIT1_EES1_PKS1_PKT2_SA_S7_PKT4_PKT5_S5_PT6_21rocsparse_index_base_b
	.p2align	8
	.type	_ZN9rocsparseL18bsrxmvn_4x4_kernelILj128ELj32EfllfffEEvT3_20rocsparse_direction_NS_24const_host_device_scalarIT1_EES1_PKS1_PKT2_SA_S7_PKT4_PKT5_S5_PT6_21rocsparse_index_base_b,@function
_ZN9rocsparseL18bsrxmvn_4x4_kernelILj128ELj32EfllfffEEvT3_20rocsparse_direction_NS_24const_host_device_scalarIT1_EES1_PKS1_PKT2_SA_S7_PKT4_PKT5_S5_PT6_21rocsparse_index_base_b: ; @_ZN9rocsparseL18bsrxmvn_4x4_kernelILj128ELj32EfllfffEEvT3_20rocsparse_direction_NS_24const_host_device_scalarIT1_EES1_PKS1_PKT2_SA_S7_PKT4_PKT5_S5_PT6_21rocsparse_index_base_b
; %bb.0:
	s_clause 0x2
	s_load_b64 s[20:21], s[0:1], 0x60
	s_load_b128 s[16:19], s[0:1], 0x10
	s_load_b64 s[12:13], s[0:1], 0x50
	s_waitcnt lgkmcnt(0)
	s_bitcmp1_b32 s21, 0
	s_cselect_b32 s2, -1, 0
	s_delay_alu instid0(SALU_CYCLE_1)
	s_and_b32 vcc_lo, exec_lo, s2
	s_xor_b32 s2, s2, -1
	s_cbranch_vccnz .LBB43_2
; %bb.1:
	s_load_b32 s16, s[16:17], 0x0
.LBB43_2:
	s_and_not1_b32 vcc_lo, exec_lo, s2
	s_cbranch_vccnz .LBB43_4
; %bb.3:
	s_load_b32 s12, s[12:13], 0x0
.LBB43_4:
	s_waitcnt lgkmcnt(0)
	v_cmp_neq_f32_e64 s2, s16, 0
	v_cmp_neq_f32_e64 s3, s12, 1.0
	s_mov_b32 s4, 0
	s_delay_alu instid0(VALU_DEP_1) | instskip(NEXT) | instid1(SALU_CYCLE_1)
	s_or_b32 s2, s2, s3
	s_and_not1_b32 vcc_lo, exec_lo, s2
	s_cbranch_vccnz .LBB43_10
; %bb.5:
	s_load_b64 s[2:3], s[0:1], 0x20
	v_lshrrev_b32_e32 v1, 5, v0
	v_mov_b32_e32 v2, 0
	s_delay_alu instid0(VALU_DEP_2)
	v_lshl_or_b32 v1, s15, 2, v1
	s_waitcnt lgkmcnt(0)
	s_cmp_lg_u64 s[2:3], 0
	s_cbranch_scc0 .LBB43_11
; %bb.6:
	s_mov_b32 s5, 0
	s_mov_b32 s6, exec_lo
                                        ; implicit-def: $vgpr3_vgpr4
	v_cmpx_gt_i64_e64 s[18:19], v[1:2]
	s_xor_b32 s6, exec_lo, s6
                                        ; implicit-def: $sgpr14_sgpr15
	s_cbranch_execz .LBB43_8
; %bb.7:
	v_lshlrev_b64 v[3:4], 3, v[1:2]
	s_mov_b32 s4, exec_lo
	s_mov_b32 s15, 0
	s_delay_alu instid0(VALU_DEP_1) | instskip(NEXT) | instid1(VALU_DEP_2)
	v_add_co_u32 v3, vcc_lo, s2, v3
	v_add_co_ci_u32_e32 v4, vcc_lo, s3, v4, vcc_lo
	global_load_b64 v[3:4], v[3:4], off
	s_waitcnt vmcnt(0)
	v_sub_co_u32 v3, vcc_lo, v3, s20
	v_subrev_co_ci_u32_e32 v4, vcc_lo, 0, v4, vcc_lo
.LBB43_8:
	s_or_b32 exec_lo, exec_lo, s6
	s_delay_alu instid0(SALU_CYCLE_1)
	s_and_b32 vcc_lo, exec_lo, s5
	s_cbranch_vccnz .LBB43_12
.LBB43_9:
	s_and_saveexec_b32 s2, s4
	s_cbranch_execnz .LBB43_15
.LBB43_10:
	s_nop 0
	s_sendmsg sendmsg(MSG_DEALLOC_VGPRS)
	s_endpgm
.LBB43_11:
                                        ; implicit-def: $vgpr3_vgpr4
                                        ; implicit-def: $sgpr14_sgpr15
	s_cbranch_execz .LBB43_9
.LBB43_12:
	s_load_b64 s[2:3], s[0:1], 0x0
                                        ; implicit-def: $vgpr3_vgpr4
	s_waitcnt lgkmcnt(0)
	v_cmp_gt_i64_e32 vcc_lo, s[2:3], v[1:2]
	s_and_saveexec_b32 s2, vcc_lo
                                        ; implicit-def: $sgpr14_sgpr15
; %bb.13:
	v_dual_mov_b32 v4, v2 :: v_dual_mov_b32 v3, v1
	s_mov_b32 s15, 0
	s_or_b32 s4, s4, exec_lo
; %bb.14:
	s_or_b32 exec_lo, exec_lo, s2
	s_and_saveexec_b32 s2, s4
	s_cbranch_execz .LBB43_10
.LBB43_15:
	s_load_b256 s[4:11], s[0:1], 0x28
	v_lshlrev_b64 v[1:2], 3, v[3:4]
	s_load_b32 s3, s[0:1], 0x8
	v_mov_b32_e32 v21, 0
	s_waitcnt lgkmcnt(0)
	s_delay_alu instid0(VALU_DEP_2) | instskip(NEXT) | instid1(VALU_DEP_3)
	v_add_co_u32 v5, vcc_lo, s4, v1
	v_add_co_ci_u32_e32 v6, vcc_lo, s5, v2, vcc_lo
	v_add_co_u32 v1, vcc_lo, s6, v1
	v_add_co_ci_u32_e32 v2, vcc_lo, s7, v2, vcc_lo
	s_delay_alu instid0(VALU_DEP_4)
	v_add_co_u32 v7, vcc_lo, v5, 8
	global_load_b64 v[9:10], v[5:6], off
	v_add_co_ci_u32_e32 v8, vcc_lo, 0, v6, vcc_lo
	s_cmp_eq_u64 s[6:7], 0
	s_load_b64 s[4:5], s[0:1], 0x48
	s_cselect_b32 vcc_lo, -1, 0
	s_cmp_eq_u32 s3, 1
	v_dual_cndmask_b32 v2, v2, v8 :: v_dual_cndmask_b32 v1, v1, v7
	global_load_b64 v[5:6], v[1:2], off
	v_and_b32_e32 v2, 31, v0
	s_waitcnt vmcnt(1)
	v_sub_co_u32 v0, vcc_lo, v9, s20
	v_subrev_co_ci_u32_e32 v1, vcc_lo, s15, v10, vcc_lo
	s_delay_alu instid0(VALU_DEP_2) | instskip(NEXT) | instid1(VALU_DEP_2)
	v_add_co_u32 v0, vcc_lo, v0, v2
	v_add_co_ci_u32_e32 v1, vcc_lo, 0, v1, vcc_lo
	s_delay_alu instid0(VALU_DEP_1) | instskip(SKIP_3) | instid1(VALU_DEP_3)
	v_lshlrev_b64 v[7:8], 6, v[0:1]
	s_waitcnt vmcnt(0)
	v_sub_co_u32 v5, vcc_lo, v5, s20
	v_subrev_co_ci_u32_e32 v6, vcc_lo, s15, v6, vcc_lo
	v_add_co_u32 v7, vcc_lo, s10, v7
	s_delay_alu instid0(VALU_DEP_2)
	v_cmp_lt_i64_e64 s2, v[0:1], v[5:6]
	v_add_co_ci_u32_e32 v8, vcc_lo, s11, v8, vcc_lo
	s_cbranch_scc1 .LBB43_27
; %bb.16:
	v_dual_mov_b32 v23, 0 :: v_dual_mov_b32 v24, 0
	v_mov_b32_e32 v22, 0
	s_mov_b32 s6, 0
	s_and_saveexec_b32 s7, s2
	s_cbranch_execz .LBB43_26
; %bb.17:
	v_or_b32_e32 v11, 32, v2
	v_not_b32_e32 v14, v9
	v_not_b32_e32 v13, v10
	v_mov_b32_e32 v23, 0
	v_mov_b32_e32 v21, 0
	v_sub_co_u32 v11, s3, v11, s20
	s_delay_alu instid0(VALU_DEP_1) | instskip(SKIP_1) | instid1(VALU_DEP_3)
	v_sub_co_ci_u32_e64 v12, null, 0, s15, s3
	v_sub_co_u32 v15, s3, s20, v2
	v_add_co_u32 v11, vcc_lo, v11, v9
	s_delay_alu instid0(VALU_DEP_3) | instskip(SKIP_2) | instid1(VALU_DEP_2)
	v_add_co_ci_u32_e32 v12, vcc_lo, v12, v10, vcc_lo
	v_sub_co_ci_u32_e64 v16, null, s15, 0, s3
	s_mov_b32 s3, exec_lo
	v_cmp_gt_i64_e32 vcc_lo, v[11:12], v[5:6]
	v_mov_b32_e32 v22, 0
	v_mov_b32_e32 v24, 0
	v_dual_cndmask_b32 v12, v6, v12 :: v_dual_cndmask_b32 v11, v5, v11
	v_add_co_u32 v14, vcc_lo, v15, v14
	v_add_co_ci_u32_e32 v13, vcc_lo, v16, v13, vcc_lo
	s_delay_alu instid0(VALU_DEP_2) | instskip(NEXT) | instid1(VALU_DEP_2)
	v_add_co_u32 v15, vcc_lo, v14, v11
	v_add_co_ci_u32_e32 v16, vcc_lo, v13, v12, vcc_lo
	v_mov_b32_e32 v14, v8
	s_delay_alu instid0(VALU_DEP_3) | instskip(SKIP_1) | instid1(VALU_DEP_2)
	v_lshrrev_b32_e32 v11, 5, v15
	v_mov_b32_e32 v13, v7
	v_add_nc_u32_e32 v11, 1, v11
	s_delay_alu instid0(VALU_DEP_1) | instskip(SKIP_1) | instid1(VALU_DEP_2)
	v_dual_mov_b32 v12, v1 :: v_dual_and_b32 v17, 3, v11
	v_mov_b32_e32 v11, v0
	v_cmpx_ne_u32_e32 0, v17
	s_cbranch_execz .LBB43_21
; %bb.18:
	v_lshlrev_b64 v[11:12], 3, v[0:1]
	v_dual_mov_b32 v18, 0 :: v_dual_lshlrev_b32 v17, 3, v17
	v_dual_mov_b32 v14, v8 :: v_dual_mov_b32 v13, v7
	s_mov_b32 s10, 0
	s_delay_alu instid0(VALU_DEP_3) | instskip(NEXT) | instid1(VALU_DEP_4)
	v_add_co_u32 v19, vcc_lo, s8, v11
	v_add_co_ci_u32_e32 v20, vcc_lo, s9, v12, vcc_lo
	v_dual_mov_b32 v12, v1 :: v_dual_mov_b32 v11, v0
	v_mov_b32_e32 v21, v18
	v_mov_b32_e32 v23, v18
	;; [unrolled: 1-line block ×4, first 2 shown]
.LBB43_19:                              ; =>This Inner Loop Header: Depth=1
	global_load_b64 v[41:42], v[19:20], off
	s_clause 0x3
	global_load_b128 v[25:28], v[13:14], off offset:48
	global_load_b128 v[29:32], v[13:14], off offset:32
	;; [unrolled: 1-line block ×3, first 2 shown]
	global_load_b128 v[37:40], v[13:14], off
	s_waitcnt vmcnt(4)
	v_sub_co_u32 v41, vcc_lo, v41, s20
	v_subrev_co_ci_u32_e32 v42, vcc_lo, s15, v42, vcc_lo
	s_delay_alu instid0(VALU_DEP_1) | instskip(SKIP_1) | instid1(VALU_DEP_1)
	v_lshlrev_b64 v[41:42], 4, v[41:42]
	s_waitcnt lgkmcnt(0)
	v_add_co_u32 v41, vcc_lo, s4, v41
	s_delay_alu instid0(VALU_DEP_2)
	v_add_co_ci_u32_e32 v42, vcc_lo, s5, v42, vcc_lo
	v_add_co_u32 v13, vcc_lo, 0x800, v13
	v_add_co_ci_u32_e32 v14, vcc_lo, 0, v14, vcc_lo
	global_load_b128 v[41:44], v[41:42], off
	v_add_co_u32 v11, vcc_lo, v11, 32
	v_add_co_ci_u32_e32 v12, vcc_lo, 0, v12, vcc_lo
	v_add_co_u32 v19, vcc_lo, 0x100, v19
	v_add_co_ci_u32_e32 v20, vcc_lo, 0, v20, vcc_lo
	v_add_co_u32 v17, vcc_lo, v17, -8
	v_add_co_ci_u32_e32 v18, vcc_lo, -1, v18, vcc_lo
	s_delay_alu instid0(VALU_DEP_1)
	v_cmp_eq_u64_e32 vcc_lo, 0, v[17:18]
	s_or_b32 s10, vcc_lo, s10
	s_waitcnt vmcnt(0)
	v_fmac_f32_e32 v23, v29, v41
	v_fmac_f32_e32 v22, v37, v41
	;; [unrolled: 1-line block ×3, first 2 shown]
	s_delay_alu instid0(VALU_DEP_3) | instskip(NEXT) | instid1(VALU_DEP_3)
	v_dual_fmac_f32 v24, v33, v41 :: v_dual_fmac_f32 v23, v30, v42
	v_fmac_f32_e32 v22, v38, v42
	s_delay_alu instid0(VALU_DEP_3) | instskip(NEXT) | instid1(VALU_DEP_3)
	v_fmac_f32_e32 v21, v26, v42
	v_dual_fmac_f32 v24, v34, v42 :: v_dual_fmac_f32 v23, v31, v43
	s_delay_alu instid0(VALU_DEP_3) | instskip(NEXT) | instid1(VALU_DEP_3)
	v_fmac_f32_e32 v22, v39, v43
	v_fmac_f32_e32 v21, v27, v43
	s_delay_alu instid0(VALU_DEP_3) | instskip(NEXT) | instid1(VALU_DEP_3)
	v_dual_fmac_f32 v24, v35, v43 :: v_dual_fmac_f32 v23, v32, v44
	v_fmac_f32_e32 v22, v40, v44
	s_delay_alu instid0(VALU_DEP_3) | instskip(NEXT) | instid1(VALU_DEP_3)
	v_fmac_f32_e32 v21, v28, v44
	v_fmac_f32_e32 v24, v36, v44
	s_and_not1_b32 exec_lo, exec_lo, s10
	s_cbranch_execnz .LBB43_19
; %bb.20:
	s_or_b32 exec_lo, exec_lo, s10
.LBB43_21:
	s_delay_alu instid0(SALU_CYCLE_1) | instskip(NEXT) | instid1(SALU_CYCLE_1)
	s_or_b32 exec_lo, exec_lo, s3
	s_mov_b32 s10, exec_lo
	v_cmpx_lt_u64_e32 0x5f, v[15:16]
	s_cbranch_execz .LBB43_25
; %bb.22:
	v_lshlrev_b64 v[15:16], 3, v[11:12]
	s_mov_b32 s11, 0
	s_delay_alu instid0(VALU_DEP_1) | instskip(NEXT) | instid1(VALU_DEP_2)
	v_add_co_u32 v15, vcc_lo, v15, s8
	v_add_co_ci_u32_e32 v16, vcc_lo, s9, v16, vcc_lo
	s_delay_alu instid0(VALU_DEP_2) | instskip(NEXT) | instid1(VALU_DEP_2)
	v_add_co_u32 v15, vcc_lo, 0x200, v15
	v_add_co_ci_u32_e32 v16, vcc_lo, 0, v16, vcc_lo
.LBB43_23:                              ; =>This Inner Loop Header: Depth=1
	s_clause 0x3
	global_load_b64 v[85:86], v[15:16], off offset:-512
	global_load_b64 v[87:88], v[15:16], off offset:-256
	global_load_b64 v[89:90], v[15:16], off
	global_load_b64 v[96:97], v[15:16], off offset:256
	s_clause 0x3
	global_load_b128 v[17:20], v[13:14], off offset:48
	global_load_b128 v[25:28], v[13:14], off offset:32
	;; [unrolled: 1-line block ×3, first 2 shown]
	global_load_b128 v[33:36], v[13:14], off
	v_add_co_u32 v81, vcc_lo, 0x1000, v13
	v_add_co_ci_u32_e32 v82, vcc_lo, 0, v14, vcc_lo
	s_clause 0xb
	global_load_b128 v[37:40], v[13:14], off offset:2096
	global_load_b128 v[41:44], v[13:14], off offset:2080
	;; [unrolled: 1-line block ×6, first 2 shown]
	global_load_b128 v[61:64], v[81:82], off
	global_load_b128 v[65:68], v[81:82], off offset:16
	global_load_b128 v[69:72], v[81:82], off offset:2096
	;; [unrolled: 1-line block ×5, first 2 shown]
	s_waitcnt vmcnt(19)
	v_sub_co_u32 v85, vcc_lo, v85, s20
	v_subrev_co_ci_u32_e32 v86, vcc_lo, s15, v86, vcc_lo
	s_waitcnt vmcnt(18)
	v_sub_co_u32 v91, vcc_lo, v87, s20
	v_subrev_co_ci_u32_e32 v92, vcc_lo, s15, v88, vcc_lo
	s_delay_alu instid0(VALU_DEP_3)
	v_lshlrev_b64 v[85:86], 4, v[85:86]
	s_waitcnt vmcnt(17)
	v_sub_co_u32 v93, vcc_lo, v89, s20
	v_subrev_co_ci_u32_e32 v94, vcc_lo, s15, v90, vcc_lo
	v_lshlrev_b64 v[89:90], 4, v[91:92]
	s_waitcnt lgkmcnt(0)
	v_add_co_u32 v85, s3, s4, v85
	s_delay_alu instid0(VALU_DEP_1) | instskip(SKIP_1) | instid1(VALU_DEP_4)
	v_add_co_ci_u32_e64 v86, s3, s5, v86, s3
	v_lshlrev_b64 v[93:94], 4, v[93:94]
	v_add_co_u32 v89, vcc_lo, s4, v89
	global_load_b128 v[85:88], v[85:86], off
	v_add_co_ci_u32_e32 v90, vcc_lo, s5, v90, vcc_lo
	v_add_co_u32 v93, s3, s4, v93
	s_delay_alu instid0(VALU_DEP_1)
	v_add_co_ci_u32_e64 v94, s3, s5, v94, s3
	global_load_b128 v[89:92], v[89:90], off
	s_waitcnt vmcnt(18)
	v_sub_co_u32 v98, vcc_lo, v96, s20
	global_load_b128 v[93:96], v[93:94], off
	v_subrev_co_ci_u32_e32 v99, vcc_lo, s15, v97, vcc_lo
	s_delay_alu instid0(VALU_DEP_1) | instskip(NEXT) | instid1(VALU_DEP_1)
	v_lshlrev_b64 v[97:98], 4, v[98:99]
	v_add_co_u32 v97, vcc_lo, s4, v97
	s_delay_alu instid0(VALU_DEP_2)
	v_add_co_ci_u32_e32 v98, vcc_lo, s5, v98, vcc_lo
	v_add_co_u32 v11, vcc_lo, 0x80, v11
	v_add_co_ci_u32_e32 v12, vcc_lo, 0, v12, vcc_lo
	global_load_b128 v[97:100], v[97:98], off
	v_add_co_u32 v15, vcc_lo, 0x400, v15
	v_add_co_ci_u32_e32 v16, vcc_lo, 0, v16, vcc_lo
	v_add_co_u32 v13, vcc_lo, 0x2000, v13
	v_add_co_ci_u32_e32 v14, vcc_lo, 0, v14, vcc_lo
	v_cmp_ge_i64_e32 vcc_lo, v[11:12], v[5:6]
	s_or_b32 s11, vcc_lo, s11
	s_waitcnt vmcnt(3)
	v_fmac_f32_e32 v23, v25, v85
	v_fmac_f32_e32 v22, v33, v85
	;; [unrolled: 1-line block ×3, first 2 shown]
	s_delay_alu instid0(VALU_DEP_3) | instskip(NEXT) | instid1(VALU_DEP_3)
	v_dual_fmac_f32 v24, v29, v85 :: v_dual_fmac_f32 v23, v26, v86
	v_fmac_f32_e32 v22, v34, v86
	s_delay_alu instid0(VALU_DEP_3) | instskip(NEXT) | instid1(VALU_DEP_3)
	v_fmac_f32_e32 v21, v18, v86
	v_dual_fmac_f32 v24, v30, v86 :: v_dual_fmac_f32 v23, v27, v87
	s_delay_alu instid0(VALU_DEP_3) | instskip(NEXT) | instid1(VALU_DEP_3)
	v_fmac_f32_e32 v22, v35, v87
	v_fmac_f32_e32 v21, v19, v87
	s_delay_alu instid0(VALU_DEP_3) | instskip(NEXT) | instid1(VALU_DEP_3)
	v_dual_fmac_f32 v24, v31, v87 :: v_dual_fmac_f32 v23, v28, v88
	v_fmac_f32_e32 v22, v36, v88
	s_delay_alu instid0(VALU_DEP_3) | instskip(SKIP_1) | instid1(VALU_DEP_3)
	v_fmac_f32_e32 v21, v20, v88
	s_waitcnt vmcnt(2)
	v_dual_fmac_f32 v24, v32, v88 :: v_dual_fmac_f32 v23, v41, v89
	s_delay_alu instid0(VALU_DEP_3) | instskip(NEXT) | instid1(VALU_DEP_3)
	v_fmac_f32_e32 v22, v49, v89
	v_fmac_f32_e32 v21, v37, v89
	s_delay_alu instid0(VALU_DEP_3) | instskip(NEXT) | instid1(VALU_DEP_3)
	v_dual_fmac_f32 v24, v45, v89 :: v_dual_fmac_f32 v23, v42, v90
	v_fmac_f32_e32 v22, v50, v90
	s_delay_alu instid0(VALU_DEP_3) | instskip(NEXT) | instid1(VALU_DEP_3)
	v_fmac_f32_e32 v21, v38, v90
	v_dual_fmac_f32 v24, v46, v90 :: v_dual_fmac_f32 v23, v43, v91
	s_delay_alu instid0(VALU_DEP_3) | instskip(NEXT) | instid1(VALU_DEP_3)
	v_fmac_f32_e32 v22, v51, v91
	v_fmac_f32_e32 v21, v39, v91
	s_delay_alu instid0(VALU_DEP_3) | instskip(NEXT) | instid1(VALU_DEP_3)
	v_dual_fmac_f32 v24, v47, v91 :: v_dual_fmac_f32 v23, v44, v92
	v_fmac_f32_e32 v22, v52, v92
	s_delay_alu instid0(VALU_DEP_3) | instskip(SKIP_1) | instid1(VALU_DEP_3)
	v_fmac_f32_e32 v21, v40, v92
	s_waitcnt vmcnt(1)
	v_dual_fmac_f32 v24, v48, v92 :: v_dual_fmac_f32 v23, v57, v93
	s_delay_alu instid0(VALU_DEP_3) | instskip(NEXT) | instid1(VALU_DEP_3)
	v_fmac_f32_e32 v22, v61, v93
	v_fmac_f32_e32 v21, v53, v93
	;; [unrolled: 19-line block ×3, first 2 shown]
	s_delay_alu instid0(VALU_DEP_3) | instskip(NEXT) | instid1(VALU_DEP_3)
	v_dual_fmac_f32 v24, v77, v97 :: v_dual_fmac_f32 v23, v74, v98
	v_fmac_f32_e32 v22, v82, v98
	s_delay_alu instid0(VALU_DEP_3) | instskip(NEXT) | instid1(VALU_DEP_3)
	v_fmac_f32_e32 v21, v70, v98
	v_dual_fmac_f32 v24, v78, v98 :: v_dual_fmac_f32 v23, v75, v99
	s_delay_alu instid0(VALU_DEP_3) | instskip(NEXT) | instid1(VALU_DEP_3)
	v_fmac_f32_e32 v22, v83, v99
	v_fmac_f32_e32 v21, v71, v99
	s_delay_alu instid0(VALU_DEP_3) | instskip(NEXT) | instid1(VALU_DEP_3)
	v_dual_fmac_f32 v24, v79, v99 :: v_dual_fmac_f32 v23, v76, v100
	v_fmac_f32_e32 v22, v84, v100
	s_delay_alu instid0(VALU_DEP_3) | instskip(NEXT) | instid1(VALU_DEP_3)
	v_fmac_f32_e32 v21, v72, v100
	v_fmac_f32_e32 v24, v80, v100
	s_and_not1_b32 exec_lo, exec_lo, s11
	s_cbranch_execnz .LBB43_23
; %bb.24:
	s_or_b32 exec_lo, exec_lo, s11
.LBB43_25:
	s_delay_alu instid0(SALU_CYCLE_1)
	s_or_b32 exec_lo, exec_lo, s10
.LBB43_26:
	s_delay_alu instid0(SALU_CYCLE_1) | instskip(NEXT) | instid1(SALU_CYCLE_1)
	s_or_b32 exec_lo, exec_lo, s7
	s_and_not1_b32 vcc_lo, exec_lo, s6
	s_cbranch_vccz .LBB43_28
	s_branch .LBB43_39
.LBB43_27:
                                        ; implicit-def: $vgpr21
                                        ; implicit-def: $vgpr23
                                        ; implicit-def: $vgpr24
                                        ; implicit-def: $vgpr22
.LBB43_28:
	v_dual_mov_b32 v21, 0 :: v_dual_mov_b32 v24, 0
	v_dual_mov_b32 v23, 0 :: v_dual_mov_b32 v22, 0
	s_delay_alu instid0(VALU_DEP_4)
	s_and_saveexec_b32 s3, s2
	s_cbranch_execz .LBB43_38
; %bb.29:
	v_or_b32_e32 v11, 32, v2
	v_mov_b32_e32 v23, 0
	v_dual_mov_b32 v21, 0 :: v_dual_mov_b32 v22, 0
	v_mov_b32_e32 v24, 0
	s_delay_alu instid0(VALU_DEP_4) | instskip(NEXT) | instid1(VALU_DEP_1)
	v_sub_co_u32 v11, s2, v11, s20
	v_sub_co_ci_u32_e64 v12, null, 0, s15, s2
	v_sub_co_u32 v13, s2, s20, v2
	s_delay_alu instid0(VALU_DEP_3) | instskip(NEXT) | instid1(VALU_DEP_3)
	v_add_co_u32 v11, vcc_lo, v11, v9
	v_add_co_ci_u32_e32 v12, vcc_lo, v12, v10, vcc_lo
	v_not_b32_e32 v9, v9
	v_not_b32_e32 v10, v10
	v_sub_co_ci_u32_e64 v14, null, s15, 0, s2
	s_delay_alu instid0(VALU_DEP_4) | instskip(SKIP_4) | instid1(VALU_DEP_2)
	v_cmp_gt_i64_e32 vcc_lo, v[11:12], v[5:6]
	s_mov_b32 s2, exec_lo
	v_dual_cndmask_b32 v12, v6, v12 :: v_dual_cndmask_b32 v11, v5, v11
	v_add_co_u32 v9, vcc_lo, v13, v9
	v_add_co_ci_u32_e32 v10, vcc_lo, v14, v10, vcc_lo
	v_add_co_u32 v9, vcc_lo, v9, v11
	s_delay_alu instid0(VALU_DEP_2) | instskip(NEXT) | instid1(VALU_DEP_2)
	v_add_co_ci_u32_e32 v10, vcc_lo, v10, v12, vcc_lo
	v_lshrrev_b32_e32 v11, 5, v9
	s_delay_alu instid0(VALU_DEP_1) | instskip(NEXT) | instid1(VALU_DEP_1)
	v_add_nc_u32_e32 v11, 1, v11
	v_and_b32_e32 v11, 3, v11
	s_delay_alu instid0(VALU_DEP_1)
	v_cmpx_ne_u32_e32 0, v11
	s_cbranch_execz .LBB43_33
; %bb.30:
	v_lshlrev_b64 v[13:14], 3, v[0:1]
	v_dual_mov_b32 v12, 0 :: v_dual_lshlrev_b32 v11, 3, v11
	s_mov_b32 s6, 0
	s_delay_alu instid0(VALU_DEP_1) | instskip(NEXT) | instid1(VALU_DEP_3)
	v_mov_b32_e32 v21, v12
	v_add_co_u32 v13, vcc_lo, s8, v13
	s_delay_alu instid0(VALU_DEP_4)
	v_add_co_ci_u32_e32 v14, vcc_lo, s9, v14, vcc_lo
	v_mov_b32_e32 v23, v12
	v_mov_b32_e32 v24, v12
	;; [unrolled: 1-line block ×3, first 2 shown]
.LBB43_31:                              ; =>This Inner Loop Header: Depth=1
	global_load_b64 v[19:20], v[13:14], off
	s_clause 0x1
	global_load_b128 v[15:18], v[7:8], off offset:16
	global_load_b128 v[25:28], v[7:8], off
	s_waitcnt vmcnt(2)
	v_sub_co_u32 v19, vcc_lo, v19, s20
	v_subrev_co_ci_u32_e32 v20, vcc_lo, s15, v20, vcc_lo
	s_delay_alu instid0(VALU_DEP_1) | instskip(SKIP_1) | instid1(VALU_DEP_1)
	v_lshlrev_b64 v[19:20], 4, v[19:20]
	s_waitcnt lgkmcnt(0)
	v_add_co_u32 v19, vcc_lo, s4, v19
	s_delay_alu instid0(VALU_DEP_2)
	v_add_co_ci_u32_e32 v20, vcc_lo, s5, v20, vcc_lo
	global_load_b128 v[29:32], v[19:20], off
	s_clause 0x1
	global_load_b128 v[33:36], v[7:8], off offset:32
	global_load_b128 v[37:40], v[7:8], off offset:48
	v_add_co_u32 v7, vcc_lo, 0x800, v7
	v_add_co_ci_u32_e32 v8, vcc_lo, 0, v8, vcc_lo
	v_add_co_u32 v0, vcc_lo, v0, 32
	v_add_co_ci_u32_e32 v1, vcc_lo, 0, v1, vcc_lo
	;; [unrolled: 2-line block ×3, first 2 shown]
	v_add_co_u32 v11, vcc_lo, v11, -8
	v_add_co_ci_u32_e32 v12, vcc_lo, -1, v12, vcc_lo
	s_delay_alu instid0(VALU_DEP_1)
	v_cmp_eq_u64_e32 vcc_lo, 0, v[11:12]
	s_or_b32 s6, vcc_lo, s6
	s_waitcnt vmcnt(2)
	v_fmac_f32_e32 v23, v27, v29
	v_fmac_f32_e32 v24, v26, v29
	v_fmac_f32_e32 v21, v28, v29
	v_fmac_f32_e32 v22, v25, v29
	s_delay_alu instid0(VALU_DEP_4) | instskip(NEXT) | instid1(VALU_DEP_4)
	v_fmac_f32_e32 v23, v17, v30
	v_fmac_f32_e32 v24, v16, v30
	s_delay_alu instid0(VALU_DEP_4) | instskip(NEXT) | instid1(VALU_DEP_4)
	v_fmac_f32_e32 v21, v18, v30
	v_fmac_f32_e32 v22, v15, v30
	s_waitcnt vmcnt(1)
	v_fmac_f32_e32 v23, v35, v31
	s_delay_alu instid0(VALU_DEP_3) | instskip(NEXT) | instid1(VALU_DEP_3)
	v_fmac_f32_e32 v21, v36, v31
	v_fmac_f32_e32 v22, v33, v31
	s_waitcnt vmcnt(0)
	s_delay_alu instid0(VALU_DEP_3) | instskip(NEXT) | instid1(VALU_DEP_3)
	v_dual_fmac_f32 v24, v34, v31 :: v_dual_fmac_f32 v23, v39, v32
	v_fmac_f32_e32 v21, v40, v32
	s_delay_alu instid0(VALU_DEP_3) | instskip(NEXT) | instid1(VALU_DEP_3)
	v_fmac_f32_e32 v22, v37, v32
	v_fmac_f32_e32 v24, v38, v32
	s_and_not1_b32 exec_lo, exec_lo, s6
	s_cbranch_execnz .LBB43_31
; %bb.32:
	s_or_b32 exec_lo, exec_lo, s6
.LBB43_33:
	s_delay_alu instid0(SALU_CYCLE_1) | instskip(NEXT) | instid1(SALU_CYCLE_1)
	s_or_b32 exec_lo, exec_lo, s2
	s_mov_b32 s6, exec_lo
	v_cmpx_lt_u64_e32 0x5f, v[9:10]
	s_cbranch_execz .LBB43_37
; %bb.34:
	v_lshlrev_b64 v[9:10], 3, v[0:1]
	s_mov_b32 s7, 0
	s_delay_alu instid0(VALU_DEP_1) | instskip(NEXT) | instid1(VALU_DEP_2)
	v_add_co_u32 v9, vcc_lo, v9, s8
	v_add_co_ci_u32_e32 v10, vcc_lo, s9, v10, vcc_lo
	s_delay_alu instid0(VALU_DEP_2) | instskip(NEXT) | instid1(VALU_DEP_2)
	v_add_co_u32 v9, vcc_lo, 0x200, v9
	v_add_co_ci_u32_e32 v10, vcc_lo, 0, v10, vcc_lo
.LBB43_35:                              ; =>This Inner Loop Header: Depth=1
	s_clause 0x3
	global_load_b64 v[19:20], v[9:10], off offset:-512
	global_load_b64 v[73:74], v[9:10], off offset:-256
	global_load_b64 v[76:77], v[9:10], off
	global_load_b64 v[84:85], v[9:10], off offset:256
	s_clause 0x3
	global_load_b128 v[11:14], v[7:8], off offset:48
	global_load_b128 v[15:18], v[7:8], off offset:32
	;; [unrolled: 1-line block ×3, first 2 shown]
	global_load_b128 v[29:32], v[7:8], off
	v_add_co_u32 v93, vcc_lo, 0x1000, v7
	v_add_co_ci_u32_e32 v94, vcc_lo, 0, v8, vcc_lo
	s_clause 0x9
	global_load_b128 v[33:36], v[7:8], off offset:2096
	global_load_b128 v[37:40], v[7:8], off offset:2080
	;; [unrolled: 1-line block ×6, first 2 shown]
	global_load_b128 v[57:60], v[93:94], off
	global_load_b128 v[61:64], v[93:94], off offset:16
	global_load_b128 v[65:68], v[93:94], off offset:2064
	;; [unrolled: 1-line block ×3, first 2 shown]
	s_waitcnt vmcnt(17)
	v_sub_co_u32 v19, vcc_lo, v19, s20
	v_subrev_co_ci_u32_e32 v20, vcc_lo, s15, v20, vcc_lo
	s_waitcnt vmcnt(16)
	v_sub_co_u32 v78, vcc_lo, v73, s20
	v_subrev_co_ci_u32_e32 v79, vcc_lo, s15, v74, vcc_lo
	s_delay_alu instid0(VALU_DEP_3) | instskip(SKIP_4) | instid1(VALU_DEP_3)
	v_lshlrev_b64 v[19:20], 4, v[19:20]
	s_waitcnt vmcnt(15)
	v_sub_co_u32 v81, vcc_lo, v76, s20
	v_subrev_co_ci_u32_e32 v82, vcc_lo, s15, v77, vcc_lo
	s_waitcnt lgkmcnt(0)
	v_add_co_u32 v19, s2, s4, v19
	s_delay_alu instid0(VALU_DEP_1) | instskip(NEXT) | instid1(VALU_DEP_3)
	v_add_co_ci_u32_e64 v20, s2, s5, v20, s2
	v_lshlrev_b64 v[81:82], 4, v[81:82]
	global_load_b128 v[73:76], v[19:20], off
	v_lshlrev_b64 v[19:20], 4, v[78:79]
	v_add_co_u32 v81, s2, s4, v81
	s_delay_alu instid0(VALU_DEP_1) | instskip(NEXT) | instid1(VALU_DEP_3)
	v_add_co_ci_u32_e64 v82, s2, s5, v82, s2
	v_add_co_u32 v19, vcc_lo, s4, v19
	s_delay_alu instid0(VALU_DEP_4)
	v_add_co_ci_u32_e32 v20, vcc_lo, s5, v20, vcc_lo
	global_load_b128 v[77:80], v[19:20], off
	s_waitcnt vmcnt(16)
	v_sub_co_u32 v19, vcc_lo, v84, s20
	global_load_b128 v[81:84], v[81:82], off
	v_subrev_co_ci_u32_e32 v20, vcc_lo, s15, v85, vcc_lo
	s_delay_alu instid0(VALU_DEP_1) | instskip(NEXT) | instid1(VALU_DEP_1)
	v_lshlrev_b64 v[19:20], 4, v[19:20]
	v_add_co_u32 v19, vcc_lo, s4, v19
	s_delay_alu instid0(VALU_DEP_2)
	v_add_co_ci_u32_e32 v20, vcc_lo, s5, v20, vcc_lo
	global_load_b128 v[85:88], v[19:20], off
	s_clause 0x1
	global_load_b128 v[89:92], v[93:94], off offset:2080
	global_load_b128 v[93:96], v[93:94], off offset:2096
	v_add_co_u32 v0, vcc_lo, 0x80, v0
	v_add_co_ci_u32_e32 v1, vcc_lo, 0, v1, vcc_lo
	v_add_co_u32 v9, vcc_lo, 0x400, v9
	v_add_co_ci_u32_e32 v10, vcc_lo, 0, v10, vcc_lo
	;; [unrolled: 2-line block ×3, first 2 shown]
	v_cmp_ge_i64_e32 vcc_lo, v[0:1], v[5:6]
	s_or_b32 s7, vcc_lo, s7
	s_waitcnt vmcnt(5)
	v_fmac_f32_e32 v23, v31, v73
	v_fmac_f32_e32 v22, v29, v73
	;; [unrolled: 1-line block ×3, first 2 shown]
	s_delay_alu instid0(VALU_DEP_3) | instskip(NEXT) | instid1(VALU_DEP_3)
	v_dual_fmac_f32 v24, v30, v73 :: v_dual_fmac_f32 v23, v27, v74
	v_fmac_f32_e32 v22, v25, v74
	s_delay_alu instid0(VALU_DEP_3) | instskip(NEXT) | instid1(VALU_DEP_3)
	v_fmac_f32_e32 v21, v28, v74
	v_dual_fmac_f32 v24, v26, v74 :: v_dual_fmac_f32 v23, v17, v75
	s_delay_alu instid0(VALU_DEP_3) | instskip(NEXT) | instid1(VALU_DEP_3)
	v_fmac_f32_e32 v22, v15, v75
	v_fmac_f32_e32 v21, v18, v75
	s_delay_alu instid0(VALU_DEP_3) | instskip(NEXT) | instid1(VALU_DEP_3)
	v_dual_fmac_f32 v24, v16, v75 :: v_dual_fmac_f32 v23, v13, v76
	v_fmac_f32_e32 v22, v11, v76
	s_delay_alu instid0(VALU_DEP_3) | instskip(SKIP_1) | instid1(VALU_DEP_3)
	v_fmac_f32_e32 v21, v14, v76
	s_waitcnt vmcnt(4)
	v_dual_fmac_f32 v24, v12, v76 :: v_dual_fmac_f32 v23, v47, v77
	s_delay_alu instid0(VALU_DEP_3) | instskip(NEXT) | instid1(VALU_DEP_3)
	v_fmac_f32_e32 v22, v45, v77
	v_fmac_f32_e32 v21, v48, v77
	s_delay_alu instid0(VALU_DEP_3) | instskip(NEXT) | instid1(VALU_DEP_3)
	v_dual_fmac_f32 v24, v46, v77 :: v_dual_fmac_f32 v23, v43, v78
	v_fmac_f32_e32 v22, v41, v78
	s_delay_alu instid0(VALU_DEP_3) | instskip(NEXT) | instid1(VALU_DEP_3)
	v_fmac_f32_e32 v21, v44, v78
	v_dual_fmac_f32 v24, v42, v78 :: v_dual_fmac_f32 v23, v39, v79
	s_delay_alu instid0(VALU_DEP_3) | instskip(NEXT) | instid1(VALU_DEP_3)
	v_fmac_f32_e32 v22, v37, v79
	v_fmac_f32_e32 v21, v40, v79
	s_delay_alu instid0(VALU_DEP_3) | instskip(NEXT) | instid1(VALU_DEP_3)
	v_dual_fmac_f32 v24, v38, v79 :: v_dual_fmac_f32 v23, v35, v80
	v_fmac_f32_e32 v22, v33, v80
	s_delay_alu instid0(VALU_DEP_3) | instskip(SKIP_1) | instid1(VALU_DEP_3)
	v_fmac_f32_e32 v21, v36, v80
	s_waitcnt vmcnt(3)
	v_dual_fmac_f32 v24, v34, v80 :: v_dual_fmac_f32 v23, v59, v81
	s_delay_alu instid0(VALU_DEP_3) | instskip(NEXT) | instid1(VALU_DEP_3)
	v_fmac_f32_e32 v22, v57, v81
	v_fmac_f32_e32 v21, v60, v81
	;; [unrolled: 19-line block ×3, first 2 shown]
	s_delay_alu instid0(VALU_DEP_3) | instskip(NEXT) | instid1(VALU_DEP_3)
	v_dual_fmac_f32 v24, v70, v85 :: v_dual_fmac_f32 v23, v67, v86
	v_fmac_f32_e32 v22, v65, v86
	s_delay_alu instid0(VALU_DEP_3) | instskip(SKIP_1) | instid1(VALU_DEP_3)
	v_fmac_f32_e32 v21, v68, v86
	s_waitcnt vmcnt(1)
	v_dual_fmac_f32 v24, v66, v86 :: v_dual_fmac_f32 v23, v91, v87
	s_delay_alu instid0(VALU_DEP_3) | instskip(NEXT) | instid1(VALU_DEP_3)
	v_fmac_f32_e32 v22, v89, v87
	v_fmac_f32_e32 v21, v92, v87
	s_waitcnt vmcnt(0)
	s_delay_alu instid0(VALU_DEP_3) | instskip(NEXT) | instid1(VALU_DEP_3)
	v_dual_fmac_f32 v24, v90, v87 :: v_dual_fmac_f32 v23, v95, v88
	v_fmac_f32_e32 v22, v93, v88
	s_delay_alu instid0(VALU_DEP_3) | instskip(NEXT) | instid1(VALU_DEP_3)
	v_fmac_f32_e32 v21, v96, v88
	v_fmac_f32_e32 v24, v94, v88
	s_and_not1_b32 exec_lo, exec_lo, s7
	s_cbranch_execnz .LBB43_35
; %bb.36:
	s_or_b32 exec_lo, exec_lo, s7
.LBB43_37:
	s_delay_alu instid0(SALU_CYCLE_1)
	s_or_b32 exec_lo, exec_lo, s6
.LBB43_38:
	s_delay_alu instid0(SALU_CYCLE_1)
	s_or_b32 exec_lo, exec_lo, s3
.LBB43_39:
	v_mbcnt_lo_u32_b32 v0, -1, 0
	s_mov_b32 s2, -1
	s_delay_alu instid0(VALU_DEP_1) | instskip(SKIP_2) | instid1(VALU_DEP_3)
	v_xor_b32_e32 v1, 16, v0
	v_xor_b32_e32 v8, 8, v0
	;; [unrolled: 1-line block ×3, first 2 shown]
	v_cmp_gt_i32_e32 vcc_lo, 32, v1
	v_cndmask_b32_e32 v1, v0, v1, vcc_lo
	s_delay_alu instid0(VALU_DEP_4) | instskip(SKIP_2) | instid1(VALU_DEP_2)
	v_cmp_gt_i32_e32 vcc_lo, 32, v8
	v_cndmask_b32_e32 v8, v0, v8, vcc_lo
	v_cmp_gt_i32_e32 vcc_lo, 32, v12
	v_lshlrev_b32_e32 v8, 2, v8
	v_dual_cndmask_b32 v12, v0, v12 :: v_dual_lshlrev_b32 v1, 2, v1
	ds_bpermute_b32 v6, v1, v24
	v_lshlrev_b32_e32 v12, 2, v12
	s_waitcnt lgkmcnt(0)
	v_add_f32_e32 v6, v24, v6
	ds_bpermute_b32 v5, v1, v22
	ds_bpermute_b32 v7, v1, v23
	;; [unrolled: 1-line block ×4, first 2 shown]
	s_waitcnt lgkmcnt(3)
	v_add_f32_e32 v5, v22, v5
	s_waitcnt lgkmcnt(2)
	v_add_f32_e32 v7, v23, v7
	s_waitcnt lgkmcnt(0)
	v_dual_add_f32 v1, v21, v1 :: v_dual_add_f32 v6, v6, v10
	ds_bpermute_b32 v9, v8, v5
	ds_bpermute_b32 v11, v8, v7
	ds_bpermute_b32 v8, v8, v1
	s_waitcnt lgkmcnt(2)
	v_add_f32_e32 v5, v5, v9
	s_waitcnt lgkmcnt(1)
	v_add_f32_e32 v7, v7, v11
	ds_bpermute_b32 v9, v12, v6
	s_waitcnt lgkmcnt(1)
	v_add_f32_e32 v1, v1, v8
	ds_bpermute_b32 v8, v12, v5
	ds_bpermute_b32 v10, v12, v7
	s_waitcnt lgkmcnt(2)
	v_add_f32_e32 v6, v6, v9
	ds_bpermute_b32 v11, v12, v1
	v_xor_b32_e32 v12, 2, v0
	s_waitcnt lgkmcnt(2)
	v_add_f32_e32 v5, v5, v8
	s_delay_alu instid0(VALU_DEP_2) | instskip(SKIP_2) | instid1(VALU_DEP_1)
	v_cmp_gt_i32_e32 vcc_lo, 32, v12
	s_waitcnt lgkmcnt(1)
	v_dual_cndmask_b32 v12, v0, v12 :: v_dual_add_f32 v7, v7, v10
	v_lshlrev_b32_e32 v12, 2, v12
	ds_bpermute_b32 v9, v12, v6
	s_waitcnt lgkmcnt(1)
	v_add_f32_e32 v8, v1, v11
	ds_bpermute_b32 v1, v12, v5
	ds_bpermute_b32 v10, v12, v7
	;; [unrolled: 1-line block ×3, first 2 shown]
	v_xor_b32_e32 v12, 1, v0
	s_delay_alu instid0(VALU_DEP_1) | instskip(SKIP_2) | instid1(VALU_DEP_2)
	v_cmp_gt_i32_e32 vcc_lo, 32, v12
	v_cndmask_b32_e32 v0, v0, v12, vcc_lo
	v_cmp_eq_u32_e32 vcc_lo, 31, v2
	v_lshlrev_b32_e32 v12, 2, v0
	s_waitcnt lgkmcnt(1)
	v_dual_add_f32 v0, v5, v1 :: v_dual_add_f32 v5, v7, v10
	s_waitcnt lgkmcnt(0)
	v_dual_add_f32 v1, v6, v9 :: v_dual_add_f32 v6, v8, v11
	ds_bpermute_b32 v7, v12, v0
	ds_bpermute_b32 v9, v12, v5
	;; [unrolled: 1-line block ×4, first 2 shown]
	s_and_b32 exec_lo, exec_lo, vcc_lo
	s_cbranch_execz .LBB43_10
; %bb.40:
	s_load_b64 s[0:1], s[0:1], 0x58
	s_waitcnt lgkmcnt(0)
	v_dual_add_f32 v0, v0, v7 :: v_dual_add_f32 v1, v1, v8
	v_add_f32_e32 v6, v6, v10
	v_cmp_eq_f32_e64 s3, s12, 0
	s_delay_alu instid0(VALU_DEP_3) | instskip(SKIP_4) | instid1(VALU_DEP_3)
	v_dual_mul_f32 v0, s16, v0 :: v_dual_mul_f32 v1, s16, v1
	v_add_f32_e32 v2, v5, v9
	v_lshlrev_b64 v[4:5], 4, v[3:4]
	v_mul_f32_e32 v3, s16, v6
	s_and_b32 vcc_lo, exec_lo, s3
	v_mul_f32_e32 v2, s16, v2
	s_cbranch_vccz .LBB43_42
; %bb.41:
	s_delay_alu instid0(VALU_DEP_3)
	v_add_co_u32 v6, vcc_lo, s0, v4
	v_add_co_ci_u32_e32 v7, vcc_lo, s1, v5, vcc_lo
	s_mov_b32 s2, 0
	global_store_b128 v[6:7], v[0:3], off
.LBB43_42:
	s_and_not1_b32 vcc_lo, exec_lo, s2
	s_cbranch_vccnz .LBB43_10
; %bb.43:
	v_add_co_u32 v8, vcc_lo, s0, v4
	v_add_co_ci_u32_e32 v9, vcc_lo, s1, v5, vcc_lo
	global_load_b128 v[4:7], v[8:9], off
	s_waitcnt vmcnt(0)
	v_dual_fmac_f32 v0, s12, v4 :: v_dual_fmac_f32 v1, s12, v5
	v_dual_fmac_f32 v2, s12, v6 :: v_dual_fmac_f32 v3, s12, v7
	global_store_b128 v[8:9], v[0:3], off
	s_nop 0
	s_sendmsg sendmsg(MSG_DEALLOC_VGPRS)
	s_endpgm
	.section	.rodata,"a",@progbits
	.p2align	6, 0x0
	.amdhsa_kernel _ZN9rocsparseL18bsrxmvn_4x4_kernelILj128ELj32EfllfffEEvT3_20rocsparse_direction_NS_24const_host_device_scalarIT1_EES1_PKS1_PKT2_SA_S7_PKT4_PKT5_S5_PT6_21rocsparse_index_base_b
		.amdhsa_group_segment_fixed_size 0
		.amdhsa_private_segment_fixed_size 0
		.amdhsa_kernarg_size 104
		.amdhsa_user_sgpr_count 15
		.amdhsa_user_sgpr_dispatch_ptr 0
		.amdhsa_user_sgpr_queue_ptr 0
		.amdhsa_user_sgpr_kernarg_segment_ptr 1
		.amdhsa_user_sgpr_dispatch_id 0
		.amdhsa_user_sgpr_private_segment_size 0
		.amdhsa_wavefront_size32 1
		.amdhsa_uses_dynamic_stack 0
		.amdhsa_enable_private_segment 0
		.amdhsa_system_sgpr_workgroup_id_x 1
		.amdhsa_system_sgpr_workgroup_id_y 0
		.amdhsa_system_sgpr_workgroup_id_z 0
		.amdhsa_system_sgpr_workgroup_info 0
		.amdhsa_system_vgpr_workitem_id 0
		.amdhsa_next_free_vgpr 101
		.amdhsa_next_free_sgpr 22
		.amdhsa_reserve_vcc 1
		.amdhsa_float_round_mode_32 0
		.amdhsa_float_round_mode_16_64 0
		.amdhsa_float_denorm_mode_32 3
		.amdhsa_float_denorm_mode_16_64 3
		.amdhsa_dx10_clamp 1
		.amdhsa_ieee_mode 1
		.amdhsa_fp16_overflow 0
		.amdhsa_workgroup_processor_mode 1
		.amdhsa_memory_ordered 1
		.amdhsa_forward_progress 0
		.amdhsa_shared_vgpr_count 0
		.amdhsa_exception_fp_ieee_invalid_op 0
		.amdhsa_exception_fp_denorm_src 0
		.amdhsa_exception_fp_ieee_div_zero 0
		.amdhsa_exception_fp_ieee_overflow 0
		.amdhsa_exception_fp_ieee_underflow 0
		.amdhsa_exception_fp_ieee_inexact 0
		.amdhsa_exception_int_div_zero 0
	.end_amdhsa_kernel
	.section	.text._ZN9rocsparseL18bsrxmvn_4x4_kernelILj128ELj32EfllfffEEvT3_20rocsparse_direction_NS_24const_host_device_scalarIT1_EES1_PKS1_PKT2_SA_S7_PKT4_PKT5_S5_PT6_21rocsparse_index_base_b,"axG",@progbits,_ZN9rocsparseL18bsrxmvn_4x4_kernelILj128ELj32EfllfffEEvT3_20rocsparse_direction_NS_24const_host_device_scalarIT1_EES1_PKS1_PKT2_SA_S7_PKT4_PKT5_S5_PT6_21rocsparse_index_base_b,comdat
.Lfunc_end43:
	.size	_ZN9rocsparseL18bsrxmvn_4x4_kernelILj128ELj32EfllfffEEvT3_20rocsparse_direction_NS_24const_host_device_scalarIT1_EES1_PKS1_PKT2_SA_S7_PKT4_PKT5_S5_PT6_21rocsparse_index_base_b, .Lfunc_end43-_ZN9rocsparseL18bsrxmvn_4x4_kernelILj128ELj32EfllfffEEvT3_20rocsparse_direction_NS_24const_host_device_scalarIT1_EES1_PKS1_PKT2_SA_S7_PKT4_PKT5_S5_PT6_21rocsparse_index_base_b
                                        ; -- End function
	.section	.AMDGPU.csdata,"",@progbits
; Kernel info:
; codeLenInByte = 4012
; NumSgprs: 24
; NumVgprs: 101
; ScratchSize: 0
; MemoryBound: 0
; FloatMode: 240
; IeeeMode: 1
; LDSByteSize: 0 bytes/workgroup (compile time only)
; SGPRBlocks: 2
; VGPRBlocks: 12
; NumSGPRsForWavesPerEU: 24
; NumVGPRsForWavesPerEU: 101
; Occupancy: 12
; WaveLimiterHint : 1
; COMPUTE_PGM_RSRC2:SCRATCH_EN: 0
; COMPUTE_PGM_RSRC2:USER_SGPR: 15
; COMPUTE_PGM_RSRC2:TRAP_HANDLER: 0
; COMPUTE_PGM_RSRC2:TGID_X_EN: 1
; COMPUTE_PGM_RSRC2:TGID_Y_EN: 0
; COMPUTE_PGM_RSRC2:TGID_Z_EN: 0
; COMPUTE_PGM_RSRC2:TIDIG_COMP_CNT: 0
	.section	.text._ZN9rocsparseL18bsrxmvn_4x4_kernelILj128ELj64EfllfffEEvT3_20rocsparse_direction_NS_24const_host_device_scalarIT1_EES1_PKS1_PKT2_SA_S7_PKT4_PKT5_S5_PT6_21rocsparse_index_base_b,"axG",@progbits,_ZN9rocsparseL18bsrxmvn_4x4_kernelILj128ELj64EfllfffEEvT3_20rocsparse_direction_NS_24const_host_device_scalarIT1_EES1_PKS1_PKT2_SA_S7_PKT4_PKT5_S5_PT6_21rocsparse_index_base_b,comdat
	.globl	_ZN9rocsparseL18bsrxmvn_4x4_kernelILj128ELj64EfllfffEEvT3_20rocsparse_direction_NS_24const_host_device_scalarIT1_EES1_PKS1_PKT2_SA_S7_PKT4_PKT5_S5_PT6_21rocsparse_index_base_b ; -- Begin function _ZN9rocsparseL18bsrxmvn_4x4_kernelILj128ELj64EfllfffEEvT3_20rocsparse_direction_NS_24const_host_device_scalarIT1_EES1_PKS1_PKT2_SA_S7_PKT4_PKT5_S5_PT6_21rocsparse_index_base_b
	.p2align	8
	.type	_ZN9rocsparseL18bsrxmvn_4x4_kernelILj128ELj64EfllfffEEvT3_20rocsparse_direction_NS_24const_host_device_scalarIT1_EES1_PKS1_PKT2_SA_S7_PKT4_PKT5_S5_PT6_21rocsparse_index_base_b,@function
_ZN9rocsparseL18bsrxmvn_4x4_kernelILj128ELj64EfllfffEEvT3_20rocsparse_direction_NS_24const_host_device_scalarIT1_EES1_PKS1_PKT2_SA_S7_PKT4_PKT5_S5_PT6_21rocsparse_index_base_b: ; @_ZN9rocsparseL18bsrxmvn_4x4_kernelILj128ELj64EfllfffEEvT3_20rocsparse_direction_NS_24const_host_device_scalarIT1_EES1_PKS1_PKT2_SA_S7_PKT4_PKT5_S5_PT6_21rocsparse_index_base_b
; %bb.0:
	s_clause 0x2
	s_load_b64 s[20:21], s[0:1], 0x60
	s_load_b128 s[16:19], s[0:1], 0x10
	s_load_b64 s[12:13], s[0:1], 0x50
	s_waitcnt lgkmcnt(0)
	s_bitcmp1_b32 s21, 0
	s_cselect_b32 s2, -1, 0
	s_delay_alu instid0(SALU_CYCLE_1)
	s_and_b32 vcc_lo, exec_lo, s2
	s_xor_b32 s2, s2, -1
	s_cbranch_vccnz .LBB44_2
; %bb.1:
	s_load_b32 s16, s[16:17], 0x0
.LBB44_2:
	s_and_not1_b32 vcc_lo, exec_lo, s2
	s_cbranch_vccnz .LBB44_4
; %bb.3:
	s_load_b32 s12, s[12:13], 0x0
.LBB44_4:
	s_waitcnt lgkmcnt(0)
	v_cmp_neq_f32_e64 s2, s16, 0
	v_cmp_neq_f32_e64 s3, s12, 1.0
	s_mov_b32 s4, 0
	s_delay_alu instid0(VALU_DEP_1) | instskip(NEXT) | instid1(SALU_CYCLE_1)
	s_or_b32 s2, s2, s3
	s_and_not1_b32 vcc_lo, exec_lo, s2
	s_cbranch_vccnz .LBB44_10
; %bb.5:
	s_load_b64 s[2:3], s[0:1], 0x20
	v_lshrrev_b32_e32 v1, 6, v0
	v_mov_b32_e32 v2, 0
	s_delay_alu instid0(VALU_DEP_2)
	v_lshl_or_b32 v1, s15, 1, v1
	s_waitcnt lgkmcnt(0)
	s_cmp_lg_u64 s[2:3], 0
	s_cbranch_scc0 .LBB44_11
; %bb.6:
	s_mov_b32 s5, 0
	s_mov_b32 s6, exec_lo
                                        ; implicit-def: $vgpr3_vgpr4
	v_cmpx_gt_i64_e64 s[18:19], v[1:2]
	s_xor_b32 s6, exec_lo, s6
                                        ; implicit-def: $sgpr14_sgpr15
	s_cbranch_execz .LBB44_8
; %bb.7:
	v_lshlrev_b64 v[3:4], 3, v[1:2]
	s_mov_b32 s4, exec_lo
	s_mov_b32 s15, 0
	s_delay_alu instid0(VALU_DEP_1) | instskip(NEXT) | instid1(VALU_DEP_2)
	v_add_co_u32 v3, vcc_lo, s2, v3
	v_add_co_ci_u32_e32 v4, vcc_lo, s3, v4, vcc_lo
	global_load_b64 v[3:4], v[3:4], off
	s_waitcnt vmcnt(0)
	v_sub_co_u32 v3, vcc_lo, v3, s20
	v_subrev_co_ci_u32_e32 v4, vcc_lo, 0, v4, vcc_lo
.LBB44_8:
	s_or_b32 exec_lo, exec_lo, s6
	s_delay_alu instid0(SALU_CYCLE_1)
	s_and_b32 vcc_lo, exec_lo, s5
	s_cbranch_vccnz .LBB44_12
.LBB44_9:
	s_and_saveexec_b32 s2, s4
	s_cbranch_execnz .LBB44_15
.LBB44_10:
	s_nop 0
	s_sendmsg sendmsg(MSG_DEALLOC_VGPRS)
	s_endpgm
.LBB44_11:
                                        ; implicit-def: $vgpr3_vgpr4
                                        ; implicit-def: $sgpr14_sgpr15
	s_cbranch_execz .LBB44_9
.LBB44_12:
	s_load_b64 s[2:3], s[0:1], 0x0
                                        ; implicit-def: $vgpr3_vgpr4
	s_waitcnt lgkmcnt(0)
	v_cmp_gt_i64_e32 vcc_lo, s[2:3], v[1:2]
	s_and_saveexec_b32 s2, vcc_lo
                                        ; implicit-def: $sgpr14_sgpr15
; %bb.13:
	v_dual_mov_b32 v4, v2 :: v_dual_mov_b32 v3, v1
	s_mov_b32 s15, 0
	s_or_b32 s4, s4, exec_lo
; %bb.14:
	s_or_b32 exec_lo, exec_lo, s2
	s_and_saveexec_b32 s2, s4
	s_cbranch_execz .LBB44_10
.LBB44_15:
	s_load_b256 s[4:11], s[0:1], 0x28
	v_lshlrev_b64 v[1:2], 3, v[3:4]
	s_load_b32 s3, s[0:1], 0x8
	v_mov_b32_e32 v21, 0
	s_waitcnt lgkmcnt(0)
	s_delay_alu instid0(VALU_DEP_2) | instskip(NEXT) | instid1(VALU_DEP_3)
	v_add_co_u32 v5, vcc_lo, s4, v1
	v_add_co_ci_u32_e32 v6, vcc_lo, s5, v2, vcc_lo
	v_add_co_u32 v1, vcc_lo, s6, v1
	v_add_co_ci_u32_e32 v2, vcc_lo, s7, v2, vcc_lo
	s_delay_alu instid0(VALU_DEP_4)
	v_add_co_u32 v7, vcc_lo, v5, 8
	global_load_b64 v[9:10], v[5:6], off
	v_add_co_ci_u32_e32 v8, vcc_lo, 0, v6, vcc_lo
	s_cmp_eq_u64 s[6:7], 0
	s_load_b64 s[4:5], s[0:1], 0x48
	s_cselect_b32 vcc_lo, -1, 0
	s_cmp_eq_u32 s3, 1
	v_dual_cndmask_b32 v2, v2, v8 :: v_dual_cndmask_b32 v1, v1, v7
	global_load_b64 v[5:6], v[1:2], off
	v_and_b32_e32 v2, 63, v0
	s_waitcnt vmcnt(1)
	v_sub_co_u32 v0, vcc_lo, v9, s20
	v_subrev_co_ci_u32_e32 v1, vcc_lo, s15, v10, vcc_lo
	s_delay_alu instid0(VALU_DEP_2) | instskip(NEXT) | instid1(VALU_DEP_2)
	v_add_co_u32 v0, vcc_lo, v0, v2
	v_add_co_ci_u32_e32 v1, vcc_lo, 0, v1, vcc_lo
	s_delay_alu instid0(VALU_DEP_1) | instskip(SKIP_3) | instid1(VALU_DEP_3)
	v_lshlrev_b64 v[7:8], 6, v[0:1]
	s_waitcnt vmcnt(0)
	v_sub_co_u32 v5, vcc_lo, v5, s20
	v_subrev_co_ci_u32_e32 v6, vcc_lo, s15, v6, vcc_lo
	v_add_co_u32 v7, vcc_lo, s10, v7
	s_delay_alu instid0(VALU_DEP_2)
	v_cmp_lt_i64_e64 s2, v[0:1], v[5:6]
	v_add_co_ci_u32_e32 v8, vcc_lo, s11, v8, vcc_lo
	s_cbranch_scc1 .LBB44_27
; %bb.16:
	v_dual_mov_b32 v23, 0 :: v_dual_mov_b32 v24, 0
	v_mov_b32_e32 v22, 0
	s_mov_b32 s6, 0
	s_and_saveexec_b32 s7, s2
	s_cbranch_execz .LBB44_26
; %bb.17:
	v_or_b32_e32 v11, 64, v2
	v_not_b32_e32 v14, v9
	v_not_b32_e32 v13, v10
	v_mov_b32_e32 v23, 0
	v_mov_b32_e32 v21, 0
	v_sub_co_u32 v11, s3, v11, s20
	s_delay_alu instid0(VALU_DEP_1) | instskip(SKIP_1) | instid1(VALU_DEP_3)
	v_sub_co_ci_u32_e64 v12, null, 0, s15, s3
	v_sub_co_u32 v15, s3, s20, v2
	v_add_co_u32 v11, vcc_lo, v11, v9
	s_delay_alu instid0(VALU_DEP_3) | instskip(SKIP_2) | instid1(VALU_DEP_2)
	v_add_co_ci_u32_e32 v12, vcc_lo, v12, v10, vcc_lo
	v_sub_co_ci_u32_e64 v16, null, s15, 0, s3
	s_mov_b32 s3, exec_lo
	v_cmp_gt_i64_e32 vcc_lo, v[11:12], v[5:6]
	v_mov_b32_e32 v22, 0
	v_mov_b32_e32 v24, 0
	v_dual_cndmask_b32 v12, v6, v12 :: v_dual_cndmask_b32 v11, v5, v11
	v_add_co_u32 v14, vcc_lo, v15, v14
	v_add_co_ci_u32_e32 v13, vcc_lo, v16, v13, vcc_lo
	s_delay_alu instid0(VALU_DEP_2) | instskip(NEXT) | instid1(VALU_DEP_2)
	v_add_co_u32 v15, vcc_lo, v14, v11
	v_add_co_ci_u32_e32 v16, vcc_lo, v13, v12, vcc_lo
	v_mov_b32_e32 v14, v8
	s_delay_alu instid0(VALU_DEP_3) | instskip(SKIP_1) | instid1(VALU_DEP_2)
	v_lshrrev_b32_e32 v11, 6, v15
	v_mov_b32_e32 v13, v7
	v_add_nc_u32_e32 v11, 1, v11
	s_delay_alu instid0(VALU_DEP_1) | instskip(SKIP_1) | instid1(VALU_DEP_2)
	v_dual_mov_b32 v12, v1 :: v_dual_and_b32 v17, 3, v11
	v_mov_b32_e32 v11, v0
	v_cmpx_ne_u32_e32 0, v17
	s_cbranch_execz .LBB44_21
; %bb.18:
	v_lshlrev_b64 v[11:12], 3, v[0:1]
	v_dual_mov_b32 v18, 0 :: v_dual_lshlrev_b32 v17, 3, v17
	v_dual_mov_b32 v14, v8 :: v_dual_mov_b32 v13, v7
	s_mov_b32 s10, 0
	s_delay_alu instid0(VALU_DEP_3) | instskip(NEXT) | instid1(VALU_DEP_4)
	v_add_co_u32 v19, vcc_lo, s8, v11
	v_add_co_ci_u32_e32 v20, vcc_lo, s9, v12, vcc_lo
	v_dual_mov_b32 v12, v1 :: v_dual_mov_b32 v11, v0
	v_mov_b32_e32 v21, v18
	v_mov_b32_e32 v23, v18
	;; [unrolled: 1-line block ×4, first 2 shown]
.LBB44_19:                              ; =>This Inner Loop Header: Depth=1
	global_load_b64 v[41:42], v[19:20], off
	s_clause 0x3
	global_load_b128 v[25:28], v[13:14], off offset:48
	global_load_b128 v[29:32], v[13:14], off offset:32
	;; [unrolled: 1-line block ×3, first 2 shown]
	global_load_b128 v[37:40], v[13:14], off
	s_waitcnt vmcnt(4)
	v_sub_co_u32 v41, vcc_lo, v41, s20
	v_subrev_co_ci_u32_e32 v42, vcc_lo, s15, v42, vcc_lo
	s_delay_alu instid0(VALU_DEP_1) | instskip(SKIP_1) | instid1(VALU_DEP_1)
	v_lshlrev_b64 v[41:42], 4, v[41:42]
	s_waitcnt lgkmcnt(0)
	v_add_co_u32 v41, vcc_lo, s4, v41
	s_delay_alu instid0(VALU_DEP_2)
	v_add_co_ci_u32_e32 v42, vcc_lo, s5, v42, vcc_lo
	v_add_co_u32 v13, vcc_lo, 0x1000, v13
	v_add_co_ci_u32_e32 v14, vcc_lo, 0, v14, vcc_lo
	global_load_b128 v[41:44], v[41:42], off
	v_add_co_u32 v11, vcc_lo, v11, 64
	v_add_co_ci_u32_e32 v12, vcc_lo, 0, v12, vcc_lo
	v_add_co_u32 v19, vcc_lo, 0x200, v19
	v_add_co_ci_u32_e32 v20, vcc_lo, 0, v20, vcc_lo
	v_add_co_u32 v17, vcc_lo, v17, -8
	v_add_co_ci_u32_e32 v18, vcc_lo, -1, v18, vcc_lo
	s_delay_alu instid0(VALU_DEP_1)
	v_cmp_eq_u64_e32 vcc_lo, 0, v[17:18]
	s_or_b32 s10, vcc_lo, s10
	s_waitcnt vmcnt(0)
	v_fmac_f32_e32 v23, v29, v41
	v_fmac_f32_e32 v22, v37, v41
	;; [unrolled: 1-line block ×3, first 2 shown]
	s_delay_alu instid0(VALU_DEP_3) | instskip(NEXT) | instid1(VALU_DEP_3)
	v_dual_fmac_f32 v24, v33, v41 :: v_dual_fmac_f32 v23, v30, v42
	v_fmac_f32_e32 v22, v38, v42
	s_delay_alu instid0(VALU_DEP_3) | instskip(NEXT) | instid1(VALU_DEP_3)
	v_fmac_f32_e32 v21, v26, v42
	v_dual_fmac_f32 v24, v34, v42 :: v_dual_fmac_f32 v23, v31, v43
	s_delay_alu instid0(VALU_DEP_3) | instskip(NEXT) | instid1(VALU_DEP_3)
	v_fmac_f32_e32 v22, v39, v43
	v_fmac_f32_e32 v21, v27, v43
	s_delay_alu instid0(VALU_DEP_3) | instskip(NEXT) | instid1(VALU_DEP_3)
	v_dual_fmac_f32 v24, v35, v43 :: v_dual_fmac_f32 v23, v32, v44
	v_fmac_f32_e32 v22, v40, v44
	s_delay_alu instid0(VALU_DEP_3) | instskip(NEXT) | instid1(VALU_DEP_3)
	v_fmac_f32_e32 v21, v28, v44
	v_fmac_f32_e32 v24, v36, v44
	s_and_not1_b32 exec_lo, exec_lo, s10
	s_cbranch_execnz .LBB44_19
; %bb.20:
	s_or_b32 exec_lo, exec_lo, s10
.LBB44_21:
	s_delay_alu instid0(SALU_CYCLE_1) | instskip(NEXT) | instid1(SALU_CYCLE_1)
	s_or_b32 exec_lo, exec_lo, s3
	s_mov_b32 s10, exec_lo
	v_cmpx_lt_u64_e32 0xbf, v[15:16]
	s_cbranch_execz .LBB44_25
; %bb.22:
	v_lshlrev_b64 v[15:16], 3, v[11:12]
	s_mov_b32 s11, 0
	s_delay_alu instid0(VALU_DEP_1) | instskip(NEXT) | instid1(VALU_DEP_2)
	v_add_co_u32 v15, vcc_lo, v15, s8
	v_add_co_ci_u32_e32 v16, vcc_lo, s9, v16, vcc_lo
	s_delay_alu instid0(VALU_DEP_2) | instskip(NEXT) | instid1(VALU_DEP_2)
	v_add_co_u32 v15, vcc_lo, 0x400, v15
	v_add_co_ci_u32_e32 v16, vcc_lo, 0, v16, vcc_lo
.LBB44_23:                              ; =>This Inner Loop Header: Depth=1
	s_clause 0x3
	global_load_b64 v[85:86], v[15:16], off offset:-1024
	global_load_b64 v[87:88], v[15:16], off offset:-512
	global_load_b64 v[89:90], v[15:16], off
	global_load_b64 v[96:97], v[15:16], off offset:512
	s_clause 0x3
	global_load_b128 v[17:20], v[13:14], off offset:48
	global_load_b128 v[25:28], v[13:14], off offset:32
	global_load_b128 v[29:32], v[13:14], off offset:16
	global_load_b128 v[33:36], v[13:14], off
	v_add_co_u32 v45, vcc_lo, 0x1000, v13
	v_add_co_ci_u32_e32 v46, vcc_lo, 0, v14, vcc_lo
	v_add_co_u32 v53, vcc_lo, v13, 0x2000
	v_add_co_ci_u32_e32 v54, vcc_lo, 0, v14, vcc_lo
	;; [unrolled: 2-line block ×4, first 2 shown]
	s_clause 0xb
	global_load_b128 v[37:40], v[45:46], off offset:48
	global_load_b128 v[41:44], v[45:46], off offset:32
	;; [unrolled: 1-line block ×3, first 2 shown]
	global_load_b128 v[49:52], v[53:54], off offset:-4096
	global_load_b128 v[53:56], v[53:54], off
	global_load_b128 v[57:60], v[65:66], off offset:48
	global_load_b128 v[61:64], v[65:66], off offset:32
	;; [unrolled: 1-line block ×5, first 2 shown]
	global_load_b128 v[77:80], v[81:82], off
	global_load_b128 v[81:84], v[81:82], off offset:16
	s_waitcnt vmcnt(19)
	v_sub_co_u32 v85, vcc_lo, v85, s20
	v_subrev_co_ci_u32_e32 v86, vcc_lo, s15, v86, vcc_lo
	s_waitcnt vmcnt(18)
	v_sub_co_u32 v91, vcc_lo, v87, s20
	v_subrev_co_ci_u32_e32 v92, vcc_lo, s15, v88, vcc_lo
	s_delay_alu instid0(VALU_DEP_3)
	v_lshlrev_b64 v[85:86], 4, v[85:86]
	s_waitcnt vmcnt(17)
	v_sub_co_u32 v93, vcc_lo, v89, s20
	v_subrev_co_ci_u32_e32 v94, vcc_lo, s15, v90, vcc_lo
	v_lshlrev_b64 v[89:90], 4, v[91:92]
	s_waitcnt lgkmcnt(0)
	v_add_co_u32 v85, s3, s4, v85
	s_delay_alu instid0(VALU_DEP_1) | instskip(SKIP_1) | instid1(VALU_DEP_4)
	v_add_co_ci_u32_e64 v86, s3, s5, v86, s3
	v_lshlrev_b64 v[93:94], 4, v[93:94]
	v_add_co_u32 v89, vcc_lo, s4, v89
	global_load_b128 v[85:88], v[85:86], off
	v_add_co_ci_u32_e32 v90, vcc_lo, s5, v90, vcc_lo
	v_add_co_u32 v93, s3, s4, v93
	s_delay_alu instid0(VALU_DEP_1)
	v_add_co_ci_u32_e64 v94, s3, s5, v94, s3
	global_load_b128 v[89:92], v[89:90], off
	s_waitcnt vmcnt(18)
	v_sub_co_u32 v98, vcc_lo, v96, s20
	global_load_b128 v[93:96], v[93:94], off
	v_subrev_co_ci_u32_e32 v99, vcc_lo, s15, v97, vcc_lo
	s_delay_alu instid0(VALU_DEP_1) | instskip(NEXT) | instid1(VALU_DEP_1)
	v_lshlrev_b64 v[97:98], 4, v[98:99]
	v_add_co_u32 v97, vcc_lo, s4, v97
	s_delay_alu instid0(VALU_DEP_2)
	v_add_co_ci_u32_e32 v98, vcc_lo, s5, v98, vcc_lo
	v_add_co_u32 v11, vcc_lo, 0x100, v11
	v_add_co_ci_u32_e32 v12, vcc_lo, 0, v12, vcc_lo
	global_load_b128 v[97:100], v[97:98], off
	v_add_co_u32 v15, vcc_lo, 0x800, v15
	v_add_co_ci_u32_e32 v16, vcc_lo, 0, v16, vcc_lo
	v_add_co_u32 v13, vcc_lo, 0x4000, v13
	v_add_co_ci_u32_e32 v14, vcc_lo, 0, v14, vcc_lo
	v_cmp_ge_i64_e32 vcc_lo, v[11:12], v[5:6]
	s_or_b32 s11, vcc_lo, s11
	s_waitcnt vmcnt(3)
	v_fmac_f32_e32 v23, v25, v85
	v_fmac_f32_e32 v22, v33, v85
	;; [unrolled: 1-line block ×3, first 2 shown]
	s_delay_alu instid0(VALU_DEP_3) | instskip(NEXT) | instid1(VALU_DEP_3)
	v_dual_fmac_f32 v24, v29, v85 :: v_dual_fmac_f32 v23, v26, v86
	v_fmac_f32_e32 v22, v34, v86
	s_delay_alu instid0(VALU_DEP_3) | instskip(NEXT) | instid1(VALU_DEP_3)
	v_fmac_f32_e32 v21, v18, v86
	v_dual_fmac_f32 v24, v30, v86 :: v_dual_fmac_f32 v23, v27, v87
	s_delay_alu instid0(VALU_DEP_3) | instskip(NEXT) | instid1(VALU_DEP_3)
	v_fmac_f32_e32 v22, v35, v87
	v_fmac_f32_e32 v21, v19, v87
	s_delay_alu instid0(VALU_DEP_3) | instskip(NEXT) | instid1(VALU_DEP_3)
	v_dual_fmac_f32 v24, v31, v87 :: v_dual_fmac_f32 v23, v28, v88
	v_fmac_f32_e32 v22, v36, v88
	s_delay_alu instid0(VALU_DEP_3) | instskip(SKIP_1) | instid1(VALU_DEP_3)
	v_fmac_f32_e32 v21, v20, v88
	s_waitcnt vmcnt(2)
	v_dual_fmac_f32 v24, v32, v88 :: v_dual_fmac_f32 v23, v41, v89
	s_delay_alu instid0(VALU_DEP_3) | instskip(NEXT) | instid1(VALU_DEP_3)
	v_fmac_f32_e32 v22, v49, v89
	v_fmac_f32_e32 v21, v37, v89
	s_delay_alu instid0(VALU_DEP_3) | instskip(NEXT) | instid1(VALU_DEP_3)
	v_dual_fmac_f32 v24, v45, v89 :: v_dual_fmac_f32 v23, v42, v90
	v_fmac_f32_e32 v22, v50, v90
	s_delay_alu instid0(VALU_DEP_3) | instskip(NEXT) | instid1(VALU_DEP_3)
	v_fmac_f32_e32 v21, v38, v90
	v_dual_fmac_f32 v24, v46, v90 :: v_dual_fmac_f32 v23, v43, v91
	s_delay_alu instid0(VALU_DEP_3) | instskip(NEXT) | instid1(VALU_DEP_3)
	v_fmac_f32_e32 v22, v51, v91
	v_fmac_f32_e32 v21, v39, v91
	s_delay_alu instid0(VALU_DEP_3) | instskip(NEXT) | instid1(VALU_DEP_3)
	v_dual_fmac_f32 v24, v47, v91 :: v_dual_fmac_f32 v23, v44, v92
	v_fmac_f32_e32 v22, v52, v92
	s_delay_alu instid0(VALU_DEP_3) | instskip(SKIP_1) | instid1(VALU_DEP_3)
	v_fmac_f32_e32 v21, v40, v92
	s_waitcnt vmcnt(1)
	v_dual_fmac_f32 v24, v48, v92 :: v_dual_fmac_f32 v23, v61, v93
	s_delay_alu instid0(VALU_DEP_3) | instskip(NEXT) | instid1(VALU_DEP_3)
	v_fmac_f32_e32 v22, v53, v93
	v_fmac_f32_e32 v21, v57, v93
	;; [unrolled: 19-line block ×3, first 2 shown]
	s_delay_alu instid0(VALU_DEP_3) | instskip(NEXT) | instid1(VALU_DEP_3)
	v_dual_fmac_f32 v24, v81, v97 :: v_dual_fmac_f32 v23, v74, v98
	v_fmac_f32_e32 v22, v78, v98
	s_delay_alu instid0(VALU_DEP_3) | instskip(NEXT) | instid1(VALU_DEP_3)
	v_fmac_f32_e32 v21, v70, v98
	v_dual_fmac_f32 v24, v82, v98 :: v_dual_fmac_f32 v23, v75, v99
	s_delay_alu instid0(VALU_DEP_3) | instskip(NEXT) | instid1(VALU_DEP_3)
	v_fmac_f32_e32 v22, v79, v99
	v_fmac_f32_e32 v21, v71, v99
	s_delay_alu instid0(VALU_DEP_3) | instskip(NEXT) | instid1(VALU_DEP_3)
	v_dual_fmac_f32 v24, v83, v99 :: v_dual_fmac_f32 v23, v76, v100
	v_fmac_f32_e32 v22, v80, v100
	s_delay_alu instid0(VALU_DEP_3) | instskip(NEXT) | instid1(VALU_DEP_3)
	v_fmac_f32_e32 v21, v72, v100
	v_fmac_f32_e32 v24, v84, v100
	s_and_not1_b32 exec_lo, exec_lo, s11
	s_cbranch_execnz .LBB44_23
; %bb.24:
	s_or_b32 exec_lo, exec_lo, s11
.LBB44_25:
	s_delay_alu instid0(SALU_CYCLE_1)
	s_or_b32 exec_lo, exec_lo, s10
.LBB44_26:
	s_delay_alu instid0(SALU_CYCLE_1) | instskip(NEXT) | instid1(SALU_CYCLE_1)
	s_or_b32 exec_lo, exec_lo, s7
	s_and_not1_b32 vcc_lo, exec_lo, s6
	s_cbranch_vccz .LBB44_28
	s_branch .LBB44_39
.LBB44_27:
                                        ; implicit-def: $vgpr21
                                        ; implicit-def: $vgpr23
                                        ; implicit-def: $vgpr24
                                        ; implicit-def: $vgpr22
.LBB44_28:
	v_dual_mov_b32 v21, 0 :: v_dual_mov_b32 v24, 0
	v_dual_mov_b32 v23, 0 :: v_dual_mov_b32 v22, 0
	s_delay_alu instid0(VALU_DEP_4)
	s_and_saveexec_b32 s3, s2
	s_cbranch_execz .LBB44_38
; %bb.29:
	v_or_b32_e32 v11, 64, v2
	v_mov_b32_e32 v23, 0
	v_dual_mov_b32 v21, 0 :: v_dual_mov_b32 v22, 0
	v_mov_b32_e32 v24, 0
	s_delay_alu instid0(VALU_DEP_4) | instskip(NEXT) | instid1(VALU_DEP_1)
	v_sub_co_u32 v11, s2, v11, s20
	v_sub_co_ci_u32_e64 v12, null, 0, s15, s2
	v_sub_co_u32 v13, s2, s20, v2
	s_delay_alu instid0(VALU_DEP_3) | instskip(NEXT) | instid1(VALU_DEP_3)
	v_add_co_u32 v11, vcc_lo, v11, v9
	v_add_co_ci_u32_e32 v12, vcc_lo, v12, v10, vcc_lo
	v_not_b32_e32 v9, v9
	v_not_b32_e32 v10, v10
	v_sub_co_ci_u32_e64 v14, null, s15, 0, s2
	s_delay_alu instid0(VALU_DEP_4) | instskip(SKIP_4) | instid1(VALU_DEP_2)
	v_cmp_gt_i64_e32 vcc_lo, v[11:12], v[5:6]
	s_mov_b32 s2, exec_lo
	v_dual_cndmask_b32 v12, v6, v12 :: v_dual_cndmask_b32 v11, v5, v11
	v_add_co_u32 v9, vcc_lo, v13, v9
	v_add_co_ci_u32_e32 v10, vcc_lo, v14, v10, vcc_lo
	v_add_co_u32 v9, vcc_lo, v9, v11
	s_delay_alu instid0(VALU_DEP_2) | instskip(NEXT) | instid1(VALU_DEP_2)
	v_add_co_ci_u32_e32 v10, vcc_lo, v10, v12, vcc_lo
	v_lshrrev_b32_e32 v11, 6, v9
	s_delay_alu instid0(VALU_DEP_1) | instskip(NEXT) | instid1(VALU_DEP_1)
	v_add_nc_u32_e32 v11, 1, v11
	v_and_b32_e32 v11, 3, v11
	s_delay_alu instid0(VALU_DEP_1)
	v_cmpx_ne_u32_e32 0, v11
	s_cbranch_execz .LBB44_33
; %bb.30:
	v_lshlrev_b64 v[13:14], 3, v[0:1]
	v_dual_mov_b32 v12, 0 :: v_dual_lshlrev_b32 v11, 3, v11
	s_mov_b32 s6, 0
	s_delay_alu instid0(VALU_DEP_1) | instskip(NEXT) | instid1(VALU_DEP_3)
	v_mov_b32_e32 v21, v12
	v_add_co_u32 v13, vcc_lo, s8, v13
	s_delay_alu instid0(VALU_DEP_4)
	v_add_co_ci_u32_e32 v14, vcc_lo, s9, v14, vcc_lo
	v_mov_b32_e32 v23, v12
	v_mov_b32_e32 v24, v12
	;; [unrolled: 1-line block ×3, first 2 shown]
.LBB44_31:                              ; =>This Inner Loop Header: Depth=1
	global_load_b64 v[19:20], v[13:14], off
	s_clause 0x1
	global_load_b128 v[15:18], v[7:8], off offset:16
	global_load_b128 v[25:28], v[7:8], off
	s_waitcnt vmcnt(2)
	v_sub_co_u32 v19, vcc_lo, v19, s20
	v_subrev_co_ci_u32_e32 v20, vcc_lo, s15, v20, vcc_lo
	s_delay_alu instid0(VALU_DEP_1) | instskip(SKIP_1) | instid1(VALU_DEP_1)
	v_lshlrev_b64 v[19:20], 4, v[19:20]
	s_waitcnt lgkmcnt(0)
	v_add_co_u32 v19, vcc_lo, s4, v19
	s_delay_alu instid0(VALU_DEP_2)
	v_add_co_ci_u32_e32 v20, vcc_lo, s5, v20, vcc_lo
	global_load_b128 v[29:32], v[19:20], off
	s_clause 0x1
	global_load_b128 v[33:36], v[7:8], off offset:32
	global_load_b128 v[37:40], v[7:8], off offset:48
	v_add_co_u32 v7, vcc_lo, 0x1000, v7
	v_add_co_ci_u32_e32 v8, vcc_lo, 0, v8, vcc_lo
	v_add_co_u32 v0, vcc_lo, v0, 64
	v_add_co_ci_u32_e32 v1, vcc_lo, 0, v1, vcc_lo
	;; [unrolled: 2-line block ×3, first 2 shown]
	v_add_co_u32 v11, vcc_lo, v11, -8
	v_add_co_ci_u32_e32 v12, vcc_lo, -1, v12, vcc_lo
	s_delay_alu instid0(VALU_DEP_1)
	v_cmp_eq_u64_e32 vcc_lo, 0, v[11:12]
	s_or_b32 s6, vcc_lo, s6
	s_waitcnt vmcnt(2)
	v_fmac_f32_e32 v23, v27, v29
	v_fmac_f32_e32 v24, v26, v29
	;; [unrolled: 1-line block ×4, first 2 shown]
	s_delay_alu instid0(VALU_DEP_4) | instskip(NEXT) | instid1(VALU_DEP_4)
	v_fmac_f32_e32 v23, v17, v30
	v_fmac_f32_e32 v24, v16, v30
	s_delay_alu instid0(VALU_DEP_4) | instskip(NEXT) | instid1(VALU_DEP_4)
	v_fmac_f32_e32 v21, v18, v30
	v_fmac_f32_e32 v22, v15, v30
	s_waitcnt vmcnt(1)
	v_fmac_f32_e32 v23, v35, v31
	s_delay_alu instid0(VALU_DEP_3) | instskip(NEXT) | instid1(VALU_DEP_3)
	v_fmac_f32_e32 v21, v36, v31
	v_fmac_f32_e32 v22, v33, v31
	s_waitcnt vmcnt(0)
	s_delay_alu instid0(VALU_DEP_3) | instskip(NEXT) | instid1(VALU_DEP_3)
	v_dual_fmac_f32 v24, v34, v31 :: v_dual_fmac_f32 v23, v39, v32
	v_fmac_f32_e32 v21, v40, v32
	s_delay_alu instid0(VALU_DEP_3) | instskip(NEXT) | instid1(VALU_DEP_3)
	v_fmac_f32_e32 v22, v37, v32
	v_fmac_f32_e32 v24, v38, v32
	s_and_not1_b32 exec_lo, exec_lo, s6
	s_cbranch_execnz .LBB44_31
; %bb.32:
	s_or_b32 exec_lo, exec_lo, s6
.LBB44_33:
	s_delay_alu instid0(SALU_CYCLE_1) | instskip(NEXT) | instid1(SALU_CYCLE_1)
	s_or_b32 exec_lo, exec_lo, s2
	s_mov_b32 s6, exec_lo
	v_cmpx_lt_u64_e32 0xbf, v[9:10]
	s_cbranch_execz .LBB44_37
; %bb.34:
	v_lshlrev_b64 v[9:10], 3, v[0:1]
	s_mov_b32 s7, 0
	s_delay_alu instid0(VALU_DEP_1) | instskip(NEXT) | instid1(VALU_DEP_2)
	v_add_co_u32 v9, vcc_lo, v9, s8
	v_add_co_ci_u32_e32 v10, vcc_lo, s9, v10, vcc_lo
	s_delay_alu instid0(VALU_DEP_2) | instskip(NEXT) | instid1(VALU_DEP_2)
	v_add_co_u32 v9, vcc_lo, 0x400, v9
	v_add_co_ci_u32_e32 v10, vcc_lo, 0, v10, vcc_lo
.LBB44_35:                              ; =>This Inner Loop Header: Depth=1
	s_clause 0x3
	global_load_b64 v[19:20], v[9:10], off offset:-1024
	global_load_b64 v[69:70], v[9:10], off offset:-512
	global_load_b64 v[72:73], v[9:10], off
	global_load_b64 v[80:81], v[9:10], off offset:512
	s_clause 0x3
	global_load_b128 v[11:14], v[7:8], off offset:48
	global_load_b128 v[15:18], v[7:8], off offset:32
	;; [unrolled: 1-line block ×3, first 2 shown]
	global_load_b128 v[29:32], v[7:8], off
	v_add_co_u32 v41, vcc_lo, 0x1000, v7
	v_add_co_ci_u32_e32 v42, vcc_lo, 0, v8, vcc_lo
	v_add_co_u32 v49, vcc_lo, v7, 0x2000
	v_add_co_ci_u32_e32 v50, vcc_lo, 0, v8, vcc_lo
	;; [unrolled: 2-line block ×4, first 2 shown]
	s_clause 0x8
	global_load_b128 v[33:36], v[41:42], off offset:48
	global_load_b128 v[37:40], v[41:42], off offset:32
	;; [unrolled: 1-line block ×3, first 2 shown]
	global_load_b128 v[45:48], v[49:50], off offset:-4096
	global_load_b128 v[49:52], v[49:50], off
	global_load_b128 v[53:56], v[61:62], off offset:48
	global_load_b128 v[57:60], v[61:62], off offset:32
	;; [unrolled: 1-line block ×3, first 2 shown]
	global_load_b128 v[65:68], v[93:94], off
	s_waitcnt vmcnt(16)
	v_sub_co_u32 v19, vcc_lo, v19, s20
	v_subrev_co_ci_u32_e32 v20, vcc_lo, s15, v20, vcc_lo
	s_waitcnt vmcnt(15)
	v_sub_co_u32 v74, vcc_lo, v69, s20
	v_subrev_co_ci_u32_e32 v75, vcc_lo, s15, v70, vcc_lo
	s_delay_alu instid0(VALU_DEP_3) | instskip(SKIP_4) | instid1(VALU_DEP_3)
	v_lshlrev_b64 v[19:20], 4, v[19:20]
	s_waitcnt vmcnt(14)
	v_sub_co_u32 v77, vcc_lo, v72, s20
	v_subrev_co_ci_u32_e32 v78, vcc_lo, s15, v73, vcc_lo
	s_waitcnt lgkmcnt(0)
	v_add_co_u32 v19, s2, s4, v19
	s_delay_alu instid0(VALU_DEP_1) | instskip(NEXT) | instid1(VALU_DEP_3)
	v_add_co_ci_u32_e64 v20, s2, s5, v20, s2
	v_lshlrev_b64 v[77:78], 4, v[77:78]
	global_load_b128 v[69:72], v[19:20], off
	v_lshlrev_b64 v[19:20], 4, v[74:75]
	v_add_co_u32 v77, s2, s4, v77
	s_delay_alu instid0(VALU_DEP_1) | instskip(NEXT) | instid1(VALU_DEP_3)
	v_add_co_ci_u32_e64 v78, s2, s5, v78, s2
	v_add_co_u32 v19, vcc_lo, s4, v19
	s_delay_alu instid0(VALU_DEP_4)
	v_add_co_ci_u32_e32 v20, vcc_lo, s5, v20, vcc_lo
	global_load_b128 v[73:76], v[19:20], off
	s_waitcnt vmcnt(15)
	v_sub_co_u32 v19, vcc_lo, v80, s20
	global_load_b128 v[77:80], v[77:78], off
	v_subrev_co_ci_u32_e32 v20, vcc_lo, s15, v81, vcc_lo
	s_delay_alu instid0(VALU_DEP_1) | instskip(NEXT) | instid1(VALU_DEP_1)
	v_lshlrev_b64 v[19:20], 4, v[19:20]
	v_add_co_u32 v19, vcc_lo, s4, v19
	s_delay_alu instid0(VALU_DEP_2)
	v_add_co_ci_u32_e32 v20, vcc_lo, s5, v20, vcc_lo
	global_load_b128 v[81:84], v[19:20], off
	s_clause 0x2
	global_load_b128 v[85:88], v[93:94], off offset:16
	global_load_b128 v[89:92], v[93:94], off offset:32
	global_load_b128 v[93:96], v[93:94], off offset:48
	v_add_co_u32 v0, vcc_lo, 0x100, v0
	v_add_co_ci_u32_e32 v1, vcc_lo, 0, v1, vcc_lo
	v_add_co_u32 v9, vcc_lo, 0x800, v9
	v_add_co_ci_u32_e32 v10, vcc_lo, 0, v10, vcc_lo
	;; [unrolled: 2-line block ×3, first 2 shown]
	v_cmp_ge_i64_e32 vcc_lo, v[0:1], v[5:6]
	s_or_b32 s7, vcc_lo, s7
	s_waitcnt vmcnt(6)
	v_fmac_f32_e32 v23, v31, v69
	v_fmac_f32_e32 v22, v29, v69
	;; [unrolled: 1-line block ×3, first 2 shown]
	s_delay_alu instid0(VALU_DEP_3) | instskip(NEXT) | instid1(VALU_DEP_3)
	v_dual_fmac_f32 v24, v30, v69 :: v_dual_fmac_f32 v23, v27, v70
	v_fmac_f32_e32 v22, v25, v70
	s_delay_alu instid0(VALU_DEP_3) | instskip(NEXT) | instid1(VALU_DEP_3)
	v_fmac_f32_e32 v21, v28, v70
	v_dual_fmac_f32 v24, v26, v70 :: v_dual_fmac_f32 v23, v17, v71
	s_delay_alu instid0(VALU_DEP_3) | instskip(NEXT) | instid1(VALU_DEP_3)
	v_fmac_f32_e32 v22, v15, v71
	v_fmac_f32_e32 v21, v18, v71
	s_delay_alu instid0(VALU_DEP_3) | instskip(NEXT) | instid1(VALU_DEP_3)
	v_dual_fmac_f32 v24, v16, v71 :: v_dual_fmac_f32 v23, v13, v72
	v_fmac_f32_e32 v22, v11, v72
	s_delay_alu instid0(VALU_DEP_3) | instskip(SKIP_1) | instid1(VALU_DEP_3)
	v_fmac_f32_e32 v21, v14, v72
	s_waitcnt vmcnt(5)
	v_dual_fmac_f32 v24, v12, v72 :: v_dual_fmac_f32 v23, v47, v73
	s_delay_alu instid0(VALU_DEP_3) | instskip(NEXT) | instid1(VALU_DEP_3)
	v_fmac_f32_e32 v22, v45, v73
	v_fmac_f32_e32 v21, v48, v73
	s_delay_alu instid0(VALU_DEP_3) | instskip(NEXT) | instid1(VALU_DEP_3)
	v_dual_fmac_f32 v24, v46, v73 :: v_dual_fmac_f32 v23, v43, v74
	v_fmac_f32_e32 v22, v41, v74
	s_delay_alu instid0(VALU_DEP_3) | instskip(NEXT) | instid1(VALU_DEP_3)
	v_fmac_f32_e32 v21, v44, v74
	v_dual_fmac_f32 v24, v42, v74 :: v_dual_fmac_f32 v23, v39, v75
	s_delay_alu instid0(VALU_DEP_3) | instskip(NEXT) | instid1(VALU_DEP_3)
	v_fmac_f32_e32 v22, v37, v75
	v_fmac_f32_e32 v21, v40, v75
	s_delay_alu instid0(VALU_DEP_3) | instskip(NEXT) | instid1(VALU_DEP_3)
	v_dual_fmac_f32 v24, v38, v75 :: v_dual_fmac_f32 v23, v35, v76
	v_fmac_f32_e32 v22, v33, v76
	s_delay_alu instid0(VALU_DEP_3) | instskip(SKIP_1) | instid1(VALU_DEP_3)
	v_fmac_f32_e32 v21, v36, v76
	s_waitcnt vmcnt(4)
	v_dual_fmac_f32 v24, v34, v76 :: v_dual_fmac_f32 v23, v51, v77
	s_delay_alu instid0(VALU_DEP_3) | instskip(NEXT) | instid1(VALU_DEP_3)
	v_fmac_f32_e32 v22, v49, v77
	v_fmac_f32_e32 v21, v52, v77
	;; [unrolled: 19-line block ×3, first 2 shown]
	s_waitcnt vmcnt(2)
	s_delay_alu instid0(VALU_DEP_3) | instskip(NEXT) | instid1(VALU_DEP_3)
	v_dual_fmac_f32 v24, v66, v81 :: v_dual_fmac_f32 v23, v87, v82
	v_fmac_f32_e32 v22, v85, v82
	s_delay_alu instid0(VALU_DEP_3) | instskip(SKIP_1) | instid1(VALU_DEP_3)
	v_fmac_f32_e32 v21, v88, v82
	s_waitcnt vmcnt(1)
	v_dual_fmac_f32 v24, v86, v82 :: v_dual_fmac_f32 v23, v91, v83
	s_delay_alu instid0(VALU_DEP_3) | instskip(NEXT) | instid1(VALU_DEP_3)
	v_fmac_f32_e32 v22, v89, v83
	v_fmac_f32_e32 v21, v92, v83
	s_waitcnt vmcnt(0)
	s_delay_alu instid0(VALU_DEP_3) | instskip(NEXT) | instid1(VALU_DEP_3)
	v_dual_fmac_f32 v24, v90, v83 :: v_dual_fmac_f32 v23, v95, v84
	v_fmac_f32_e32 v22, v93, v84
	s_delay_alu instid0(VALU_DEP_3) | instskip(NEXT) | instid1(VALU_DEP_3)
	v_fmac_f32_e32 v21, v96, v84
	v_fmac_f32_e32 v24, v94, v84
	s_and_not1_b32 exec_lo, exec_lo, s7
	s_cbranch_execnz .LBB44_35
; %bb.36:
	s_or_b32 exec_lo, exec_lo, s7
.LBB44_37:
	s_delay_alu instid0(SALU_CYCLE_1)
	s_or_b32 exec_lo, exec_lo, s6
.LBB44_38:
	s_delay_alu instid0(SALU_CYCLE_1)
	s_or_b32 exec_lo, exec_lo, s3
.LBB44_39:
	v_mbcnt_lo_u32_b32 v0, -1, 0
	s_mov_b32 s2, -1
	s_delay_alu instid0(VALU_DEP_1) | instskip(SKIP_2) | instid1(VALU_DEP_3)
	v_or_b32_e32 v1, 32, v0
	v_xor_b32_e32 v8, 16, v0
	v_xor_b32_e32 v12, 8, v0
	v_cmp_gt_i32_e32 vcc_lo, 32, v1
	v_cndmask_b32_e32 v1, v0, v1, vcc_lo
	s_delay_alu instid0(VALU_DEP_4) | instskip(SKIP_2) | instid1(VALU_DEP_2)
	v_cmp_gt_i32_e32 vcc_lo, 32, v8
	v_cndmask_b32_e32 v8, v0, v8, vcc_lo
	v_cmp_gt_i32_e32 vcc_lo, 32, v12
	v_lshlrev_b32_e32 v8, 2, v8
	v_dual_cndmask_b32 v12, v0, v12 :: v_dual_lshlrev_b32 v1, 2, v1
	ds_bpermute_b32 v6, v1, v24
	v_lshlrev_b32_e32 v12, 2, v12
	s_waitcnt lgkmcnt(0)
	v_add_f32_e32 v6, v24, v6
	ds_bpermute_b32 v5, v1, v22
	ds_bpermute_b32 v7, v1, v23
	;; [unrolled: 1-line block ×4, first 2 shown]
	s_waitcnt lgkmcnt(3)
	v_add_f32_e32 v5, v22, v5
	s_waitcnt lgkmcnt(2)
	v_add_f32_e32 v7, v23, v7
	s_waitcnt lgkmcnt(0)
	v_dual_add_f32 v1, v21, v1 :: v_dual_add_f32 v6, v6, v10
	ds_bpermute_b32 v9, v8, v5
	ds_bpermute_b32 v11, v8, v7
	;; [unrolled: 1-line block ×3, first 2 shown]
	s_waitcnt lgkmcnt(2)
	v_add_f32_e32 v5, v5, v9
	s_waitcnt lgkmcnt(1)
	v_add_f32_e32 v7, v7, v11
	ds_bpermute_b32 v9, v12, v6
	s_waitcnt lgkmcnt(1)
	v_add_f32_e32 v1, v1, v8
	ds_bpermute_b32 v8, v12, v5
	ds_bpermute_b32 v10, v12, v7
	s_waitcnt lgkmcnt(2)
	v_add_f32_e32 v6, v6, v9
	ds_bpermute_b32 v11, v12, v1
	v_xor_b32_e32 v12, 4, v0
	s_delay_alu instid0(VALU_DEP_1) | instskip(SKIP_3) | instid1(VALU_DEP_1)
	v_cmp_gt_i32_e32 vcc_lo, 32, v12
	s_waitcnt lgkmcnt(1)
	v_dual_cndmask_b32 v12, v0, v12 :: v_dual_add_f32 v7, v7, v10
	s_waitcnt lgkmcnt(0)
	v_dual_add_f32 v1, v1, v11 :: v_dual_lshlrev_b32 v12, 2, v12
	ds_bpermute_b32 v9, v12, v6
	v_add_f32_e32 v5, v5, v8
	ds_bpermute_b32 v10, v12, v7
	ds_bpermute_b32 v11, v12, v1
	s_waitcnt lgkmcnt(2)
	v_add_f32_e32 v6, v6, v9
	ds_bpermute_b32 v8, v12, v5
	v_xor_b32_e32 v12, 2, v0
	s_waitcnt lgkmcnt(2)
	v_add_f32_e32 v7, v7, v10
	s_delay_alu instid0(VALU_DEP_2) | instskip(SKIP_1) | instid1(VALU_DEP_1)
	v_cmp_gt_i32_e32 vcc_lo, 32, v12
	v_cndmask_b32_e32 v12, v0, v12, vcc_lo
	v_lshlrev_b32_e32 v12, 2, v12
	s_waitcnt lgkmcnt(0)
	v_add_f32_e32 v5, v5, v8
	ds_bpermute_b32 v9, v12, v6
	v_add_f32_e32 v8, v1, v11
	ds_bpermute_b32 v10, v12, v7
	ds_bpermute_b32 v1, v12, v5
	;; [unrolled: 1-line block ×3, first 2 shown]
	v_xor_b32_e32 v12, 1, v0
	s_delay_alu instid0(VALU_DEP_1) | instskip(SKIP_2) | instid1(VALU_DEP_2)
	v_cmp_gt_i32_e32 vcc_lo, 32, v12
	v_cndmask_b32_e32 v0, v0, v12, vcc_lo
	v_cmp_eq_u32_e32 vcc_lo, 63, v2
	v_lshlrev_b32_e32 v12, 2, v0
	s_waitcnt lgkmcnt(1)
	v_dual_add_f32 v0, v5, v1 :: v_dual_add_f32 v5, v7, v10
	s_waitcnt lgkmcnt(0)
	v_dual_add_f32 v1, v6, v9 :: v_dual_add_f32 v6, v8, v11
	ds_bpermute_b32 v7, v12, v0
	ds_bpermute_b32 v9, v12, v5
	ds_bpermute_b32 v8, v12, v1
	ds_bpermute_b32 v10, v12, v6
	s_and_b32 exec_lo, exec_lo, vcc_lo
	s_cbranch_execz .LBB44_10
; %bb.40:
	s_load_b64 s[0:1], s[0:1], 0x58
	s_waitcnt lgkmcnt(0)
	v_dual_add_f32 v0, v0, v7 :: v_dual_add_f32 v1, v1, v8
	v_add_f32_e32 v6, v6, v10
	v_cmp_eq_f32_e64 s3, s12, 0
	s_delay_alu instid0(VALU_DEP_3) | instskip(SKIP_4) | instid1(VALU_DEP_3)
	v_dual_mul_f32 v0, s16, v0 :: v_dual_mul_f32 v1, s16, v1
	v_add_f32_e32 v2, v5, v9
	v_lshlrev_b64 v[4:5], 4, v[3:4]
	v_mul_f32_e32 v3, s16, v6
	s_and_b32 vcc_lo, exec_lo, s3
	v_mul_f32_e32 v2, s16, v2
	s_cbranch_vccz .LBB44_42
; %bb.41:
	s_delay_alu instid0(VALU_DEP_3)
	v_add_co_u32 v6, vcc_lo, s0, v4
	v_add_co_ci_u32_e32 v7, vcc_lo, s1, v5, vcc_lo
	s_mov_b32 s2, 0
	global_store_b128 v[6:7], v[0:3], off
.LBB44_42:
	s_and_not1_b32 vcc_lo, exec_lo, s2
	s_cbranch_vccnz .LBB44_10
; %bb.43:
	v_add_co_u32 v8, vcc_lo, s0, v4
	v_add_co_ci_u32_e32 v9, vcc_lo, s1, v5, vcc_lo
	global_load_b128 v[4:7], v[8:9], off
	s_waitcnt vmcnt(0)
	v_dual_fmac_f32 v0, s12, v4 :: v_dual_fmac_f32 v1, s12, v5
	v_dual_fmac_f32 v2, s12, v6 :: v_dual_fmac_f32 v3, s12, v7
	global_store_b128 v[8:9], v[0:3], off
	s_nop 0
	s_sendmsg sendmsg(MSG_DEALLOC_VGPRS)
	s_endpgm
	.section	.rodata,"a",@progbits
	.p2align	6, 0x0
	.amdhsa_kernel _ZN9rocsparseL18bsrxmvn_4x4_kernelILj128ELj64EfllfffEEvT3_20rocsparse_direction_NS_24const_host_device_scalarIT1_EES1_PKS1_PKT2_SA_S7_PKT4_PKT5_S5_PT6_21rocsparse_index_base_b
		.amdhsa_group_segment_fixed_size 0
		.amdhsa_private_segment_fixed_size 0
		.amdhsa_kernarg_size 104
		.amdhsa_user_sgpr_count 15
		.amdhsa_user_sgpr_dispatch_ptr 0
		.amdhsa_user_sgpr_queue_ptr 0
		.amdhsa_user_sgpr_kernarg_segment_ptr 1
		.amdhsa_user_sgpr_dispatch_id 0
		.amdhsa_user_sgpr_private_segment_size 0
		.amdhsa_wavefront_size32 1
		.amdhsa_uses_dynamic_stack 0
		.amdhsa_enable_private_segment 0
		.amdhsa_system_sgpr_workgroup_id_x 1
		.amdhsa_system_sgpr_workgroup_id_y 0
		.amdhsa_system_sgpr_workgroup_id_z 0
		.amdhsa_system_sgpr_workgroup_info 0
		.amdhsa_system_vgpr_workitem_id 0
		.amdhsa_next_free_vgpr 101
		.amdhsa_next_free_sgpr 22
		.amdhsa_reserve_vcc 1
		.amdhsa_float_round_mode_32 0
		.amdhsa_float_round_mode_16_64 0
		.amdhsa_float_denorm_mode_32 3
		.amdhsa_float_denorm_mode_16_64 3
		.amdhsa_dx10_clamp 1
		.amdhsa_ieee_mode 1
		.amdhsa_fp16_overflow 0
		.amdhsa_workgroup_processor_mode 1
		.amdhsa_memory_ordered 1
		.amdhsa_forward_progress 0
		.amdhsa_shared_vgpr_count 0
		.amdhsa_exception_fp_ieee_invalid_op 0
		.amdhsa_exception_fp_denorm_src 0
		.amdhsa_exception_fp_ieee_div_zero 0
		.amdhsa_exception_fp_ieee_overflow 0
		.amdhsa_exception_fp_ieee_underflow 0
		.amdhsa_exception_fp_ieee_inexact 0
		.amdhsa_exception_int_div_zero 0
	.end_amdhsa_kernel
	.section	.text._ZN9rocsparseL18bsrxmvn_4x4_kernelILj128ELj64EfllfffEEvT3_20rocsparse_direction_NS_24const_host_device_scalarIT1_EES1_PKS1_PKT2_SA_S7_PKT4_PKT5_S5_PT6_21rocsparse_index_base_b,"axG",@progbits,_ZN9rocsparseL18bsrxmvn_4x4_kernelILj128ELj64EfllfffEEvT3_20rocsparse_direction_NS_24const_host_device_scalarIT1_EES1_PKS1_PKT2_SA_S7_PKT4_PKT5_S5_PT6_21rocsparse_index_base_b,comdat
.Lfunc_end44:
	.size	_ZN9rocsparseL18bsrxmvn_4x4_kernelILj128ELj64EfllfffEEvT3_20rocsparse_direction_NS_24const_host_device_scalarIT1_EES1_PKS1_PKT2_SA_S7_PKT4_PKT5_S5_PT6_21rocsparse_index_base_b, .Lfunc_end44-_ZN9rocsparseL18bsrxmvn_4x4_kernelILj128ELj64EfllfffEEvT3_20rocsparse_direction_NS_24const_host_device_scalarIT1_EES1_PKS1_PKT2_SA_S7_PKT4_PKT5_S5_PT6_21rocsparse_index_base_b
                                        ; -- End function
	.section	.AMDGPU.csdata,"",@progbits
; Kernel info:
; codeLenInByte = 4188
; NumSgprs: 24
; NumVgprs: 101
; ScratchSize: 0
; MemoryBound: 0
; FloatMode: 240
; IeeeMode: 1
; LDSByteSize: 0 bytes/workgroup (compile time only)
; SGPRBlocks: 2
; VGPRBlocks: 12
; NumSGPRsForWavesPerEU: 24
; NumVGPRsForWavesPerEU: 101
; Occupancy: 12
; WaveLimiterHint : 1
; COMPUTE_PGM_RSRC2:SCRATCH_EN: 0
; COMPUTE_PGM_RSRC2:USER_SGPR: 15
; COMPUTE_PGM_RSRC2:TRAP_HANDLER: 0
; COMPUTE_PGM_RSRC2:TGID_X_EN: 1
; COMPUTE_PGM_RSRC2:TGID_Y_EN: 0
; COMPUTE_PGM_RSRC2:TGID_Z_EN: 0
; COMPUTE_PGM_RSRC2:TIDIG_COMP_CNT: 0
	.section	.text._ZN9rocsparseL18bsrxmvn_4x4_kernelILj128ELj4EdlldddEEvT3_20rocsparse_direction_NS_24const_host_device_scalarIT1_EES1_PKS1_PKT2_SA_S7_PKT4_PKT5_S5_PT6_21rocsparse_index_base_b,"axG",@progbits,_ZN9rocsparseL18bsrxmvn_4x4_kernelILj128ELj4EdlldddEEvT3_20rocsparse_direction_NS_24const_host_device_scalarIT1_EES1_PKS1_PKT2_SA_S7_PKT4_PKT5_S5_PT6_21rocsparse_index_base_b,comdat
	.globl	_ZN9rocsparseL18bsrxmvn_4x4_kernelILj128ELj4EdlldddEEvT3_20rocsparse_direction_NS_24const_host_device_scalarIT1_EES1_PKS1_PKT2_SA_S7_PKT4_PKT5_S5_PT6_21rocsparse_index_base_b ; -- Begin function _ZN9rocsparseL18bsrxmvn_4x4_kernelILj128ELj4EdlldddEEvT3_20rocsparse_direction_NS_24const_host_device_scalarIT1_EES1_PKS1_PKT2_SA_S7_PKT4_PKT5_S5_PT6_21rocsparse_index_base_b
	.p2align	8
	.type	_ZN9rocsparseL18bsrxmvn_4x4_kernelILj128ELj4EdlldddEEvT3_20rocsparse_direction_NS_24const_host_device_scalarIT1_EES1_PKS1_PKT2_SA_S7_PKT4_PKT5_S5_PT6_21rocsparse_index_base_b,@function
_ZN9rocsparseL18bsrxmvn_4x4_kernelILj128ELj4EdlldddEEvT3_20rocsparse_direction_NS_24const_host_device_scalarIT1_EES1_PKS1_PKT2_SA_S7_PKT4_PKT5_S5_PT6_21rocsparse_index_base_b: ; @_ZN9rocsparseL18bsrxmvn_4x4_kernelILj128ELj4EdlldddEEvT3_20rocsparse_direction_NS_24const_host_device_scalarIT1_EES1_PKS1_PKT2_SA_S7_PKT4_PKT5_S5_PT6_21rocsparse_index_base_b
; %bb.0:
	s_clause 0x2
	s_load_b64 s[12:13], s[0:1], 0x60
	s_load_b128 s[4:7], s[0:1], 0x10
	s_load_b64 s[2:3], s[0:1], 0x50
	s_waitcnt lgkmcnt(0)
	s_bitcmp1_b32 s13, 0
	v_dual_mov_b32 v2, s4 :: v_dual_mov_b32 v3, s5
	s_cselect_b32 s8, -1, 0
	s_delay_alu instid0(SALU_CYCLE_1)
	s_and_b32 vcc_lo, exec_lo, s8
	s_xor_b32 s8, s8, -1
	s_cbranch_vccnz .LBB45_2
; %bb.1:
	v_dual_mov_b32 v1, s4 :: v_dual_mov_b32 v2, s5
	flat_load_b64 v[2:3], v[1:2]
.LBB45_2:
	v_dual_mov_b32 v9, s3 :: v_dual_mov_b32 v8, s2
	s_and_not1_b32 vcc_lo, exec_lo, s8
	s_cbranch_vccnz .LBB45_4
; %bb.3:
	v_dual_mov_b32 v5, s3 :: v_dual_mov_b32 v4, s2
	flat_load_b64 v[8:9], v[4:5]
.LBB45_4:
	s_waitcnt vmcnt(0) lgkmcnt(0)
	v_cmp_neq_f64_e32 vcc_lo, 0, v[2:3]
	v_cmp_neq_f64_e64 s2, 1.0, v[8:9]
	s_delay_alu instid0(VALU_DEP_1) | instskip(NEXT) | instid1(SALU_CYCLE_1)
	s_or_b32 s2, vcc_lo, s2
	s_and_saveexec_b32 s3, s2
	s_cbranch_execz .LBB45_10
; %bb.5:
	s_load_b64 s[2:3], s[0:1], 0x20
	v_lshrrev_b32_e32 v1, 2, v0
	v_mov_b32_e32 v5, 0
	s_mov_b32 s4, 0
	s_delay_alu instid0(VALU_DEP_2)
	v_lshl_or_b32 v4, s15, 5, v1
	s_waitcnt lgkmcnt(0)
	s_cmp_lg_u64 s[2:3], 0
	s_cbranch_scc0 .LBB45_11
; %bb.6:
	s_delay_alu instid0(VALU_DEP_1) | instskip(SKIP_2) | instid1(SALU_CYCLE_1)
	v_cmp_gt_i64_e32 vcc_lo, s[6:7], v[4:5]
	s_mov_b32 s5, 0
                                        ; implicit-def: $vgpr10_vgpr11
	s_and_saveexec_b32 s6, vcc_lo
	s_xor_b32 s6, exec_lo, s6
                                        ; implicit-def: $sgpr14_sgpr15
	s_cbranch_execz .LBB45_8
; %bb.7:
	v_lshlrev_b64 v[6:7], 3, v[4:5]
	s_mov_b32 s4, exec_lo
	s_mov_b32 s15, 0
	s_delay_alu instid0(VALU_DEP_1) | instskip(NEXT) | instid1(VALU_DEP_2)
	v_add_co_u32 v6, vcc_lo, s2, v6
	v_add_co_ci_u32_e32 v7, vcc_lo, s3, v7, vcc_lo
	global_load_b64 v[6:7], v[6:7], off
	s_waitcnt vmcnt(0)
	v_sub_co_u32 v10, vcc_lo, v6, s12
	v_subrev_co_ci_u32_e32 v11, vcc_lo, 0, v7, vcc_lo
.LBB45_8:
	s_or_b32 exec_lo, exec_lo, s6
	s_delay_alu instid0(SALU_CYCLE_1)
	s_and_b32 vcc_lo, exec_lo, s5
	s_cbranch_vccnz .LBB45_12
.LBB45_9:
	s_and_b32 exec_lo, exec_lo, s4
	s_cbranch_execnz .LBB45_15
.LBB45_10:
	s_nop 0
	s_sendmsg sendmsg(MSG_DEALLOC_VGPRS)
	s_endpgm
.LBB45_11:
                                        ; implicit-def: $vgpr10_vgpr11
                                        ; implicit-def: $sgpr14_sgpr15
	s_cbranch_execz .LBB45_9
.LBB45_12:
	s_load_b64 s[2:3], s[0:1], 0x0
                                        ; implicit-def: $vgpr10_vgpr11
	s_waitcnt lgkmcnt(0)
	v_cmp_gt_i64_e32 vcc_lo, s[2:3], v[4:5]
	s_and_saveexec_b32 s2, vcc_lo
                                        ; implicit-def: $sgpr14_sgpr15
; %bb.13:
	v_dual_mov_b32 v11, v5 :: v_dual_mov_b32 v10, v4
	s_mov_b32 s15, 0
	s_or_b32 s4, s4, exec_lo
; %bb.14:
	s_or_b32 exec_lo, exec_lo, s2
	s_delay_alu instid0(SALU_CYCLE_1)
	s_and_b32 exec_lo, exec_lo, s4
	s_cbranch_execz .LBB45_10
.LBB45_15:
	s_load_b256 s[4:11], s[0:1], 0x28
	v_lshlrev_b64 v[4:5], 3, v[10:11]
	v_and_b32_e32 v32, 3, v0
	s_load_b32 s3, s[0:1], 0x8
	s_waitcnt lgkmcnt(0)
	s_delay_alu instid0(VALU_DEP_2) | instskip(NEXT) | instid1(VALU_DEP_3)
	v_add_co_u32 v6, vcc_lo, s4, v4
	v_add_co_ci_u32_e32 v7, vcc_lo, s5, v5, vcc_lo
	v_add_co_u32 v1, vcc_lo, s6, v4
	v_add_co_ci_u32_e32 v4, vcc_lo, s7, v5, vcc_lo
	s_delay_alu instid0(VALU_DEP_4)
	v_add_co_u32 v12, vcc_lo, v6, 8
	global_load_b64 v[20:21], v[6:7], off
	v_add_co_ci_u32_e32 v5, vcc_lo, 0, v7, vcc_lo
	s_cmp_eq_u64 s[6:7], 0
	s_load_b64 s[4:5], s[0:1], 0x48
	s_cselect_b32 vcc_lo, -1, 0
	s_cmp_eq_u32 s3, 1
	v_dual_cndmask_b32 v5, v4, v5 :: v_dual_cndmask_b32 v4, v1, v12
	global_load_b64 v[4:5], v[4:5], off
	s_waitcnt vmcnt(1)
	v_sub_co_u32 v0, vcc_lo, v20, s12
	v_subrev_co_ci_u32_e32 v1, vcc_lo, s15, v21, vcc_lo
	s_delay_alu instid0(VALU_DEP_2) | instskip(NEXT) | instid1(VALU_DEP_2)
	v_add_co_u32 v0, vcc_lo, v0, v32
	v_add_co_ci_u32_e32 v1, vcc_lo, 0, v1, vcc_lo
	s_delay_alu instid0(VALU_DEP_1) | instskip(SKIP_3) | instid1(VALU_DEP_3)
	v_lshlrev_b64 v[6:7], 7, v[0:1]
	s_waitcnt vmcnt(0)
	v_sub_co_u32 v4, vcc_lo, v4, s12
	v_subrev_co_ci_u32_e32 v5, vcc_lo, s15, v5, vcc_lo
	v_add_co_u32 v6, vcc_lo, s10, v6
	s_delay_alu instid0(VALU_DEP_2)
	v_cmp_lt_i64_e64 s2, v[0:1], v[4:5]
	v_add_co_ci_u32_e32 v7, vcc_lo, s11, v7, vcc_lo
	s_cbranch_scc1 .LBB45_27
; %bb.16:
	v_mov_b32_e32 v12, 0
	v_mov_b32_e32 v13, 0
	s_delay_alu instid0(VALU_DEP_1)
	v_dual_mov_b32 v15, v13 :: v_dual_mov_b32 v14, v12
	v_dual_mov_b32 v19, v13 :: v_dual_mov_b32 v18, v12
	;; [unrolled: 1-line block ×3, first 2 shown]
	s_and_saveexec_b32 s6, s2
	s_cbranch_execz .LBB45_26
; %bb.17:
	v_or_b32_e32 v12, 4, v32
	v_not_b32_e32 v15, v20
	v_not_b32_e32 v14, v21
	s_mov_b32 s10, 0
	s_mov_b32 s7, exec_lo
	v_sub_co_u32 v12, s3, v12, s12
	s_delay_alu instid0(VALU_DEP_1) | instskip(SKIP_1) | instid1(VALU_DEP_3)
	v_sub_co_ci_u32_e64 v13, null, 0, s15, s3
	v_sub_co_u32 v16, s3, s12, v32
	v_add_co_u32 v12, vcc_lo, v12, v20
	s_delay_alu instid0(VALU_DEP_3) | instskip(SKIP_2) | instid1(VALU_DEP_3)
	v_add_co_ci_u32_e32 v13, vcc_lo, v13, v21, vcc_lo
	v_sub_co_ci_u32_e64 v17, null, s15, 0, s3
	v_mov_b32_e32 v23, v1
	v_cmp_gt_i64_e32 vcc_lo, v[12:13], v[4:5]
	v_dual_mov_b32 v25, v7 :: v_dual_mov_b32 v24, v6
	v_dual_cndmask_b32 v13, v5, v13 :: v_dual_cndmask_b32 v12, v4, v12
	v_add_co_u32 v15, vcc_lo, v16, v15
	v_add_co_ci_u32_e32 v14, vcc_lo, v17, v14, vcc_lo
	v_mov_b32_e32 v16, 0
	s_delay_alu instid0(VALU_DEP_3) | instskip(SKIP_1) | instid1(VALU_DEP_4)
	v_add_co_u32 v26, vcc_lo, v15, v12
	v_mov_b32_e32 v17, 0
	v_add_co_ci_u32_e32 v27, vcc_lo, v14, v13, vcc_lo
	s_delay_alu instid0(VALU_DEP_3) | instskip(SKIP_1) | instid1(VALU_DEP_4)
	v_lshrrev_b32_e32 v12, 2, v26
	v_mov_b32_e32 v14, v16
	v_dual_mov_b32 v22, v0 :: v_dual_mov_b32 v15, v17
	s_delay_alu instid0(VALU_DEP_3) | instskip(SKIP_1) | instid1(VALU_DEP_2)
	v_dual_mov_b32 v19, v17 :: v_dual_add_nc_u32 v12, 1, v12
	v_mov_b32_e32 v18, v16
	v_and_b32_e32 v28, 3, v12
	v_dual_mov_b32 v12, v16 :: v_dual_mov_b32 v13, v17
	s_delay_alu instid0(VALU_DEP_2)
	v_cmpx_ne_u32_e32 0, v28
	s_cbranch_execz .LBB45_21
; %bb.18:
	v_lshlrev_b64 v[14:15], 3, v[0:1]
	v_dual_mov_b32 v29, 0 :: v_dual_mov_b32 v12, 0
	v_dual_mov_b32 v13, 0 :: v_dual_lshlrev_b32 v28, 4, v28
	v_dual_mov_b32 v25, v7 :: v_dual_mov_b32 v24, v6
	s_delay_alu instid0(VALU_DEP_4)
	v_add_co_u32 v30, vcc_lo, s8, v14
	v_add_co_ci_u32_e32 v31, vcc_lo, s9, v15, vcc_lo
	v_dual_mov_b32 v23, v1 :: v_dual_mov_b32 v22, v0
	v_dual_mov_b32 v15, v13 :: v_dual_mov_b32 v14, v12
	;; [unrolled: 1-line block ×4, first 2 shown]
.LBB45_19:                              ; =>This Inner Loop Header: Depth=1
	global_load_b64 v[61:62], v[30:31], off
	s_clause 0x6
	global_load_b128 v[33:36], v[24:25], off offset:48
	global_load_b128 v[37:40], v[24:25], off offset:32
	;; [unrolled: 1-line block ×3, first 2 shown]
	global_load_b128 v[45:48], v[24:25], off
	global_load_b128 v[49:52], v[24:25], off offset:112
	global_load_b128 v[53:56], v[24:25], off offset:96
	;; [unrolled: 1-line block ×3, first 2 shown]
	v_add_co_u32 v30, s3, v30, 32
	s_delay_alu instid0(VALU_DEP_1) | instskip(SKIP_3) | instid1(VALU_DEP_1)
	v_add_co_ci_u32_e64 v31, s3, 0, v31, s3
	s_waitcnt vmcnt(7)
	v_sub_co_u32 v61, vcc_lo, v61, s12
	v_subrev_co_ci_u32_e32 v62, vcc_lo, s15, v62, vcc_lo
	v_lshlrev_b64 v[61:62], 5, v[61:62]
	s_waitcnt lgkmcnt(0)
	s_delay_alu instid0(VALU_DEP_1) | instskip(NEXT) | instid1(VALU_DEP_2)
	v_add_co_u32 v69, vcc_lo, s4, v61
	v_add_co_ci_u32_e32 v70, vcc_lo, s5, v62, vcc_lo
	global_load_b128 v[61:64], v[24:25], off offset:64
	s_clause 0x1
	global_load_b128 v[65:68], v[69:70], off
	global_load_b128 v[69:72], v[69:70], off offset:16
	v_add_co_u32 v24, vcc_lo, 0x200, v24
	v_add_co_ci_u32_e32 v25, vcc_lo, 0, v25, vcc_lo
	v_add_co_u32 v28, vcc_lo, v28, -16
	v_add_co_ci_u32_e32 v29, vcc_lo, -1, v29, vcc_lo
	v_add_co_u32 v22, vcc_lo, v22, 4
	v_add_co_ci_u32_e32 v23, vcc_lo, 0, v23, vcc_lo
	s_delay_alu instid0(VALU_DEP_3)
	v_cmp_eq_u64_e32 vcc_lo, 0, v[28:29]
	s_or_b32 s10, vcc_lo, s10
	s_waitcnt vmcnt(1)
	v_fma_f64 v[16:17], v[45:46], v[65:66], v[16:17]
	v_fma_f64 v[18:19], v[37:38], v[65:66], v[18:19]
	;; [unrolled: 1-line block ×4, first 2 shown]
	s_delay_alu instid0(VALU_DEP_4) | instskip(NEXT) | instid1(VALU_DEP_4)
	v_fma_f64 v[16:17], v[47:48], v[67:68], v[16:17]
	v_fma_f64 v[18:19], v[39:40], v[67:68], v[18:19]
	s_delay_alu instid0(VALU_DEP_4) | instskip(NEXT) | instid1(VALU_DEP_4)
	v_fma_f64 v[14:15], v[63:64], v[67:68], v[14:15]
	v_fma_f64 v[12:13], v[55:56], v[67:68], v[12:13]
	s_waitcnt vmcnt(0)
	s_delay_alu instid0(VALU_DEP_4) | instskip(NEXT) | instid1(VALU_DEP_4)
	v_fma_f64 v[16:17], v[41:42], v[69:70], v[16:17]
	v_fma_f64 v[18:19], v[33:34], v[69:70], v[18:19]
	s_delay_alu instid0(VALU_DEP_4) | instskip(NEXT) | instid1(VALU_DEP_4)
	v_fma_f64 v[14:15], v[57:58], v[69:70], v[14:15]
	v_fma_f64 v[12:13], v[49:50], v[69:70], v[12:13]
	;; [unrolled: 3-line block ×4, first 2 shown]
	s_and_not1_b32 exec_lo, exec_lo, s10
	s_cbranch_execnz .LBB45_19
; %bb.20:
	s_or_b32 exec_lo, exec_lo, s10
.LBB45_21:
	s_delay_alu instid0(SALU_CYCLE_1) | instskip(NEXT) | instid1(SALU_CYCLE_1)
	s_or_b32 exec_lo, exec_lo, s7
	s_mov_b32 s7, exec_lo
	v_cmpx_lt_u64_e32 11, v[26:27]
	s_cbranch_execz .LBB45_25
; %bb.22:
	v_lshlrev_b64 v[26:27], 3, v[22:23]
	s_mov_b32 s10, 0
	s_delay_alu instid0(VALU_DEP_1) | instskip(NEXT) | instid1(VALU_DEP_2)
	v_add_co_u32 v26, vcc_lo, v26, s8
	v_add_co_ci_u32_e32 v27, vcc_lo, s9, v27, vcc_lo
	s_delay_alu instid0(VALU_DEP_2) | instskip(NEXT) | instid1(VALU_DEP_2)
	v_add_co_u32 v26, vcc_lo, v26, 64
	v_add_co_ci_u32_e32 v27, vcc_lo, 0, v27, vcc_lo
.LBB45_23:                              ; =>This Inner Loop Header: Depth=1
	s_clause 0x2
	global_load_b64 v[61:62], v[26:27], off offset:-64
	global_load_b64 v[97:98], v[26:27], off offset:-32
	global_load_b64 v[137:138], v[26:27], off
	s_clause 0x7
	global_load_b128 v[28:31], v[24:25], off offset:48
	global_load_b128 v[33:36], v[24:25], off offset:32
	;; [unrolled: 1-line block ×3, first 2 shown]
	global_load_b128 v[41:44], v[24:25], off
	global_load_b128 v[45:48], v[24:25], off offset:112
	global_load_b128 v[49:52], v[24:25], off offset:96
	;; [unrolled: 1-line block ×4, first 2 shown]
	global_load_b64 v[145:146], v[26:27], off offset:32
	v_add_co_u32 v26, s3, 0x80, v26
	s_delay_alu instid0(VALU_DEP_1) | instskip(SKIP_3) | instid1(VALU_DEP_1)
	v_add_co_ci_u32_e64 v27, s3, 0, v27, s3
	s_waitcnt vmcnt(11)
	v_sub_co_u32 v61, vcc_lo, v61, s12
	v_subrev_co_ci_u32_e32 v62, vcc_lo, s15, v62, vcc_lo
	v_lshlrev_b64 v[61:62], 5, v[61:62]
	s_waitcnt lgkmcnt(0)
	s_delay_alu instid0(VALU_DEP_1) | instskip(NEXT) | instid1(VALU_DEP_2)
	v_add_co_u32 v65, vcc_lo, s4, v61
	v_add_co_ci_u32_e32 v66, vcc_lo, s5, v62, vcc_lo
	s_waitcnt vmcnt(10)
	v_sub_co_u32 v97, vcc_lo, v97, s12
	v_subrev_co_ci_u32_e32 v98, vcc_lo, s15, v98, vcc_lo
	s_clause 0x1
	global_load_b128 v[61:64], v[65:66], off
	global_load_b128 v[65:68], v[65:66], off offset:16
	s_clause 0x6
	global_load_b128 v[69:72], v[24:25], off offset:560
	global_load_b128 v[73:76], v[24:25], off offset:544
	;; [unrolled: 1-line block ×7, first 2 shown]
	v_lshlrev_b64 v[97:98], 5, v[97:98]
	s_delay_alu instid0(VALU_DEP_1) | instskip(NEXT) | instid1(VALU_DEP_2)
	v_add_co_u32 v105, vcc_lo, s4, v97
	v_add_co_ci_u32_e32 v106, vcc_lo, s5, v98, vcc_lo
	s_waitcnt vmcnt(18)
	v_sub_co_u32 v137, vcc_lo, v137, s12
	global_load_b128 v[97:100], v[24:25], off offset:576
	s_clause 0x1
	global_load_b128 v[101:104], v[105:106], off
	global_load_b128 v[105:108], v[105:106], off offset:16
	s_clause 0x6
	global_load_b128 v[109:112], v[24:25], off offset:1072
	global_load_b128 v[113:116], v[24:25], off offset:1056
	;; [unrolled: 1-line block ×7, first 2 shown]
	v_subrev_co_ci_u32_e32 v138, vcc_lo, s15, v138, vcc_lo
	s_delay_alu instid0(VALU_DEP_1) | instskip(NEXT) | instid1(VALU_DEP_1)
	v_lshlrev_b64 v[137:138], 5, v[137:138]
	v_add_co_u32 v147, vcc_lo, s4, v137
	s_delay_alu instid0(VALU_DEP_2)
	v_add_co_ci_u32_e32 v148, vcc_lo, s5, v138, vcc_lo
	global_load_b128 v[137:140], v[24:25], off offset:1088
	global_load_b128 v[141:144], v[147:148], off
	s_waitcnt vmcnt(20)
	v_fma_f64 v[16:17], v[41:42], v[61:62], v[16:17]
	v_fma_f64 v[18:19], v[33:34], v[61:62], v[18:19]
	;; [unrolled: 1-line block ×4, first 2 shown]
	v_sub_co_u32 v61, vcc_lo, v145, s12
	v_subrev_co_ci_u32_e32 v62, vcc_lo, s15, v146, vcc_lo
	v_fma_f64 v[16:17], v[43:44], v[63:64], v[16:17]
	v_fma_f64 v[18:19], v[35:36], v[63:64], v[18:19]
	;; [unrolled: 1-line block ×4, first 2 shown]
	global_load_b128 v[12:15], v[147:148], off offset:16
	s_waitcnt vmcnt(20)
	v_fma_f64 v[37:38], v[37:38], v[65:66], v[16:17]
	v_fma_f64 v[28:29], v[28:29], v[65:66], v[18:19]
	;; [unrolled: 1-line block ×4, first 2 shown]
	s_clause 0x4
	global_load_b128 v[16:19], v[24:25], off offset:1584
	global_load_b128 v[33:36], v[24:25], off offset:1568
	;; [unrolled: 1-line block ×5, first 2 shown]
	v_fma_f64 v[63:64], v[39:40], v[67:68], v[37:38]
	v_fma_f64 v[65:66], v[30:31], v[67:68], v[28:29]
	;; [unrolled: 1-line block ×4, first 2 shown]
	v_lshlrev_b64 v[28:29], 5, v[61:62]
	s_delay_alu instid0(VALU_DEP_1) | instskip(NEXT) | instid1(VALU_DEP_2)
	v_add_co_u32 v61, vcc_lo, s4, v28
	v_add_co_ci_u32_e32 v62, vcc_lo, s5, v29, vcc_lo
	global_load_b128 v[28:31], v[24:25], off offset:1632
	global_load_b128 v[37:40], v[61:62], off
	v_add_co_u32 v22, vcc_lo, v22, 16
	v_add_co_ci_u32_e32 v23, vcc_lo, 0, v23, vcc_lo
	s_waitcnt vmcnt(18)
	v_fma_f64 v[47:48], v[81:82], v[101:102], v[63:64]
	v_fma_f64 v[55:56], v[73:74], v[101:102], v[65:66]
	;; [unrolled: 1-line block ×4, first 2 shown]
	s_delay_alu instid0(VALU_DEP_4) | instskip(NEXT) | instid1(VALU_DEP_4)
	v_fma_f64 v[65:66], v[83:84], v[103:104], v[47:48]
	v_fma_f64 v[67:68], v[75:76], v[103:104], v[55:56]
	s_delay_alu instid0(VALU_DEP_4) | instskip(NEXT) | instid1(VALU_DEP_4)
	v_fma_f64 v[73:74], v[99:100], v[103:104], v[53:54]
	v_fma_f64 v[75:76], v[91:92], v[103:104], v[45:46]
	s_clause 0x1
	global_load_b128 v[45:48], v[24:25], off offset:1648
	global_load_b128 v[53:56], v[24:25], off offset:1616
	;; [unrolled: 1-line block ×3, first 2 shown]
	v_add_co_u32 v24, vcc_lo, 0x800, v24
	v_add_co_ci_u32_e32 v25, vcc_lo, 0, v25, vcc_lo
	v_cmp_ge_i64_e32 vcc_lo, v[22:23], v[4:5]
	s_or_b32 s10, vcc_lo, s10
	s_waitcnt vmcnt(20)
	v_fma_f64 v[65:66], v[77:78], v[105:106], v[65:66]
	v_fma_f64 v[67:68], v[69:70], v[105:106], v[67:68]
	;; [unrolled: 1-line block ×4, first 2 shown]
	s_delay_alu instid0(VALU_DEP_4) | instskip(NEXT) | instid1(VALU_DEP_4)
	v_fma_f64 v[65:66], v[79:80], v[107:108], v[65:66]
	v_fma_f64 v[67:68], v[71:72], v[107:108], v[67:68]
	s_delay_alu instid0(VALU_DEP_4) | instskip(NEXT) | instid1(VALU_DEP_4)
	v_fma_f64 v[69:70], v[95:96], v[107:108], v[69:70]
	v_fma_f64 v[71:72], v[87:88], v[107:108], v[73:74]
	s_waitcnt vmcnt(11)
	s_delay_alu instid0(VALU_DEP_4) | instskip(NEXT) | instid1(VALU_DEP_4)
	v_fma_f64 v[65:66], v[121:122], v[141:142], v[65:66]
	v_fma_f64 v[67:68], v[113:114], v[141:142], v[67:68]
	s_delay_alu instid0(VALU_DEP_4) | instskip(NEXT) | instid1(VALU_DEP_4)
	v_fma_f64 v[69:70], v[137:138], v[141:142], v[69:70]
	v_fma_f64 v[71:72], v[129:130], v[141:142], v[71:72]
	s_delay_alu instid0(VALU_DEP_4) | instskip(NEXT) | instid1(VALU_DEP_4)
	v_fma_f64 v[65:66], v[123:124], v[143:144], v[65:66]
	v_fma_f64 v[67:68], v[115:116], v[143:144], v[67:68]
	s_delay_alu instid0(VALU_DEP_4) | instskip(NEXT) | instid1(VALU_DEP_4)
	v_fma_f64 v[69:70], v[139:140], v[143:144], v[69:70]
	v_fma_f64 v[71:72], v[131:132], v[143:144], v[71:72]
	s_waitcnt vmcnt(10)
	s_delay_alu instid0(VALU_DEP_4) | instskip(NEXT) | instid1(VALU_DEP_4)
	v_fma_f64 v[65:66], v[117:118], v[12:13], v[65:66]
	v_fma_f64 v[67:68], v[109:110], v[12:13], v[67:68]
	s_delay_alu instid0(VALU_DEP_4) | instskip(NEXT) | instid1(VALU_DEP_4)
	v_fma_f64 v[69:70], v[133:134], v[12:13], v[69:70]
	v_fma_f64 v[12:13], v[125:126], v[12:13], v[71:72]
	;; [unrolled: 13-line block ×4, first 2 shown]
	s_delay_alu instid0(VALU_DEP_4) | instskip(NEXT) | instid1(VALU_DEP_4)
	v_fma_f64 v[16:17], v[43:44], v[63:64], v[14:15]
	v_fma_f64 v[18:19], v[18:19], v[63:64], v[28:29]
	s_delay_alu instid0(VALU_DEP_4) | instskip(NEXT) | instid1(VALU_DEP_4)
	v_fma_f64 v[14:15], v[55:56], v[63:64], v[30:31]
	v_fma_f64 v[12:13], v[47:48], v[63:64], v[12:13]
	s_and_not1_b32 exec_lo, exec_lo, s10
	s_cbranch_execnz .LBB45_23
; %bb.24:
	s_or_b32 exec_lo, exec_lo, s10
.LBB45_25:
	s_delay_alu instid0(SALU_CYCLE_1)
	s_or_b32 exec_lo, exec_lo, s7
.LBB45_26:
	s_delay_alu instid0(SALU_CYCLE_1)
	s_or_b32 exec_lo, exec_lo, s6
	s_cbranch_execz .LBB45_28
	s_branch .LBB45_39
.LBB45_27:
                                        ; implicit-def: $vgpr12_vgpr13
                                        ; implicit-def: $vgpr14_vgpr15
                                        ; implicit-def: $vgpr18_vgpr19
                                        ; implicit-def: $vgpr16_vgpr17
.LBB45_28:
	v_mov_b32_e32 v12, 0
	v_mov_b32_e32 v13, 0
	s_delay_alu instid0(VALU_DEP_1)
	v_dual_mov_b32 v15, v13 :: v_dual_mov_b32 v14, v12
	v_dual_mov_b32 v19, v13 :: v_dual_mov_b32 v18, v12
	;; [unrolled: 1-line block ×3, first 2 shown]
	s_and_saveexec_b32 s3, s2
	s_cbranch_execz .LBB45_38
; %bb.29:
	v_or_b32_e32 v12, 4, v32
	v_not_b32_e32 v15, v20
	v_not_b32_e32 v14, v21
	s_mov_b32 s7, 0
	s_mov_b32 s6, exec_lo
	v_sub_co_u32 v12, s2, v12, s12
	s_delay_alu instid0(VALU_DEP_1) | instskip(SKIP_1) | instid1(VALU_DEP_3)
	v_sub_co_ci_u32_e64 v13, null, 0, s15, s2
	v_sub_co_u32 v16, s2, s12, v32
	v_add_co_u32 v12, vcc_lo, v12, v20
	s_delay_alu instid0(VALU_DEP_3) | instskip(SKIP_1) | instid1(VALU_DEP_2)
	v_add_co_ci_u32_e32 v13, vcc_lo, v13, v21, vcc_lo
	v_sub_co_ci_u32_e64 v17, null, s15, 0, s2
	v_cmp_gt_i64_e32 vcc_lo, v[12:13], v[4:5]
	v_dual_cndmask_b32 v13, v5, v13 :: v_dual_cndmask_b32 v12, v4, v12
	v_add_co_u32 v15, vcc_lo, v16, v15
	s_delay_alu instid0(VALU_DEP_4) | instskip(SKIP_1) | instid1(VALU_DEP_3)
	v_add_co_ci_u32_e32 v14, vcc_lo, v17, v14, vcc_lo
	v_mov_b32_e32 v16, 0
	v_add_co_u32 v20, vcc_lo, v15, v12
	s_delay_alu instid0(VALU_DEP_3) | instskip(SKIP_1) | instid1(VALU_DEP_3)
	v_add_co_ci_u32_e32 v21, vcc_lo, v14, v13, vcc_lo
	v_mov_b32_e32 v17, 0
	v_lshrrev_b32_e32 v12, 2, v20
	s_delay_alu instid0(VALU_DEP_2) | instskip(NEXT) | instid1(VALU_DEP_2)
	v_dual_mov_b32 v14, v16 :: v_dual_mov_b32 v19, v17
	v_add_nc_u32_e32 v12, 1, v12
	v_dual_mov_b32 v18, v16 :: v_dual_mov_b32 v15, v17
	s_delay_alu instid0(VALU_DEP_2) | instskip(SKIP_1) | instid1(VALU_DEP_2)
	v_and_b32_e32 v22, 3, v12
	v_dual_mov_b32 v12, v16 :: v_dual_mov_b32 v13, v17
	v_cmpx_ne_u32_e32 0, v22
	s_cbranch_execz .LBB45_33
; %bb.30:
	v_lshlrev_b64 v[14:15], 3, v[0:1]
	v_dual_mov_b32 v23, 0 :: v_dual_mov_b32 v12, 0
	v_dual_mov_b32 v13, 0 :: v_dual_lshlrev_b32 v22, 4, v22
	s_delay_alu instid0(VALU_DEP_3) | instskip(NEXT) | instid1(VALU_DEP_4)
	v_add_co_u32 v24, vcc_lo, s8, v14
	v_add_co_ci_u32_e32 v25, vcc_lo, s9, v15, vcc_lo
	s_delay_alu instid0(VALU_DEP_3)
	v_dual_mov_b32 v15, v13 :: v_dual_mov_b32 v14, v12
	v_dual_mov_b32 v19, v13 :: v_dual_mov_b32 v18, v12
	;; [unrolled: 1-line block ×3, first 2 shown]
.LBB45_31:                              ; =>This Inner Loop Header: Depth=1
	global_load_b64 v[30:31], v[24:25], off
	global_load_b128 v[26:29], v[6:7], off offset:16
	v_add_co_u32 v24, s2, v24, 32
	s_delay_alu instid0(VALU_DEP_1) | instskip(SKIP_3) | instid1(VALU_DEP_1)
	v_add_co_ci_u32_e64 v25, s2, 0, v25, s2
	s_waitcnt vmcnt(1)
	v_sub_co_u32 v30, vcc_lo, v30, s12
	v_subrev_co_ci_u32_e32 v31, vcc_lo, s15, v31, vcc_lo
	v_lshlrev_b64 v[30:31], 5, v[30:31]
	s_waitcnt lgkmcnt(0)
	s_delay_alu instid0(VALU_DEP_1) | instskip(NEXT) | instid1(VALU_DEP_2)
	v_add_co_u32 v30, vcc_lo, s4, v30
	v_add_co_ci_u32_e32 v31, vcc_lo, s5, v31, vcc_lo
	global_load_b128 v[33:36], v[6:7], off
	s_clause 0x1
	global_load_b128 v[37:40], v[30:31], off
	global_load_b128 v[41:44], v[30:31], off offset:16
	s_clause 0x5
	global_load_b128 v[45:48], v[6:7], off offset:32
	global_load_b128 v[49:52], v[6:7], off offset:48
	;; [unrolled: 1-line block ×6, first 2 shown]
	v_add_co_u32 v6, vcc_lo, 0x200, v6
	v_add_co_ci_u32_e32 v7, vcc_lo, 0, v7, vcc_lo
	v_add_co_u32 v22, vcc_lo, v22, -16
	v_add_co_ci_u32_e32 v23, vcc_lo, -1, v23, vcc_lo
	v_add_co_u32 v0, vcc_lo, v0, 4
	v_add_co_ci_u32_e32 v1, vcc_lo, 0, v1, vcc_lo
	s_delay_alu instid0(VALU_DEP_3)
	v_cmp_eq_u64_e32 vcc_lo, 0, v[22:23]
	s_or_b32 s7, vcc_lo, s7
	s_waitcnt vmcnt(7)
	v_fma_f64 v[16:17], v[33:34], v[37:38], v[16:17]
	v_fma_f64 v[18:19], v[35:36], v[37:38], v[18:19]
	;; [unrolled: 1-line block ×4, first 2 shown]
	s_waitcnt vmcnt(5)
	s_delay_alu instid0(VALU_DEP_4) | instskip(NEXT) | instid1(VALU_DEP_4)
	v_fma_f64 v[16:17], v[45:46], v[39:40], v[16:17]
	v_fma_f64 v[18:19], v[47:48], v[39:40], v[18:19]
	s_waitcnt vmcnt(4)
	s_delay_alu instid0(VALU_DEP_4) | instskip(NEXT) | instid1(VALU_DEP_4)
	v_fma_f64 v[14:15], v[49:50], v[39:40], v[14:15]
	v_fma_f64 v[12:13], v[51:52], v[39:40], v[12:13]
	;; [unrolled: 4-line block ×6, first 2 shown]
	s_and_not1_b32 exec_lo, exec_lo, s7
	s_cbranch_execnz .LBB45_31
; %bb.32:
	s_or_b32 exec_lo, exec_lo, s7
.LBB45_33:
	s_delay_alu instid0(SALU_CYCLE_1) | instskip(NEXT) | instid1(SALU_CYCLE_1)
	s_or_b32 exec_lo, exec_lo, s6
	s_mov_b32 s6, exec_lo
	v_cmpx_lt_u64_e32 11, v[20:21]
	s_cbranch_execz .LBB45_37
; %bb.34:
	v_lshlrev_b64 v[20:21], 3, v[0:1]
	s_mov_b32 s7, 0
	s_delay_alu instid0(VALU_DEP_1) | instskip(NEXT) | instid1(VALU_DEP_2)
	v_add_co_u32 v20, vcc_lo, v20, s8
	v_add_co_ci_u32_e32 v21, vcc_lo, s9, v21, vcc_lo
	s_delay_alu instid0(VALU_DEP_2) | instskip(NEXT) | instid1(VALU_DEP_2)
	v_add_co_u32 v20, vcc_lo, v20, 64
	v_add_co_ci_u32_e32 v21, vcc_lo, 0, v21, vcc_lo
.LBB45_35:                              ; =>This Inner Loop Header: Depth=1
	s_clause 0x2
	global_load_b64 v[30:31], v[20:21], off offset:-64
	global_load_b64 v[69:70], v[20:21], off offset:-32
	global_load_b64 v[109:110], v[20:21], off
	s_clause 0x1
	global_load_b128 v[22:25], v[6:7], off offset:16
	global_load_b128 v[26:29], v[6:7], off
	global_load_b64 v[117:118], v[20:21], off offset:32
	v_add_co_u32 v20, s2, 0x80, v20
	s_delay_alu instid0(VALU_DEP_1) | instskip(SKIP_3) | instid1(VALU_DEP_1)
	v_add_co_ci_u32_e64 v21, s2, 0, v21, s2
	s_waitcnt vmcnt(5)
	v_sub_co_u32 v30, vcc_lo, v30, s12
	v_subrev_co_ci_u32_e32 v31, vcc_lo, s15, v31, vcc_lo
	v_lshlrev_b64 v[30:31], 5, v[30:31]
	s_waitcnt lgkmcnt(0)
	s_delay_alu instid0(VALU_DEP_1) | instskip(NEXT) | instid1(VALU_DEP_2)
	v_add_co_u32 v30, vcc_lo, s4, v30
	v_add_co_ci_u32_e32 v31, vcc_lo, s5, v31, vcc_lo
	global_load_b128 v[33:36], v[30:31], off
	s_clause 0x3
	global_load_b128 v[37:40], v[6:7], off offset:32
	global_load_b128 v[41:44], v[6:7], off offset:48
	;; [unrolled: 1-line block ×5, first 2 shown]
	s_clause 0x2
	global_load_b128 v[57:60], v[6:7], off offset:96
	global_load_b128 v[61:64], v[6:7], off offset:112
	;; [unrolled: 1-line block ×3, first 2 shown]
	s_waitcnt vmcnt(13)
	v_sub_co_u32 v30, vcc_lo, v69, s12
	v_subrev_co_ci_u32_e32 v31, vcc_lo, s15, v70, vcc_lo
	s_delay_alu instid0(VALU_DEP_1) | instskip(NEXT) | instid1(VALU_DEP_1)
	v_lshlrev_b64 v[30:31], 5, v[30:31]
	v_add_co_u32 v30, vcc_lo, s4, v30
	s_delay_alu instid0(VALU_DEP_2)
	v_add_co_ci_u32_e32 v31, vcc_lo, s5, v31, vcc_lo
	global_load_b128 v[69:72], v[6:7], off offset:512
	global_load_b128 v[73:76], v[30:31], off
	s_clause 0x3
	global_load_b128 v[77:80], v[6:7], off offset:544
	global_load_b128 v[81:84], v[6:7], off offset:560
	;; [unrolled: 1-line block ×5, first 2 shown]
	s_clause 0x2
	global_load_b128 v[97:100], v[6:7], off offset:608
	global_load_b128 v[101:104], v[6:7], off offset:624
	;; [unrolled: 1-line block ×3, first 2 shown]
	s_waitcnt vmcnt(22)
	v_sub_co_u32 v30, vcc_lo, v109, s12
	v_subrev_co_ci_u32_e32 v31, vcc_lo, s15, v110, vcc_lo
	s_delay_alu instid0(VALU_DEP_1) | instskip(NEXT) | instid1(VALU_DEP_1)
	v_lshlrev_b64 v[30:31], 5, v[30:31]
	v_add_co_u32 v30, vcc_lo, s4, v30
	s_delay_alu instid0(VALU_DEP_2)
	v_add_co_ci_u32_e32 v31, vcc_lo, s5, v31, vcc_lo
	global_load_b128 v[109:112], v[6:7], off offset:1024
	global_load_b128 v[113:116], v[30:31], off
	s_waitcnt vmcnt(20)
	v_fma_f64 v[26:27], v[26:27], v[33:34], v[16:17]
	v_fma_f64 v[28:29], v[28:29], v[33:34], v[18:19]
	;; [unrolled: 1-line block ×4, first 2 shown]
	s_clause 0x1
	global_load_b128 v[12:15], v[6:7], off offset:1056
	global_load_b128 v[16:19], v[6:7], off offset:1072
	s_waitcnt vmcnt(21)
	v_fma_f64 v[37:38], v[37:38], v[35:36], v[26:27]
	v_fma_f64 v[39:40], v[39:40], v[35:36], v[28:29]
	s_waitcnt vmcnt(20)
	v_fma_f64 v[41:42], v[41:42], v[35:36], v[22:23]
	v_fma_f64 v[43:44], v[43:44], v[35:36], v[24:25]
	s_clause 0x1
	global_load_b128 v[22:25], v[6:7], off offset:1088
	global_load_b128 v[26:29], v[6:7], off offset:1104
	;; [unrolled: 1-line block ×3, first 2 shown]
	s_waitcnt vmcnt(20)
	v_fma_f64 v[30:31], v[45:46], v[53:54], v[37:38]
	v_fma_f64 v[119:120], v[47:48], v[53:54], v[39:40]
	;; [unrolled: 1-line block ×4, first 2 shown]
	s_clause 0x2
	global_load_b128 v[37:40], v[6:7], off offset:1120
	global_load_b128 v[41:44], v[6:7], off offset:1136
	;; [unrolled: 1-line block ×3, first 2 shown]
	v_sub_co_u32 v53, vcc_lo, v117, s12
	v_subrev_co_ci_u32_e32 v54, vcc_lo, s15, v118, vcc_lo
	s_waitcnt vmcnt(22)
	v_fma_f64 v[30:31], v[57:58], v[55:56], v[30:31]
	v_fma_f64 v[57:58], v[59:60], v[55:56], v[119:120]
	s_waitcnt vmcnt(21)
	v_fma_f64 v[59:60], v[61:62], v[55:56], v[49:50]
	v_fma_f64 v[61:62], v[63:64], v[55:56], v[51:52]
	v_lshlrev_b64 v[49:50], 5, v[53:54]
	s_delay_alu instid0(VALU_DEP_1) | instskip(NEXT) | instid1(VALU_DEP_2)
	v_add_co_u32 v117, vcc_lo, s4, v49
	v_add_co_ci_u32_e32 v118, vcc_lo, s5, v50, vcc_lo
	global_load_b128 v[49:52], v[6:7], off offset:1536
	global_load_b128 v[53:56], v[117:118], off
	v_add_co_u32 v0, vcc_lo, v0, 16
	v_add_co_ci_u32_e32 v1, vcc_lo, 0, v1, vcc_lo
	s_waitcnt vmcnt(20)
	v_fma_f64 v[30:31], v[69:70], v[73:74], v[30:31]
	v_fma_f64 v[69:70], v[71:72], v[73:74], v[57:58]
	;; [unrolled: 1-line block ×4, first 2 shown]
	s_clause 0x1
	global_load_b128 v[57:60], v[6:7], off offset:1568
	global_load_b128 v[61:64], v[6:7], off offset:1584
	s_waitcnt vmcnt(21)
	v_fma_f64 v[30:31], v[77:78], v[75:76], v[30:31]
	v_fma_f64 v[77:78], v[79:80], v[75:76], v[69:70]
	s_waitcnt vmcnt(20)
	v_fma_f64 v[79:80], v[81:82], v[75:76], v[65:66]
	v_fma_f64 v[81:82], v[83:84], v[75:76], v[67:68]
	s_clause 0x1
	global_load_b128 v[65:68], v[6:7], off offset:1600
	global_load_b128 v[69:72], v[6:7], off offset:1616
	;; [unrolled: 1-line block ×3, first 2 shown]
	s_waitcnt vmcnt(20)
	v_fma_f64 v[30:31], v[85:86], v[93:94], v[30:31]
	v_fma_f64 v[85:86], v[87:88], v[93:94], v[77:78]
	;; [unrolled: 1-line block ×4, first 2 shown]
	s_clause 0x1
	global_load_b128 v[77:80], v[6:7], off offset:1632
	global_load_b128 v[81:84], v[6:7], off offset:1648
	v_add_co_u32 v6, vcc_lo, 0x800, v6
	v_add_co_ci_u32_e32 v7, vcc_lo, 0, v7, vcc_lo
	v_cmp_ge_i64_e32 vcc_lo, v[0:1], v[4:5]
	s_or_b32 s7, vcc_lo, s7
	s_waitcnt vmcnt(21)
	v_fma_f64 v[30:31], v[97:98], v[95:96], v[30:31]
	v_fma_f64 v[85:86], v[99:100], v[95:96], v[85:86]
	s_waitcnt vmcnt(20)
	v_fma_f64 v[87:88], v[101:102], v[95:96], v[87:88]
	v_fma_f64 v[89:90], v[103:104], v[95:96], v[89:90]
	s_waitcnt vmcnt(17)
	s_delay_alu instid0(VALU_DEP_4) | instskip(NEXT) | instid1(VALU_DEP_4)
	v_fma_f64 v[30:31], v[109:110], v[113:114], v[30:31]
	v_fma_f64 v[85:86], v[111:112], v[113:114], v[85:86]
	s_delay_alu instid0(VALU_DEP_4) | instskip(NEXT) | instid1(VALU_DEP_4)
	v_fma_f64 v[87:88], v[105:106], v[113:114], v[87:88]
	v_fma_f64 v[89:90], v[107:108], v[113:114], v[89:90]
	s_waitcnt vmcnt(16)
	s_delay_alu instid0(VALU_DEP_4) | instskip(NEXT) | instid1(VALU_DEP_4)
	v_fma_f64 v[12:13], v[12:13], v[115:116], v[30:31]
	v_fma_f64 v[14:15], v[14:15], v[115:116], v[85:86]
	s_waitcnt vmcnt(15)
	s_delay_alu instid0(VALU_DEP_4) | instskip(NEXT) | instid1(VALU_DEP_4)
	v_fma_f64 v[16:17], v[16:17], v[115:116], v[87:88]
	v_fma_f64 v[18:19], v[18:19], v[115:116], v[89:90]
	s_waitcnt vmcnt(12)
	s_delay_alu instid0(VALU_DEP_4) | instskip(NEXT) | instid1(VALU_DEP_4)
	v_fma_f64 v[12:13], v[22:23], v[33:34], v[12:13]
	v_fma_f64 v[14:15], v[24:25], v[33:34], v[14:15]
	s_delay_alu instid0(VALU_DEP_4) | instskip(NEXT) | instid1(VALU_DEP_4)
	v_fma_f64 v[16:17], v[26:27], v[33:34], v[16:17]
	v_fma_f64 v[18:19], v[28:29], v[33:34], v[18:19]
	s_waitcnt vmcnt(11)
	s_delay_alu instid0(VALU_DEP_4) | instskip(NEXT) | instid1(VALU_DEP_4)
	v_fma_f64 v[12:13], v[37:38], v[35:36], v[12:13]
	v_fma_f64 v[14:15], v[39:40], v[35:36], v[14:15]
	s_waitcnt vmcnt(10)
	s_delay_alu instid0(VALU_DEP_4) | instskip(NEXT) | instid1(VALU_DEP_4)
	;; [unrolled: 15-line block ×4, first 2 shown]
	v_fma_f64 v[14:15], v[81:82], v[75:76], v[22:23]
	v_fma_f64 v[12:13], v[83:84], v[75:76], v[24:25]
	s_and_not1_b32 exec_lo, exec_lo, s7
	s_cbranch_execnz .LBB45_35
; %bb.36:
	s_or_b32 exec_lo, exec_lo, s7
.LBB45_37:
	s_delay_alu instid0(SALU_CYCLE_1)
	s_or_b32 exec_lo, exec_lo, s6
.LBB45_38:
	s_delay_alu instid0(SALU_CYCLE_1)
	s_or_b32 exec_lo, exec_lo, s3
.LBB45_39:
	v_mbcnt_lo_u32_b32 v24, -1, 0
	s_delay_alu instid0(VALU_DEP_1) | instskip(NEXT) | instid1(VALU_DEP_1)
	v_xor_b32_e32 v0, 2, v24
	v_cmp_gt_i32_e32 vcc_lo, 32, v0
	v_cndmask_b32_e32 v0, v24, v0, vcc_lo
	s_delay_alu instid0(VALU_DEP_1)
	v_lshlrev_b32_e32 v6, 2, v0
	ds_bpermute_b32 v0, v6, v16
	ds_bpermute_b32 v1, v6, v17
	;; [unrolled: 1-line block ×8, first 2 shown]
	s_waitcnt lgkmcnt(0)
	v_add_f64 v[16:17], v[16:17], v[0:1]
	v_add_f64 v[6:7], v[18:19], v[4:5]
	;; [unrolled: 1-line block ×4, first 2 shown]
	v_xor_b32_e32 v12, 1, v24
	s_delay_alu instid0(VALU_DEP_1) | instskip(SKIP_2) | instid1(VALU_DEP_2)
	v_cmp_gt_i32_e32 vcc_lo, 32, v12
	v_cndmask_b32_e32 v12, v24, v12, vcc_lo
	v_cmp_eq_u32_e32 vcc_lo, 3, v32
	v_lshlrev_b32_e32 v13, 2, v12
	ds_bpermute_b32 v20, v13, v16
	ds_bpermute_b32 v21, v13, v17
	;; [unrolled: 1-line block ×8, first 2 shown]
	s_and_b32 exec_lo, exec_lo, vcc_lo
	s_cbranch_execz .LBB45_10
; %bb.40:
	s_waitcnt lgkmcnt(6)
	v_add_f64 v[16:17], v[16:17], v[20:21]
	s_waitcnt lgkmcnt(4)
	v_add_f64 v[6:7], v[6:7], v[18:19]
	;; [unrolled: 2-line block ×4, first 2 shown]
	s_load_b64 s[0:1], s[0:1], 0x58
	v_lshlrev_b64 v[10:11], 5, v[10:11]
	s_mov_b32 s2, exec_lo
	v_mul_f64 v[4:5], v[2:3], v[16:17]
	v_mul_f64 v[6:7], v[2:3], v[6:7]
	;; [unrolled: 1-line block ×4, first 2 shown]
	v_cmpx_eq_f64_e32 0, v[8:9]
	s_xor_b32 s2, exec_lo, s2
	s_cbranch_execz .LBB45_42
; %bb.41:
	s_waitcnt lgkmcnt(0)
	v_add_co_u32 v8, vcc_lo, s0, v10
	v_add_co_ci_u32_e32 v9, vcc_lo, s1, v11, vcc_lo
                                        ; implicit-def: $vgpr10_vgpr11
	s_clause 0x1
	global_store_b128 v[8:9], v[4:7], off
	global_store_b128 v[8:9], v[0:3], off offset:16
                                        ; implicit-def: $vgpr8_vgpr9
                                        ; implicit-def: $vgpr4_vgpr5
                                        ; implicit-def: $vgpr0_vgpr1
.LBB45_42:
	s_and_not1_saveexec_b32 s2, s2
	s_cbranch_execz .LBB45_10
; %bb.43:
	s_waitcnt lgkmcnt(0)
	v_add_co_u32 v18, vcc_lo, s0, v10
	v_add_co_ci_u32_e32 v19, vcc_lo, s1, v11, vcc_lo
	s_clause 0x1
	global_load_b128 v[10:13], v[18:19], off
	global_load_b128 v[14:17], v[18:19], off offset:16
	s_waitcnt vmcnt(1)
	v_fma_f64 v[4:5], v[8:9], v[10:11], v[4:5]
	v_fma_f64 v[6:7], v[8:9], v[12:13], v[6:7]
	s_waitcnt vmcnt(0)
	v_fma_f64 v[0:1], v[8:9], v[14:15], v[0:1]
	v_fma_f64 v[2:3], v[8:9], v[16:17], v[2:3]
	s_clause 0x1
	global_store_b128 v[18:19], v[4:7], off
	global_store_b128 v[18:19], v[0:3], off offset:16
	s_nop 0
	s_sendmsg sendmsg(MSG_DEALLOC_VGPRS)
	s_endpgm
	.section	.rodata,"a",@progbits
	.p2align	6, 0x0
	.amdhsa_kernel _ZN9rocsparseL18bsrxmvn_4x4_kernelILj128ELj4EdlldddEEvT3_20rocsparse_direction_NS_24const_host_device_scalarIT1_EES1_PKS1_PKT2_SA_S7_PKT4_PKT5_S5_PT6_21rocsparse_index_base_b
		.amdhsa_group_segment_fixed_size 0
		.amdhsa_private_segment_fixed_size 0
		.amdhsa_kernarg_size 104
		.amdhsa_user_sgpr_count 15
		.amdhsa_user_sgpr_dispatch_ptr 0
		.amdhsa_user_sgpr_queue_ptr 0
		.amdhsa_user_sgpr_kernarg_segment_ptr 1
		.amdhsa_user_sgpr_dispatch_id 0
		.amdhsa_user_sgpr_private_segment_size 0
		.amdhsa_wavefront_size32 1
		.amdhsa_uses_dynamic_stack 0
		.amdhsa_enable_private_segment 0
		.amdhsa_system_sgpr_workgroup_id_x 1
		.amdhsa_system_sgpr_workgroup_id_y 0
		.amdhsa_system_sgpr_workgroup_id_z 0
		.amdhsa_system_sgpr_workgroup_info 0
		.amdhsa_system_vgpr_workitem_id 0
		.amdhsa_next_free_vgpr 149
		.amdhsa_next_free_sgpr 16
		.amdhsa_reserve_vcc 1
		.amdhsa_float_round_mode_32 0
		.amdhsa_float_round_mode_16_64 0
		.amdhsa_float_denorm_mode_32 3
		.amdhsa_float_denorm_mode_16_64 3
		.amdhsa_dx10_clamp 1
		.amdhsa_ieee_mode 1
		.amdhsa_fp16_overflow 0
		.amdhsa_workgroup_processor_mode 1
		.amdhsa_memory_ordered 1
		.amdhsa_forward_progress 0
		.amdhsa_shared_vgpr_count 0
		.amdhsa_exception_fp_ieee_invalid_op 0
		.amdhsa_exception_fp_denorm_src 0
		.amdhsa_exception_fp_ieee_div_zero 0
		.amdhsa_exception_fp_ieee_overflow 0
		.amdhsa_exception_fp_ieee_underflow 0
		.amdhsa_exception_fp_ieee_inexact 0
		.amdhsa_exception_int_div_zero 0
	.end_amdhsa_kernel
	.section	.text._ZN9rocsparseL18bsrxmvn_4x4_kernelILj128ELj4EdlldddEEvT3_20rocsparse_direction_NS_24const_host_device_scalarIT1_EES1_PKS1_PKT2_SA_S7_PKT4_PKT5_S5_PT6_21rocsparse_index_base_b,"axG",@progbits,_ZN9rocsparseL18bsrxmvn_4x4_kernelILj128ELj4EdlldddEEvT3_20rocsparse_direction_NS_24const_host_device_scalarIT1_EES1_PKS1_PKT2_SA_S7_PKT4_PKT5_S5_PT6_21rocsparse_index_base_b,comdat
.Lfunc_end45:
	.size	_ZN9rocsparseL18bsrxmvn_4x4_kernelILj128ELj4EdlldddEEvT3_20rocsparse_direction_NS_24const_host_device_scalarIT1_EES1_PKS1_PKT2_SA_S7_PKT4_PKT5_S5_PT6_21rocsparse_index_base_b, .Lfunc_end45-_ZN9rocsparseL18bsrxmvn_4x4_kernelILj128ELj4EdlldddEEvT3_20rocsparse_direction_NS_24const_host_device_scalarIT1_EES1_PKS1_PKT2_SA_S7_PKT4_PKT5_S5_PT6_21rocsparse_index_base_b
                                        ; -- End function
	.section	.AMDGPU.csdata,"",@progbits
; Kernel info:
; codeLenInByte = 5176
; NumSgprs: 18
; NumVgprs: 149
; ScratchSize: 0
; MemoryBound: 1
; FloatMode: 240
; IeeeMode: 1
; LDSByteSize: 0 bytes/workgroup (compile time only)
; SGPRBlocks: 2
; VGPRBlocks: 18
; NumSGPRsForWavesPerEU: 18
; NumVGPRsForWavesPerEU: 149
; Occupancy: 9
; WaveLimiterHint : 1
; COMPUTE_PGM_RSRC2:SCRATCH_EN: 0
; COMPUTE_PGM_RSRC2:USER_SGPR: 15
; COMPUTE_PGM_RSRC2:TRAP_HANDLER: 0
; COMPUTE_PGM_RSRC2:TGID_X_EN: 1
; COMPUTE_PGM_RSRC2:TGID_Y_EN: 0
; COMPUTE_PGM_RSRC2:TGID_Z_EN: 0
; COMPUTE_PGM_RSRC2:TIDIG_COMP_CNT: 0
	.section	.text._ZN9rocsparseL18bsrxmvn_4x4_kernelILj128ELj8EdlldddEEvT3_20rocsparse_direction_NS_24const_host_device_scalarIT1_EES1_PKS1_PKT2_SA_S7_PKT4_PKT5_S5_PT6_21rocsparse_index_base_b,"axG",@progbits,_ZN9rocsparseL18bsrxmvn_4x4_kernelILj128ELj8EdlldddEEvT3_20rocsparse_direction_NS_24const_host_device_scalarIT1_EES1_PKS1_PKT2_SA_S7_PKT4_PKT5_S5_PT6_21rocsparse_index_base_b,comdat
	.globl	_ZN9rocsparseL18bsrxmvn_4x4_kernelILj128ELj8EdlldddEEvT3_20rocsparse_direction_NS_24const_host_device_scalarIT1_EES1_PKS1_PKT2_SA_S7_PKT4_PKT5_S5_PT6_21rocsparse_index_base_b ; -- Begin function _ZN9rocsparseL18bsrxmvn_4x4_kernelILj128ELj8EdlldddEEvT3_20rocsparse_direction_NS_24const_host_device_scalarIT1_EES1_PKS1_PKT2_SA_S7_PKT4_PKT5_S5_PT6_21rocsparse_index_base_b
	.p2align	8
	.type	_ZN9rocsparseL18bsrxmvn_4x4_kernelILj128ELj8EdlldddEEvT3_20rocsparse_direction_NS_24const_host_device_scalarIT1_EES1_PKS1_PKT2_SA_S7_PKT4_PKT5_S5_PT6_21rocsparse_index_base_b,@function
_ZN9rocsparseL18bsrxmvn_4x4_kernelILj128ELj8EdlldddEEvT3_20rocsparse_direction_NS_24const_host_device_scalarIT1_EES1_PKS1_PKT2_SA_S7_PKT4_PKT5_S5_PT6_21rocsparse_index_base_b: ; @_ZN9rocsparseL18bsrxmvn_4x4_kernelILj128ELj8EdlldddEEvT3_20rocsparse_direction_NS_24const_host_device_scalarIT1_EES1_PKS1_PKT2_SA_S7_PKT4_PKT5_S5_PT6_21rocsparse_index_base_b
; %bb.0:
	s_clause 0x2
	s_load_b64 s[12:13], s[0:1], 0x60
	s_load_b128 s[4:7], s[0:1], 0x10
	s_load_b64 s[2:3], s[0:1], 0x50
	s_waitcnt lgkmcnt(0)
	s_bitcmp1_b32 s13, 0
	v_dual_mov_b32 v2, s4 :: v_dual_mov_b32 v3, s5
	s_cselect_b32 s8, -1, 0
	s_delay_alu instid0(SALU_CYCLE_1)
	s_and_b32 vcc_lo, exec_lo, s8
	s_xor_b32 s8, s8, -1
	s_cbranch_vccnz .LBB46_2
; %bb.1:
	v_dual_mov_b32 v1, s4 :: v_dual_mov_b32 v2, s5
	flat_load_b64 v[2:3], v[1:2]
.LBB46_2:
	v_dual_mov_b32 v9, s3 :: v_dual_mov_b32 v8, s2
	s_and_not1_b32 vcc_lo, exec_lo, s8
	s_cbranch_vccnz .LBB46_4
; %bb.3:
	v_dual_mov_b32 v5, s3 :: v_dual_mov_b32 v4, s2
	flat_load_b64 v[8:9], v[4:5]
.LBB46_4:
	s_waitcnt vmcnt(0) lgkmcnt(0)
	v_cmp_neq_f64_e32 vcc_lo, 0, v[2:3]
	v_cmp_neq_f64_e64 s2, 1.0, v[8:9]
	s_delay_alu instid0(VALU_DEP_1) | instskip(NEXT) | instid1(SALU_CYCLE_1)
	s_or_b32 s2, vcc_lo, s2
	s_and_saveexec_b32 s3, s2
	s_cbranch_execz .LBB46_10
; %bb.5:
	s_load_b64 s[2:3], s[0:1], 0x20
	v_lshrrev_b32_e32 v1, 3, v0
	v_mov_b32_e32 v5, 0
	s_mov_b32 s4, 0
	s_delay_alu instid0(VALU_DEP_2)
	v_lshl_or_b32 v4, s15, 4, v1
	s_waitcnt lgkmcnt(0)
	s_cmp_lg_u64 s[2:3], 0
	s_cbranch_scc0 .LBB46_11
; %bb.6:
	s_delay_alu instid0(VALU_DEP_1) | instskip(SKIP_2) | instid1(SALU_CYCLE_1)
	v_cmp_gt_i64_e32 vcc_lo, s[6:7], v[4:5]
	s_mov_b32 s5, 0
                                        ; implicit-def: $vgpr10_vgpr11
	s_and_saveexec_b32 s6, vcc_lo
	s_xor_b32 s6, exec_lo, s6
                                        ; implicit-def: $sgpr14_sgpr15
	s_cbranch_execz .LBB46_8
; %bb.7:
	v_lshlrev_b64 v[6:7], 3, v[4:5]
	s_mov_b32 s4, exec_lo
	s_mov_b32 s15, 0
	s_delay_alu instid0(VALU_DEP_1) | instskip(NEXT) | instid1(VALU_DEP_2)
	v_add_co_u32 v6, vcc_lo, s2, v6
	v_add_co_ci_u32_e32 v7, vcc_lo, s3, v7, vcc_lo
	global_load_b64 v[6:7], v[6:7], off
	s_waitcnt vmcnt(0)
	v_sub_co_u32 v10, vcc_lo, v6, s12
	v_subrev_co_ci_u32_e32 v11, vcc_lo, 0, v7, vcc_lo
.LBB46_8:
	s_or_b32 exec_lo, exec_lo, s6
	s_delay_alu instid0(SALU_CYCLE_1)
	s_and_b32 vcc_lo, exec_lo, s5
	s_cbranch_vccnz .LBB46_12
.LBB46_9:
	s_and_b32 exec_lo, exec_lo, s4
	s_cbranch_execnz .LBB46_15
.LBB46_10:
	s_nop 0
	s_sendmsg sendmsg(MSG_DEALLOC_VGPRS)
	s_endpgm
.LBB46_11:
                                        ; implicit-def: $vgpr10_vgpr11
                                        ; implicit-def: $sgpr14_sgpr15
	s_cbranch_execz .LBB46_9
.LBB46_12:
	s_load_b64 s[2:3], s[0:1], 0x0
                                        ; implicit-def: $vgpr10_vgpr11
	s_waitcnt lgkmcnt(0)
	v_cmp_gt_i64_e32 vcc_lo, s[2:3], v[4:5]
	s_and_saveexec_b32 s2, vcc_lo
                                        ; implicit-def: $sgpr14_sgpr15
; %bb.13:
	v_dual_mov_b32 v11, v5 :: v_dual_mov_b32 v10, v4
	s_mov_b32 s15, 0
	s_or_b32 s4, s4, exec_lo
; %bb.14:
	s_or_b32 exec_lo, exec_lo, s2
	s_delay_alu instid0(SALU_CYCLE_1)
	s_and_b32 exec_lo, exec_lo, s4
	s_cbranch_execz .LBB46_10
.LBB46_15:
	s_load_b256 s[4:11], s[0:1], 0x28
	v_lshlrev_b64 v[4:5], 3, v[10:11]
	v_and_b32_e32 v32, 7, v0
	s_load_b32 s3, s[0:1], 0x8
	s_waitcnt lgkmcnt(0)
	s_delay_alu instid0(VALU_DEP_2) | instskip(NEXT) | instid1(VALU_DEP_3)
	v_add_co_u32 v6, vcc_lo, s4, v4
	v_add_co_ci_u32_e32 v7, vcc_lo, s5, v5, vcc_lo
	v_add_co_u32 v1, vcc_lo, s6, v4
	v_add_co_ci_u32_e32 v4, vcc_lo, s7, v5, vcc_lo
	s_delay_alu instid0(VALU_DEP_4)
	v_add_co_u32 v12, vcc_lo, v6, 8
	global_load_b64 v[20:21], v[6:7], off
	v_add_co_ci_u32_e32 v5, vcc_lo, 0, v7, vcc_lo
	s_cmp_eq_u64 s[6:7], 0
	s_load_b64 s[4:5], s[0:1], 0x48
	s_cselect_b32 vcc_lo, -1, 0
	s_cmp_eq_u32 s3, 1
	v_dual_cndmask_b32 v5, v4, v5 :: v_dual_cndmask_b32 v4, v1, v12
	global_load_b64 v[4:5], v[4:5], off
	s_waitcnt vmcnt(1)
	v_sub_co_u32 v0, vcc_lo, v20, s12
	v_subrev_co_ci_u32_e32 v1, vcc_lo, s15, v21, vcc_lo
	s_delay_alu instid0(VALU_DEP_2) | instskip(NEXT) | instid1(VALU_DEP_2)
	v_add_co_u32 v0, vcc_lo, v0, v32
	v_add_co_ci_u32_e32 v1, vcc_lo, 0, v1, vcc_lo
	s_delay_alu instid0(VALU_DEP_1) | instskip(SKIP_3) | instid1(VALU_DEP_3)
	v_lshlrev_b64 v[6:7], 7, v[0:1]
	s_waitcnt vmcnt(0)
	v_sub_co_u32 v4, vcc_lo, v4, s12
	v_subrev_co_ci_u32_e32 v5, vcc_lo, s15, v5, vcc_lo
	v_add_co_u32 v6, vcc_lo, s10, v6
	s_delay_alu instid0(VALU_DEP_2)
	v_cmp_lt_i64_e64 s2, v[0:1], v[4:5]
	v_add_co_ci_u32_e32 v7, vcc_lo, s11, v7, vcc_lo
	s_cbranch_scc1 .LBB46_27
; %bb.16:
	v_mov_b32_e32 v12, 0
	v_mov_b32_e32 v13, 0
	s_delay_alu instid0(VALU_DEP_1)
	v_dual_mov_b32 v15, v13 :: v_dual_mov_b32 v14, v12
	v_dual_mov_b32 v19, v13 :: v_dual_mov_b32 v18, v12
	v_dual_mov_b32 v17, v13 :: v_dual_mov_b32 v16, v12
	s_and_saveexec_b32 s6, s2
	s_cbranch_execz .LBB46_26
; %bb.17:
	v_or_b32_e32 v12, 8, v32
	v_not_b32_e32 v15, v20
	v_not_b32_e32 v14, v21
	s_mov_b32 s10, 0
	s_mov_b32 s7, exec_lo
	v_sub_co_u32 v12, s3, v12, s12
	s_delay_alu instid0(VALU_DEP_1) | instskip(SKIP_1) | instid1(VALU_DEP_3)
	v_sub_co_ci_u32_e64 v13, null, 0, s15, s3
	v_sub_co_u32 v16, s3, s12, v32
	v_add_co_u32 v12, vcc_lo, v12, v20
	s_delay_alu instid0(VALU_DEP_3) | instskip(SKIP_2) | instid1(VALU_DEP_3)
	v_add_co_ci_u32_e32 v13, vcc_lo, v13, v21, vcc_lo
	v_sub_co_ci_u32_e64 v17, null, s15, 0, s3
	v_mov_b32_e32 v23, v1
	v_cmp_gt_i64_e32 vcc_lo, v[12:13], v[4:5]
	v_dual_mov_b32 v25, v7 :: v_dual_mov_b32 v24, v6
	v_dual_cndmask_b32 v13, v5, v13 :: v_dual_cndmask_b32 v12, v4, v12
	v_add_co_u32 v15, vcc_lo, v16, v15
	v_add_co_ci_u32_e32 v14, vcc_lo, v17, v14, vcc_lo
	v_mov_b32_e32 v16, 0
	s_delay_alu instid0(VALU_DEP_3) | instskip(SKIP_1) | instid1(VALU_DEP_4)
	v_add_co_u32 v26, vcc_lo, v15, v12
	v_mov_b32_e32 v17, 0
	v_add_co_ci_u32_e32 v27, vcc_lo, v14, v13, vcc_lo
	s_delay_alu instid0(VALU_DEP_3) | instskip(SKIP_1) | instid1(VALU_DEP_4)
	v_lshrrev_b32_e32 v12, 3, v26
	v_mov_b32_e32 v14, v16
	v_dual_mov_b32 v22, v0 :: v_dual_mov_b32 v15, v17
	s_delay_alu instid0(VALU_DEP_3) | instskip(SKIP_1) | instid1(VALU_DEP_2)
	v_dual_mov_b32 v19, v17 :: v_dual_add_nc_u32 v12, 1, v12
	v_mov_b32_e32 v18, v16
	v_and_b32_e32 v28, 3, v12
	v_dual_mov_b32 v12, v16 :: v_dual_mov_b32 v13, v17
	s_delay_alu instid0(VALU_DEP_2)
	v_cmpx_ne_u32_e32 0, v28
	s_cbranch_execz .LBB46_21
; %bb.18:
	v_lshlrev_b64 v[14:15], 3, v[0:1]
	v_dual_mov_b32 v29, 0 :: v_dual_mov_b32 v12, 0
	v_dual_mov_b32 v13, 0 :: v_dual_lshlrev_b32 v28, 4, v28
	v_dual_mov_b32 v25, v7 :: v_dual_mov_b32 v24, v6
	s_delay_alu instid0(VALU_DEP_4)
	v_add_co_u32 v30, vcc_lo, s8, v14
	v_add_co_ci_u32_e32 v31, vcc_lo, s9, v15, vcc_lo
	v_dual_mov_b32 v23, v1 :: v_dual_mov_b32 v22, v0
	v_dual_mov_b32 v15, v13 :: v_dual_mov_b32 v14, v12
	;; [unrolled: 1-line block ×4, first 2 shown]
.LBB46_19:                              ; =>This Inner Loop Header: Depth=1
	global_load_b64 v[61:62], v[30:31], off
	s_clause 0x6
	global_load_b128 v[33:36], v[24:25], off offset:48
	global_load_b128 v[37:40], v[24:25], off offset:32
	;; [unrolled: 1-line block ×3, first 2 shown]
	global_load_b128 v[45:48], v[24:25], off
	global_load_b128 v[49:52], v[24:25], off offset:112
	global_load_b128 v[53:56], v[24:25], off offset:96
	;; [unrolled: 1-line block ×3, first 2 shown]
	v_add_co_u32 v30, s3, v30, 64
	s_delay_alu instid0(VALU_DEP_1) | instskip(SKIP_3) | instid1(VALU_DEP_1)
	v_add_co_ci_u32_e64 v31, s3, 0, v31, s3
	s_waitcnt vmcnt(7)
	v_sub_co_u32 v61, vcc_lo, v61, s12
	v_subrev_co_ci_u32_e32 v62, vcc_lo, s15, v62, vcc_lo
	v_lshlrev_b64 v[61:62], 5, v[61:62]
	s_waitcnt lgkmcnt(0)
	s_delay_alu instid0(VALU_DEP_1) | instskip(NEXT) | instid1(VALU_DEP_2)
	v_add_co_u32 v69, vcc_lo, s4, v61
	v_add_co_ci_u32_e32 v70, vcc_lo, s5, v62, vcc_lo
	global_load_b128 v[61:64], v[24:25], off offset:64
	s_clause 0x1
	global_load_b128 v[65:68], v[69:70], off
	global_load_b128 v[69:72], v[69:70], off offset:16
	v_add_co_u32 v24, vcc_lo, 0x400, v24
	v_add_co_ci_u32_e32 v25, vcc_lo, 0, v25, vcc_lo
	v_add_co_u32 v28, vcc_lo, v28, -16
	v_add_co_ci_u32_e32 v29, vcc_lo, -1, v29, vcc_lo
	v_add_co_u32 v22, vcc_lo, v22, 8
	v_add_co_ci_u32_e32 v23, vcc_lo, 0, v23, vcc_lo
	s_delay_alu instid0(VALU_DEP_3)
	v_cmp_eq_u64_e32 vcc_lo, 0, v[28:29]
	s_or_b32 s10, vcc_lo, s10
	s_waitcnt vmcnt(1)
	v_fma_f64 v[16:17], v[45:46], v[65:66], v[16:17]
	v_fma_f64 v[18:19], v[37:38], v[65:66], v[18:19]
	;; [unrolled: 1-line block ×4, first 2 shown]
	s_delay_alu instid0(VALU_DEP_4) | instskip(NEXT) | instid1(VALU_DEP_4)
	v_fma_f64 v[16:17], v[47:48], v[67:68], v[16:17]
	v_fma_f64 v[18:19], v[39:40], v[67:68], v[18:19]
	s_delay_alu instid0(VALU_DEP_4) | instskip(NEXT) | instid1(VALU_DEP_4)
	v_fma_f64 v[14:15], v[63:64], v[67:68], v[14:15]
	v_fma_f64 v[12:13], v[55:56], v[67:68], v[12:13]
	s_waitcnt vmcnt(0)
	s_delay_alu instid0(VALU_DEP_4) | instskip(NEXT) | instid1(VALU_DEP_4)
	v_fma_f64 v[16:17], v[41:42], v[69:70], v[16:17]
	v_fma_f64 v[18:19], v[33:34], v[69:70], v[18:19]
	s_delay_alu instid0(VALU_DEP_4) | instskip(NEXT) | instid1(VALU_DEP_4)
	v_fma_f64 v[14:15], v[57:58], v[69:70], v[14:15]
	v_fma_f64 v[12:13], v[49:50], v[69:70], v[12:13]
	;; [unrolled: 3-line block ×4, first 2 shown]
	s_and_not1_b32 exec_lo, exec_lo, s10
	s_cbranch_execnz .LBB46_19
; %bb.20:
	s_or_b32 exec_lo, exec_lo, s10
.LBB46_21:
	s_delay_alu instid0(SALU_CYCLE_1) | instskip(NEXT) | instid1(SALU_CYCLE_1)
	s_or_b32 exec_lo, exec_lo, s7
	s_mov_b32 s7, exec_lo
	v_cmpx_lt_u64_e32 23, v[26:27]
	s_cbranch_execz .LBB46_25
; %bb.22:
	v_lshlrev_b64 v[26:27], 3, v[22:23]
	s_mov_b32 s10, 0
	s_delay_alu instid0(VALU_DEP_1) | instskip(NEXT) | instid1(VALU_DEP_2)
	v_add_co_u32 v26, vcc_lo, v26, s8
	v_add_co_ci_u32_e32 v27, vcc_lo, s9, v27, vcc_lo
	s_delay_alu instid0(VALU_DEP_2) | instskip(NEXT) | instid1(VALU_DEP_2)
	v_add_co_u32 v26, vcc_lo, 0x80, v26
	v_add_co_ci_u32_e32 v27, vcc_lo, 0, v27, vcc_lo
.LBB46_23:                              ; =>This Inner Loop Header: Depth=1
	s_clause 0x2
	global_load_b64 v[61:62], v[26:27], off offset:-128
	global_load_b64 v[97:98], v[26:27], off offset:-64
	global_load_b64 v[137:138], v[26:27], off
	s_clause 0x7
	global_load_b128 v[28:31], v[24:25], off offset:48
	global_load_b128 v[33:36], v[24:25], off offset:32
	;; [unrolled: 1-line block ×3, first 2 shown]
	global_load_b128 v[41:44], v[24:25], off
	global_load_b128 v[45:48], v[24:25], off offset:112
	global_load_b128 v[49:52], v[24:25], off offset:96
	global_load_b128 v[53:56], v[24:25], off offset:80
	global_load_b128 v[57:60], v[24:25], off offset:64
	global_load_b64 v[145:146], v[26:27], off offset:64
	v_add_co_u32 v26, s3, 0x100, v26
	s_delay_alu instid0(VALU_DEP_1) | instskip(SKIP_3) | instid1(VALU_DEP_1)
	v_add_co_ci_u32_e64 v27, s3, 0, v27, s3
	s_waitcnt vmcnt(11)
	v_sub_co_u32 v61, vcc_lo, v61, s12
	v_subrev_co_ci_u32_e32 v62, vcc_lo, s15, v62, vcc_lo
	v_lshlrev_b64 v[61:62], 5, v[61:62]
	s_waitcnt lgkmcnt(0)
	s_delay_alu instid0(VALU_DEP_1) | instskip(NEXT) | instid1(VALU_DEP_2)
	v_add_co_u32 v65, vcc_lo, s4, v61
	v_add_co_ci_u32_e32 v66, vcc_lo, s5, v62, vcc_lo
	s_waitcnt vmcnt(10)
	v_sub_co_u32 v97, vcc_lo, v97, s12
	v_subrev_co_ci_u32_e32 v98, vcc_lo, s15, v98, vcc_lo
	s_clause 0x1
	global_load_b128 v[61:64], v[65:66], off
	global_load_b128 v[65:68], v[65:66], off offset:16
	s_clause 0x6
	global_load_b128 v[69:72], v[24:25], off offset:1072
	global_load_b128 v[73:76], v[24:25], off offset:1056
	;; [unrolled: 1-line block ×7, first 2 shown]
	v_lshlrev_b64 v[97:98], 5, v[97:98]
	s_delay_alu instid0(VALU_DEP_1) | instskip(NEXT) | instid1(VALU_DEP_2)
	v_add_co_u32 v105, vcc_lo, s4, v97
	v_add_co_ci_u32_e32 v106, vcc_lo, s5, v98, vcc_lo
	s_waitcnt vmcnt(18)
	v_sub_co_u32 v137, vcc_lo, v137, s12
	global_load_b128 v[97:100], v[24:25], off offset:1088
	s_clause 0x1
	global_load_b128 v[101:104], v[105:106], off
	global_load_b128 v[105:108], v[105:106], off offset:16
	s_clause 0x6
	global_load_b128 v[109:112], v[24:25], off offset:2096
	global_load_b128 v[113:116], v[24:25], off offset:2080
	;; [unrolled: 1-line block ×7, first 2 shown]
	v_subrev_co_ci_u32_e32 v138, vcc_lo, s15, v138, vcc_lo
	s_delay_alu instid0(VALU_DEP_1) | instskip(NEXT) | instid1(VALU_DEP_1)
	v_lshlrev_b64 v[137:138], 5, v[137:138]
	v_add_co_u32 v147, vcc_lo, s4, v137
	s_delay_alu instid0(VALU_DEP_2)
	v_add_co_ci_u32_e32 v148, vcc_lo, s5, v138, vcc_lo
	global_load_b128 v[137:140], v[24:25], off offset:2112
	global_load_b128 v[141:144], v[147:148], off
	s_waitcnt vmcnt(20)
	v_fma_f64 v[16:17], v[41:42], v[61:62], v[16:17]
	v_fma_f64 v[18:19], v[33:34], v[61:62], v[18:19]
	;; [unrolled: 1-line block ×4, first 2 shown]
	v_sub_co_u32 v61, vcc_lo, v145, s12
	v_subrev_co_ci_u32_e32 v62, vcc_lo, s15, v146, vcc_lo
	v_fma_f64 v[16:17], v[43:44], v[63:64], v[16:17]
	v_fma_f64 v[18:19], v[35:36], v[63:64], v[18:19]
	;; [unrolled: 1-line block ×4, first 2 shown]
	global_load_b128 v[12:15], v[147:148], off offset:16
	s_waitcnt vmcnt(20)
	v_fma_f64 v[37:38], v[37:38], v[65:66], v[16:17]
	v_fma_f64 v[28:29], v[28:29], v[65:66], v[18:19]
	;; [unrolled: 1-line block ×4, first 2 shown]
	s_clause 0x4
	global_load_b128 v[16:19], v[24:25], off offset:3120
	global_load_b128 v[33:36], v[24:25], off offset:3104
	;; [unrolled: 1-line block ×5, first 2 shown]
	v_fma_f64 v[63:64], v[39:40], v[67:68], v[37:38]
	v_fma_f64 v[65:66], v[30:31], v[67:68], v[28:29]
	;; [unrolled: 1-line block ×4, first 2 shown]
	v_lshlrev_b64 v[28:29], 5, v[61:62]
	s_delay_alu instid0(VALU_DEP_1) | instskip(NEXT) | instid1(VALU_DEP_2)
	v_add_co_u32 v61, vcc_lo, s4, v28
	v_add_co_ci_u32_e32 v62, vcc_lo, s5, v29, vcc_lo
	global_load_b128 v[28:31], v[24:25], off offset:3168
	global_load_b128 v[37:40], v[61:62], off
	v_add_co_u32 v22, vcc_lo, v22, 32
	v_add_co_ci_u32_e32 v23, vcc_lo, 0, v23, vcc_lo
	s_waitcnt vmcnt(18)
	v_fma_f64 v[47:48], v[81:82], v[101:102], v[63:64]
	v_fma_f64 v[55:56], v[73:74], v[101:102], v[65:66]
	v_fma_f64 v[53:54], v[97:98], v[101:102], v[53:54]
	v_fma_f64 v[45:46], v[89:90], v[101:102], v[45:46]
	s_delay_alu instid0(VALU_DEP_4) | instskip(NEXT) | instid1(VALU_DEP_4)
	v_fma_f64 v[65:66], v[83:84], v[103:104], v[47:48]
	v_fma_f64 v[67:68], v[75:76], v[103:104], v[55:56]
	s_delay_alu instid0(VALU_DEP_4) | instskip(NEXT) | instid1(VALU_DEP_4)
	v_fma_f64 v[73:74], v[99:100], v[103:104], v[53:54]
	v_fma_f64 v[75:76], v[91:92], v[103:104], v[45:46]
	s_clause 0x1
	global_load_b128 v[45:48], v[24:25], off offset:3184
	global_load_b128 v[53:56], v[24:25], off offset:3152
	;; [unrolled: 1-line block ×3, first 2 shown]
	v_add_co_u32 v24, vcc_lo, 0x1000, v24
	v_add_co_ci_u32_e32 v25, vcc_lo, 0, v25, vcc_lo
	v_cmp_ge_i64_e32 vcc_lo, v[22:23], v[4:5]
	s_or_b32 s10, vcc_lo, s10
	s_waitcnt vmcnt(20)
	v_fma_f64 v[65:66], v[77:78], v[105:106], v[65:66]
	v_fma_f64 v[67:68], v[69:70], v[105:106], v[67:68]
	;; [unrolled: 1-line block ×4, first 2 shown]
	s_delay_alu instid0(VALU_DEP_4) | instskip(NEXT) | instid1(VALU_DEP_4)
	v_fma_f64 v[65:66], v[79:80], v[107:108], v[65:66]
	v_fma_f64 v[67:68], v[71:72], v[107:108], v[67:68]
	s_delay_alu instid0(VALU_DEP_4) | instskip(NEXT) | instid1(VALU_DEP_4)
	v_fma_f64 v[69:70], v[95:96], v[107:108], v[69:70]
	v_fma_f64 v[71:72], v[87:88], v[107:108], v[73:74]
	s_waitcnt vmcnt(11)
	s_delay_alu instid0(VALU_DEP_4) | instskip(NEXT) | instid1(VALU_DEP_4)
	v_fma_f64 v[65:66], v[121:122], v[141:142], v[65:66]
	v_fma_f64 v[67:68], v[113:114], v[141:142], v[67:68]
	s_delay_alu instid0(VALU_DEP_4) | instskip(NEXT) | instid1(VALU_DEP_4)
	v_fma_f64 v[69:70], v[137:138], v[141:142], v[69:70]
	v_fma_f64 v[71:72], v[129:130], v[141:142], v[71:72]
	s_delay_alu instid0(VALU_DEP_4) | instskip(NEXT) | instid1(VALU_DEP_4)
	v_fma_f64 v[65:66], v[123:124], v[143:144], v[65:66]
	v_fma_f64 v[67:68], v[115:116], v[143:144], v[67:68]
	s_delay_alu instid0(VALU_DEP_4) | instskip(NEXT) | instid1(VALU_DEP_4)
	v_fma_f64 v[69:70], v[139:140], v[143:144], v[69:70]
	v_fma_f64 v[71:72], v[131:132], v[143:144], v[71:72]
	s_waitcnt vmcnt(10)
	s_delay_alu instid0(VALU_DEP_4) | instskip(NEXT) | instid1(VALU_DEP_4)
	v_fma_f64 v[65:66], v[117:118], v[12:13], v[65:66]
	v_fma_f64 v[67:68], v[109:110], v[12:13], v[67:68]
	s_delay_alu instid0(VALU_DEP_4) | instskip(NEXT) | instid1(VALU_DEP_4)
	v_fma_f64 v[69:70], v[133:134], v[12:13], v[69:70]
	v_fma_f64 v[12:13], v[125:126], v[12:13], v[71:72]
	;; [unrolled: 13-line block ×4, first 2 shown]
	s_delay_alu instid0(VALU_DEP_4) | instskip(NEXT) | instid1(VALU_DEP_4)
	v_fma_f64 v[16:17], v[43:44], v[63:64], v[14:15]
	v_fma_f64 v[18:19], v[18:19], v[63:64], v[28:29]
	s_delay_alu instid0(VALU_DEP_4) | instskip(NEXT) | instid1(VALU_DEP_4)
	v_fma_f64 v[14:15], v[55:56], v[63:64], v[30:31]
	v_fma_f64 v[12:13], v[47:48], v[63:64], v[12:13]
	s_and_not1_b32 exec_lo, exec_lo, s10
	s_cbranch_execnz .LBB46_23
; %bb.24:
	s_or_b32 exec_lo, exec_lo, s10
.LBB46_25:
	s_delay_alu instid0(SALU_CYCLE_1)
	s_or_b32 exec_lo, exec_lo, s7
.LBB46_26:
	s_delay_alu instid0(SALU_CYCLE_1)
	s_or_b32 exec_lo, exec_lo, s6
	s_cbranch_execz .LBB46_28
	s_branch .LBB46_39
.LBB46_27:
                                        ; implicit-def: $vgpr12_vgpr13
                                        ; implicit-def: $vgpr14_vgpr15
                                        ; implicit-def: $vgpr18_vgpr19
                                        ; implicit-def: $vgpr16_vgpr17
.LBB46_28:
	v_mov_b32_e32 v12, 0
	v_mov_b32_e32 v13, 0
	s_delay_alu instid0(VALU_DEP_1)
	v_dual_mov_b32 v15, v13 :: v_dual_mov_b32 v14, v12
	v_dual_mov_b32 v19, v13 :: v_dual_mov_b32 v18, v12
	v_dual_mov_b32 v17, v13 :: v_dual_mov_b32 v16, v12
	s_and_saveexec_b32 s3, s2
	s_cbranch_execz .LBB46_38
; %bb.29:
	v_or_b32_e32 v12, 8, v32
	v_not_b32_e32 v15, v20
	v_not_b32_e32 v14, v21
	s_mov_b32 s7, 0
	s_mov_b32 s6, exec_lo
	v_sub_co_u32 v12, s2, v12, s12
	s_delay_alu instid0(VALU_DEP_1) | instskip(SKIP_1) | instid1(VALU_DEP_3)
	v_sub_co_ci_u32_e64 v13, null, 0, s15, s2
	v_sub_co_u32 v16, s2, s12, v32
	v_add_co_u32 v12, vcc_lo, v12, v20
	s_delay_alu instid0(VALU_DEP_3) | instskip(SKIP_1) | instid1(VALU_DEP_2)
	v_add_co_ci_u32_e32 v13, vcc_lo, v13, v21, vcc_lo
	v_sub_co_ci_u32_e64 v17, null, s15, 0, s2
	v_cmp_gt_i64_e32 vcc_lo, v[12:13], v[4:5]
	v_dual_cndmask_b32 v13, v5, v13 :: v_dual_cndmask_b32 v12, v4, v12
	v_add_co_u32 v15, vcc_lo, v16, v15
	s_delay_alu instid0(VALU_DEP_4) | instskip(SKIP_1) | instid1(VALU_DEP_3)
	v_add_co_ci_u32_e32 v14, vcc_lo, v17, v14, vcc_lo
	v_mov_b32_e32 v16, 0
	v_add_co_u32 v20, vcc_lo, v15, v12
	s_delay_alu instid0(VALU_DEP_3) | instskip(SKIP_1) | instid1(VALU_DEP_3)
	v_add_co_ci_u32_e32 v21, vcc_lo, v14, v13, vcc_lo
	v_mov_b32_e32 v17, 0
	v_lshrrev_b32_e32 v12, 3, v20
	s_delay_alu instid0(VALU_DEP_2) | instskip(NEXT) | instid1(VALU_DEP_2)
	v_dual_mov_b32 v14, v16 :: v_dual_mov_b32 v19, v17
	v_add_nc_u32_e32 v12, 1, v12
	v_dual_mov_b32 v18, v16 :: v_dual_mov_b32 v15, v17
	s_delay_alu instid0(VALU_DEP_2) | instskip(SKIP_1) | instid1(VALU_DEP_2)
	v_and_b32_e32 v22, 3, v12
	v_dual_mov_b32 v12, v16 :: v_dual_mov_b32 v13, v17
	v_cmpx_ne_u32_e32 0, v22
	s_cbranch_execz .LBB46_33
; %bb.30:
	v_lshlrev_b64 v[14:15], 3, v[0:1]
	v_dual_mov_b32 v23, 0 :: v_dual_mov_b32 v12, 0
	v_dual_mov_b32 v13, 0 :: v_dual_lshlrev_b32 v22, 4, v22
	s_delay_alu instid0(VALU_DEP_3) | instskip(NEXT) | instid1(VALU_DEP_4)
	v_add_co_u32 v24, vcc_lo, s8, v14
	v_add_co_ci_u32_e32 v25, vcc_lo, s9, v15, vcc_lo
	s_delay_alu instid0(VALU_DEP_3)
	v_dual_mov_b32 v15, v13 :: v_dual_mov_b32 v14, v12
	v_dual_mov_b32 v19, v13 :: v_dual_mov_b32 v18, v12
	;; [unrolled: 1-line block ×3, first 2 shown]
.LBB46_31:                              ; =>This Inner Loop Header: Depth=1
	global_load_b64 v[30:31], v[24:25], off
	global_load_b128 v[26:29], v[6:7], off offset:16
	v_add_co_u32 v24, s2, v24, 64
	s_delay_alu instid0(VALU_DEP_1) | instskip(SKIP_3) | instid1(VALU_DEP_1)
	v_add_co_ci_u32_e64 v25, s2, 0, v25, s2
	s_waitcnt vmcnt(1)
	v_sub_co_u32 v30, vcc_lo, v30, s12
	v_subrev_co_ci_u32_e32 v31, vcc_lo, s15, v31, vcc_lo
	v_lshlrev_b64 v[30:31], 5, v[30:31]
	s_waitcnt lgkmcnt(0)
	s_delay_alu instid0(VALU_DEP_1) | instskip(NEXT) | instid1(VALU_DEP_2)
	v_add_co_u32 v30, vcc_lo, s4, v30
	v_add_co_ci_u32_e32 v31, vcc_lo, s5, v31, vcc_lo
	global_load_b128 v[33:36], v[6:7], off
	s_clause 0x1
	global_load_b128 v[37:40], v[30:31], off
	global_load_b128 v[41:44], v[30:31], off offset:16
	s_clause 0x5
	global_load_b128 v[45:48], v[6:7], off offset:32
	global_load_b128 v[49:52], v[6:7], off offset:48
	;; [unrolled: 1-line block ×6, first 2 shown]
	v_add_co_u32 v6, vcc_lo, 0x400, v6
	v_add_co_ci_u32_e32 v7, vcc_lo, 0, v7, vcc_lo
	v_add_co_u32 v22, vcc_lo, v22, -16
	v_add_co_ci_u32_e32 v23, vcc_lo, -1, v23, vcc_lo
	v_add_co_u32 v0, vcc_lo, v0, 8
	v_add_co_ci_u32_e32 v1, vcc_lo, 0, v1, vcc_lo
	s_delay_alu instid0(VALU_DEP_3)
	v_cmp_eq_u64_e32 vcc_lo, 0, v[22:23]
	s_or_b32 s7, vcc_lo, s7
	s_waitcnt vmcnt(7)
	v_fma_f64 v[16:17], v[33:34], v[37:38], v[16:17]
	v_fma_f64 v[18:19], v[35:36], v[37:38], v[18:19]
	;; [unrolled: 1-line block ×4, first 2 shown]
	s_waitcnt vmcnt(5)
	s_delay_alu instid0(VALU_DEP_4) | instskip(NEXT) | instid1(VALU_DEP_4)
	v_fma_f64 v[16:17], v[45:46], v[39:40], v[16:17]
	v_fma_f64 v[18:19], v[47:48], v[39:40], v[18:19]
	s_waitcnt vmcnt(4)
	s_delay_alu instid0(VALU_DEP_4) | instskip(NEXT) | instid1(VALU_DEP_4)
	v_fma_f64 v[14:15], v[49:50], v[39:40], v[14:15]
	v_fma_f64 v[12:13], v[51:52], v[39:40], v[12:13]
	;; [unrolled: 4-line block ×6, first 2 shown]
	s_and_not1_b32 exec_lo, exec_lo, s7
	s_cbranch_execnz .LBB46_31
; %bb.32:
	s_or_b32 exec_lo, exec_lo, s7
.LBB46_33:
	s_delay_alu instid0(SALU_CYCLE_1) | instskip(NEXT) | instid1(SALU_CYCLE_1)
	s_or_b32 exec_lo, exec_lo, s6
	s_mov_b32 s6, exec_lo
	v_cmpx_lt_u64_e32 23, v[20:21]
	s_cbranch_execz .LBB46_37
; %bb.34:
	v_lshlrev_b64 v[20:21], 3, v[0:1]
	s_mov_b32 s7, 0
	s_delay_alu instid0(VALU_DEP_1) | instskip(NEXT) | instid1(VALU_DEP_2)
	v_add_co_u32 v20, vcc_lo, v20, s8
	v_add_co_ci_u32_e32 v21, vcc_lo, s9, v21, vcc_lo
	s_delay_alu instid0(VALU_DEP_2) | instskip(NEXT) | instid1(VALU_DEP_2)
	v_add_co_u32 v20, vcc_lo, 0x80, v20
	v_add_co_ci_u32_e32 v21, vcc_lo, 0, v21, vcc_lo
.LBB46_35:                              ; =>This Inner Loop Header: Depth=1
	s_clause 0x2
	global_load_b64 v[30:31], v[20:21], off offset:-128
	global_load_b64 v[69:70], v[20:21], off offset:-64
	global_load_b64 v[109:110], v[20:21], off
	s_clause 0x1
	global_load_b128 v[22:25], v[6:7], off offset:16
	global_load_b128 v[26:29], v[6:7], off
	global_load_b64 v[117:118], v[20:21], off offset:64
	v_add_co_u32 v20, s2, 0x100, v20
	s_delay_alu instid0(VALU_DEP_1) | instskip(SKIP_3) | instid1(VALU_DEP_1)
	v_add_co_ci_u32_e64 v21, s2, 0, v21, s2
	s_waitcnt vmcnt(5)
	v_sub_co_u32 v30, vcc_lo, v30, s12
	v_subrev_co_ci_u32_e32 v31, vcc_lo, s15, v31, vcc_lo
	v_lshlrev_b64 v[30:31], 5, v[30:31]
	s_waitcnt lgkmcnt(0)
	s_delay_alu instid0(VALU_DEP_1) | instskip(NEXT) | instid1(VALU_DEP_2)
	v_add_co_u32 v30, vcc_lo, s4, v30
	v_add_co_ci_u32_e32 v31, vcc_lo, s5, v31, vcc_lo
	global_load_b128 v[33:36], v[30:31], off
	s_clause 0x3
	global_load_b128 v[37:40], v[6:7], off offset:32
	global_load_b128 v[41:44], v[6:7], off offset:48
	;; [unrolled: 1-line block ×5, first 2 shown]
	s_clause 0x2
	global_load_b128 v[57:60], v[6:7], off offset:96
	global_load_b128 v[61:64], v[6:7], off offset:112
	;; [unrolled: 1-line block ×3, first 2 shown]
	s_waitcnt vmcnt(13)
	v_sub_co_u32 v30, vcc_lo, v69, s12
	v_subrev_co_ci_u32_e32 v31, vcc_lo, s15, v70, vcc_lo
	s_delay_alu instid0(VALU_DEP_1) | instskip(NEXT) | instid1(VALU_DEP_1)
	v_lshlrev_b64 v[30:31], 5, v[30:31]
	v_add_co_u32 v30, vcc_lo, s4, v30
	s_delay_alu instid0(VALU_DEP_2)
	v_add_co_ci_u32_e32 v31, vcc_lo, s5, v31, vcc_lo
	global_load_b128 v[69:72], v[6:7], off offset:1024
	global_load_b128 v[73:76], v[30:31], off
	s_clause 0x3
	global_load_b128 v[77:80], v[6:7], off offset:1056
	global_load_b128 v[81:84], v[6:7], off offset:1072
	;; [unrolled: 1-line block ×5, first 2 shown]
	s_clause 0x2
	global_load_b128 v[97:100], v[6:7], off offset:1120
	global_load_b128 v[101:104], v[6:7], off offset:1136
	;; [unrolled: 1-line block ×3, first 2 shown]
	s_waitcnt vmcnt(22)
	v_sub_co_u32 v30, vcc_lo, v109, s12
	v_subrev_co_ci_u32_e32 v31, vcc_lo, s15, v110, vcc_lo
	s_delay_alu instid0(VALU_DEP_1) | instskip(NEXT) | instid1(VALU_DEP_1)
	v_lshlrev_b64 v[30:31], 5, v[30:31]
	v_add_co_u32 v30, vcc_lo, s4, v30
	s_delay_alu instid0(VALU_DEP_2)
	v_add_co_ci_u32_e32 v31, vcc_lo, s5, v31, vcc_lo
	global_load_b128 v[109:112], v[6:7], off offset:2048
	global_load_b128 v[113:116], v[30:31], off
	s_waitcnt vmcnt(20)
	v_fma_f64 v[26:27], v[26:27], v[33:34], v[16:17]
	v_fma_f64 v[28:29], v[28:29], v[33:34], v[18:19]
	;; [unrolled: 1-line block ×4, first 2 shown]
	s_clause 0x1
	global_load_b128 v[12:15], v[6:7], off offset:2080
	global_load_b128 v[16:19], v[6:7], off offset:2096
	s_waitcnt vmcnt(21)
	v_fma_f64 v[37:38], v[37:38], v[35:36], v[26:27]
	v_fma_f64 v[39:40], v[39:40], v[35:36], v[28:29]
	s_waitcnt vmcnt(20)
	v_fma_f64 v[41:42], v[41:42], v[35:36], v[22:23]
	v_fma_f64 v[43:44], v[43:44], v[35:36], v[24:25]
	s_clause 0x1
	global_load_b128 v[22:25], v[6:7], off offset:2112
	global_load_b128 v[26:29], v[6:7], off offset:2128
	;; [unrolled: 1-line block ×3, first 2 shown]
	s_waitcnt vmcnt(20)
	v_fma_f64 v[30:31], v[45:46], v[53:54], v[37:38]
	v_fma_f64 v[119:120], v[47:48], v[53:54], v[39:40]
	;; [unrolled: 1-line block ×4, first 2 shown]
	s_clause 0x2
	global_load_b128 v[37:40], v[6:7], off offset:2144
	global_load_b128 v[41:44], v[6:7], off offset:2160
	;; [unrolled: 1-line block ×3, first 2 shown]
	v_sub_co_u32 v53, vcc_lo, v117, s12
	v_subrev_co_ci_u32_e32 v54, vcc_lo, s15, v118, vcc_lo
	s_waitcnt vmcnt(22)
	v_fma_f64 v[30:31], v[57:58], v[55:56], v[30:31]
	v_fma_f64 v[57:58], v[59:60], v[55:56], v[119:120]
	s_waitcnt vmcnt(21)
	v_fma_f64 v[59:60], v[61:62], v[55:56], v[49:50]
	v_fma_f64 v[61:62], v[63:64], v[55:56], v[51:52]
	v_lshlrev_b64 v[49:50], 5, v[53:54]
	s_delay_alu instid0(VALU_DEP_1) | instskip(NEXT) | instid1(VALU_DEP_2)
	v_add_co_u32 v117, vcc_lo, s4, v49
	v_add_co_ci_u32_e32 v118, vcc_lo, s5, v50, vcc_lo
	global_load_b128 v[49:52], v[6:7], off offset:3072
	global_load_b128 v[53:56], v[117:118], off
	v_add_co_u32 v0, vcc_lo, v0, 32
	v_add_co_ci_u32_e32 v1, vcc_lo, 0, v1, vcc_lo
	s_waitcnt vmcnt(20)
	v_fma_f64 v[30:31], v[69:70], v[73:74], v[30:31]
	v_fma_f64 v[69:70], v[71:72], v[73:74], v[57:58]
	;; [unrolled: 1-line block ×4, first 2 shown]
	s_clause 0x1
	global_load_b128 v[57:60], v[6:7], off offset:3104
	global_load_b128 v[61:64], v[6:7], off offset:3120
	s_waitcnt vmcnt(21)
	v_fma_f64 v[30:31], v[77:78], v[75:76], v[30:31]
	v_fma_f64 v[77:78], v[79:80], v[75:76], v[69:70]
	s_waitcnt vmcnt(20)
	v_fma_f64 v[79:80], v[81:82], v[75:76], v[65:66]
	v_fma_f64 v[81:82], v[83:84], v[75:76], v[67:68]
	s_clause 0x1
	global_load_b128 v[65:68], v[6:7], off offset:3136
	global_load_b128 v[69:72], v[6:7], off offset:3152
	;; [unrolled: 1-line block ×3, first 2 shown]
	s_waitcnt vmcnt(20)
	v_fma_f64 v[30:31], v[85:86], v[93:94], v[30:31]
	v_fma_f64 v[85:86], v[87:88], v[93:94], v[77:78]
	;; [unrolled: 1-line block ×4, first 2 shown]
	s_clause 0x1
	global_load_b128 v[77:80], v[6:7], off offset:3168
	global_load_b128 v[81:84], v[6:7], off offset:3184
	v_add_co_u32 v6, vcc_lo, 0x1000, v6
	v_add_co_ci_u32_e32 v7, vcc_lo, 0, v7, vcc_lo
	v_cmp_ge_i64_e32 vcc_lo, v[0:1], v[4:5]
	s_or_b32 s7, vcc_lo, s7
	s_waitcnt vmcnt(21)
	v_fma_f64 v[30:31], v[97:98], v[95:96], v[30:31]
	v_fma_f64 v[85:86], v[99:100], v[95:96], v[85:86]
	s_waitcnt vmcnt(20)
	v_fma_f64 v[87:88], v[101:102], v[95:96], v[87:88]
	v_fma_f64 v[89:90], v[103:104], v[95:96], v[89:90]
	s_waitcnt vmcnt(17)
	s_delay_alu instid0(VALU_DEP_4) | instskip(NEXT) | instid1(VALU_DEP_4)
	v_fma_f64 v[30:31], v[109:110], v[113:114], v[30:31]
	v_fma_f64 v[85:86], v[111:112], v[113:114], v[85:86]
	s_delay_alu instid0(VALU_DEP_4) | instskip(NEXT) | instid1(VALU_DEP_4)
	v_fma_f64 v[87:88], v[105:106], v[113:114], v[87:88]
	v_fma_f64 v[89:90], v[107:108], v[113:114], v[89:90]
	s_waitcnt vmcnt(16)
	s_delay_alu instid0(VALU_DEP_4) | instskip(NEXT) | instid1(VALU_DEP_4)
	v_fma_f64 v[12:13], v[12:13], v[115:116], v[30:31]
	v_fma_f64 v[14:15], v[14:15], v[115:116], v[85:86]
	s_waitcnt vmcnt(15)
	s_delay_alu instid0(VALU_DEP_4) | instskip(NEXT) | instid1(VALU_DEP_4)
	v_fma_f64 v[16:17], v[16:17], v[115:116], v[87:88]
	v_fma_f64 v[18:19], v[18:19], v[115:116], v[89:90]
	s_waitcnt vmcnt(12)
	s_delay_alu instid0(VALU_DEP_4) | instskip(NEXT) | instid1(VALU_DEP_4)
	v_fma_f64 v[12:13], v[22:23], v[33:34], v[12:13]
	v_fma_f64 v[14:15], v[24:25], v[33:34], v[14:15]
	s_delay_alu instid0(VALU_DEP_4) | instskip(NEXT) | instid1(VALU_DEP_4)
	v_fma_f64 v[16:17], v[26:27], v[33:34], v[16:17]
	v_fma_f64 v[18:19], v[28:29], v[33:34], v[18:19]
	s_waitcnt vmcnt(11)
	s_delay_alu instid0(VALU_DEP_4) | instskip(NEXT) | instid1(VALU_DEP_4)
	v_fma_f64 v[12:13], v[37:38], v[35:36], v[12:13]
	v_fma_f64 v[14:15], v[39:40], v[35:36], v[14:15]
	s_waitcnt vmcnt(10)
	s_delay_alu instid0(VALU_DEP_4) | instskip(NEXT) | instid1(VALU_DEP_4)
	;; [unrolled: 15-line block ×4, first 2 shown]
	v_fma_f64 v[14:15], v[81:82], v[75:76], v[22:23]
	v_fma_f64 v[12:13], v[83:84], v[75:76], v[24:25]
	s_and_not1_b32 exec_lo, exec_lo, s7
	s_cbranch_execnz .LBB46_35
; %bb.36:
	s_or_b32 exec_lo, exec_lo, s7
.LBB46_37:
	s_delay_alu instid0(SALU_CYCLE_1)
	s_or_b32 exec_lo, exec_lo, s6
.LBB46_38:
	s_delay_alu instid0(SALU_CYCLE_1)
	s_or_b32 exec_lo, exec_lo, s3
.LBB46_39:
	v_mbcnt_lo_u32_b32 v24, -1, 0
	s_delay_alu instid0(VALU_DEP_1) | instskip(NEXT) | instid1(VALU_DEP_1)
	v_xor_b32_e32 v0, 4, v24
	v_cmp_gt_i32_e32 vcc_lo, 32, v0
	v_cndmask_b32_e32 v0, v24, v0, vcc_lo
	s_delay_alu instid0(VALU_DEP_1)
	v_lshlrev_b32_e32 v21, 2, v0
	ds_bpermute_b32 v6, v21, v14
	ds_bpermute_b32 v7, v21, v15
	s_waitcnt lgkmcnt(0)
	v_add_f64 v[14:15], v[14:15], v[6:7]
	v_xor_b32_e32 v6, 2, v24
	s_delay_alu instid0(VALU_DEP_1)
	v_cmp_gt_i32_e32 vcc_lo, 32, v6
	v_cndmask_b32_e32 v6, v24, v6, vcc_lo
	ds_bpermute_b32 v0, v21, v16
	ds_bpermute_b32 v1, v21, v17
	;; [unrolled: 1-line block ×6, first 2 shown]
	s_waitcnt lgkmcnt(4)
	v_add_f64 v[0:1], v[16:17], v[0:1]
	s_waitcnt lgkmcnt(2)
	v_add_f64 v[4:5], v[18:19], v[4:5]
	;; [unrolled: 2-line block ×3, first 2 shown]
	v_lshlrev_b32_e32 v12, 2, v6
	ds_bpermute_b32 v20, v12, v14
	ds_bpermute_b32 v21, v12, v15
	;; [unrolled: 1-line block ×8, first 2 shown]
	s_waitcnt lgkmcnt(4)
	v_add_f64 v[12:13], v[0:1], v[6:7]
	v_add_f64 v[0:1], v[14:15], v[20:21]
	s_waitcnt lgkmcnt(2)
	v_add_f64 v[6:7], v[4:5], v[18:19]
	v_xor_b32_e32 v14, 1, v24
	s_waitcnt lgkmcnt(0)
	v_add_f64 v[4:5], v[16:17], v[22:23]
	s_delay_alu instid0(VALU_DEP_2) | instskip(SKIP_2) | instid1(VALU_DEP_2)
	v_cmp_gt_i32_e32 vcc_lo, 32, v14
	v_cndmask_b32_e32 v14, v24, v14, vcc_lo
	v_cmp_eq_u32_e32 vcc_lo, 7, v32
	v_lshlrev_b32_e32 v15, 2, v14
	ds_bpermute_b32 v20, v15, v12
	ds_bpermute_b32 v21, v15, v13
	;; [unrolled: 1-line block ×8, first 2 shown]
	s_and_b32 exec_lo, exec_lo, vcc_lo
	s_cbranch_execz .LBB46_10
; %bb.40:
	s_waitcnt lgkmcnt(6)
	v_add_f64 v[12:13], v[12:13], v[20:21]
	s_waitcnt lgkmcnt(4)
	v_add_f64 v[6:7], v[6:7], v[18:19]
	;; [unrolled: 2-line block ×4, first 2 shown]
	s_load_b64 s[0:1], s[0:1], 0x58
	v_lshlrev_b64 v[10:11], 5, v[10:11]
	s_mov_b32 s2, exec_lo
	v_mul_f64 v[4:5], v[2:3], v[12:13]
	v_mul_f64 v[6:7], v[2:3], v[6:7]
	;; [unrolled: 1-line block ×4, first 2 shown]
	v_cmpx_eq_f64_e32 0, v[8:9]
	s_xor_b32 s2, exec_lo, s2
	s_cbranch_execz .LBB46_42
; %bb.41:
	s_waitcnt lgkmcnt(0)
	v_add_co_u32 v8, vcc_lo, s0, v10
	v_add_co_ci_u32_e32 v9, vcc_lo, s1, v11, vcc_lo
                                        ; implicit-def: $vgpr10_vgpr11
	s_clause 0x1
	global_store_b128 v[8:9], v[4:7], off
	global_store_b128 v[8:9], v[0:3], off offset:16
                                        ; implicit-def: $vgpr8_vgpr9
                                        ; implicit-def: $vgpr4_vgpr5
                                        ; implicit-def: $vgpr0_vgpr1
.LBB46_42:
	s_and_not1_saveexec_b32 s2, s2
	s_cbranch_execz .LBB46_10
; %bb.43:
	s_waitcnt lgkmcnt(0)
	v_add_co_u32 v18, vcc_lo, s0, v10
	v_add_co_ci_u32_e32 v19, vcc_lo, s1, v11, vcc_lo
	s_clause 0x1
	global_load_b128 v[10:13], v[18:19], off
	global_load_b128 v[14:17], v[18:19], off offset:16
	s_waitcnt vmcnt(1)
	v_fma_f64 v[4:5], v[8:9], v[10:11], v[4:5]
	v_fma_f64 v[6:7], v[8:9], v[12:13], v[6:7]
	s_waitcnt vmcnt(0)
	v_fma_f64 v[0:1], v[8:9], v[14:15], v[0:1]
	v_fma_f64 v[2:3], v[8:9], v[16:17], v[2:3]
	s_clause 0x1
	global_store_b128 v[18:19], v[4:7], off
	global_store_b128 v[18:19], v[0:3], off offset:16
	s_nop 0
	s_sendmsg sendmsg(MSG_DEALLOC_VGPRS)
	s_endpgm
	.section	.rodata,"a",@progbits
	.p2align	6, 0x0
	.amdhsa_kernel _ZN9rocsparseL18bsrxmvn_4x4_kernelILj128ELj8EdlldddEEvT3_20rocsparse_direction_NS_24const_host_device_scalarIT1_EES1_PKS1_PKT2_SA_S7_PKT4_PKT5_S5_PT6_21rocsparse_index_base_b
		.amdhsa_group_segment_fixed_size 0
		.amdhsa_private_segment_fixed_size 0
		.amdhsa_kernarg_size 104
		.amdhsa_user_sgpr_count 15
		.amdhsa_user_sgpr_dispatch_ptr 0
		.amdhsa_user_sgpr_queue_ptr 0
		.amdhsa_user_sgpr_kernarg_segment_ptr 1
		.amdhsa_user_sgpr_dispatch_id 0
		.amdhsa_user_sgpr_private_segment_size 0
		.amdhsa_wavefront_size32 1
		.amdhsa_uses_dynamic_stack 0
		.amdhsa_enable_private_segment 0
		.amdhsa_system_sgpr_workgroup_id_x 1
		.amdhsa_system_sgpr_workgroup_id_y 0
		.amdhsa_system_sgpr_workgroup_id_z 0
		.amdhsa_system_sgpr_workgroup_info 0
		.amdhsa_system_vgpr_workitem_id 0
		.amdhsa_next_free_vgpr 149
		.amdhsa_next_free_sgpr 16
		.amdhsa_reserve_vcc 1
		.amdhsa_float_round_mode_32 0
		.amdhsa_float_round_mode_16_64 0
		.amdhsa_float_denorm_mode_32 3
		.amdhsa_float_denorm_mode_16_64 3
		.amdhsa_dx10_clamp 1
		.amdhsa_ieee_mode 1
		.amdhsa_fp16_overflow 0
		.amdhsa_workgroup_processor_mode 1
		.amdhsa_memory_ordered 1
		.amdhsa_forward_progress 0
		.amdhsa_shared_vgpr_count 0
		.amdhsa_exception_fp_ieee_invalid_op 0
		.amdhsa_exception_fp_denorm_src 0
		.amdhsa_exception_fp_ieee_div_zero 0
		.amdhsa_exception_fp_ieee_overflow 0
		.amdhsa_exception_fp_ieee_underflow 0
		.amdhsa_exception_fp_ieee_inexact 0
		.amdhsa_exception_int_div_zero 0
	.end_amdhsa_kernel
	.section	.text._ZN9rocsparseL18bsrxmvn_4x4_kernelILj128ELj8EdlldddEEvT3_20rocsparse_direction_NS_24const_host_device_scalarIT1_EES1_PKS1_PKT2_SA_S7_PKT4_PKT5_S5_PT6_21rocsparse_index_base_b,"axG",@progbits,_ZN9rocsparseL18bsrxmvn_4x4_kernelILj128ELj8EdlldddEEvT3_20rocsparse_direction_NS_24const_host_device_scalarIT1_EES1_PKS1_PKT2_SA_S7_PKT4_PKT5_S5_PT6_21rocsparse_index_base_b,comdat
.Lfunc_end46:
	.size	_ZN9rocsparseL18bsrxmvn_4x4_kernelILj128ELj8EdlldddEEvT3_20rocsparse_direction_NS_24const_host_device_scalarIT1_EES1_PKS1_PKT2_SA_S7_PKT4_PKT5_S5_PT6_21rocsparse_index_base_b, .Lfunc_end46-_ZN9rocsparseL18bsrxmvn_4x4_kernelILj128ELj8EdlldddEEvT3_20rocsparse_direction_NS_24const_host_device_scalarIT1_EES1_PKS1_PKT2_SA_S7_PKT4_PKT5_S5_PT6_21rocsparse_index_base_b
                                        ; -- End function
	.section	.AMDGPU.csdata,"",@progbits
; Kernel info:
; codeLenInByte = 5324
; NumSgprs: 18
; NumVgprs: 149
; ScratchSize: 0
; MemoryBound: 1
; FloatMode: 240
; IeeeMode: 1
; LDSByteSize: 0 bytes/workgroup (compile time only)
; SGPRBlocks: 2
; VGPRBlocks: 18
; NumSGPRsForWavesPerEU: 18
; NumVGPRsForWavesPerEU: 149
; Occupancy: 9
; WaveLimiterHint : 1
; COMPUTE_PGM_RSRC2:SCRATCH_EN: 0
; COMPUTE_PGM_RSRC2:USER_SGPR: 15
; COMPUTE_PGM_RSRC2:TRAP_HANDLER: 0
; COMPUTE_PGM_RSRC2:TGID_X_EN: 1
; COMPUTE_PGM_RSRC2:TGID_Y_EN: 0
; COMPUTE_PGM_RSRC2:TGID_Z_EN: 0
; COMPUTE_PGM_RSRC2:TIDIG_COMP_CNT: 0
	.section	.text._ZN9rocsparseL18bsrxmvn_4x4_kernelILj128ELj16EdlldddEEvT3_20rocsparse_direction_NS_24const_host_device_scalarIT1_EES1_PKS1_PKT2_SA_S7_PKT4_PKT5_S5_PT6_21rocsparse_index_base_b,"axG",@progbits,_ZN9rocsparseL18bsrxmvn_4x4_kernelILj128ELj16EdlldddEEvT3_20rocsparse_direction_NS_24const_host_device_scalarIT1_EES1_PKS1_PKT2_SA_S7_PKT4_PKT5_S5_PT6_21rocsparse_index_base_b,comdat
	.globl	_ZN9rocsparseL18bsrxmvn_4x4_kernelILj128ELj16EdlldddEEvT3_20rocsparse_direction_NS_24const_host_device_scalarIT1_EES1_PKS1_PKT2_SA_S7_PKT4_PKT5_S5_PT6_21rocsparse_index_base_b ; -- Begin function _ZN9rocsparseL18bsrxmvn_4x4_kernelILj128ELj16EdlldddEEvT3_20rocsparse_direction_NS_24const_host_device_scalarIT1_EES1_PKS1_PKT2_SA_S7_PKT4_PKT5_S5_PT6_21rocsparse_index_base_b
	.p2align	8
	.type	_ZN9rocsparseL18bsrxmvn_4x4_kernelILj128ELj16EdlldddEEvT3_20rocsparse_direction_NS_24const_host_device_scalarIT1_EES1_PKS1_PKT2_SA_S7_PKT4_PKT5_S5_PT6_21rocsparse_index_base_b,@function
_ZN9rocsparseL18bsrxmvn_4x4_kernelILj128ELj16EdlldddEEvT3_20rocsparse_direction_NS_24const_host_device_scalarIT1_EES1_PKS1_PKT2_SA_S7_PKT4_PKT5_S5_PT6_21rocsparse_index_base_b: ; @_ZN9rocsparseL18bsrxmvn_4x4_kernelILj128ELj16EdlldddEEvT3_20rocsparse_direction_NS_24const_host_device_scalarIT1_EES1_PKS1_PKT2_SA_S7_PKT4_PKT5_S5_PT6_21rocsparse_index_base_b
; %bb.0:
	s_clause 0x2
	s_load_b64 s[12:13], s[0:1], 0x60
	s_load_b128 s[4:7], s[0:1], 0x10
	s_load_b64 s[2:3], s[0:1], 0x50
	s_waitcnt lgkmcnt(0)
	s_bitcmp1_b32 s13, 0
	v_dual_mov_b32 v2, s4 :: v_dual_mov_b32 v3, s5
	s_cselect_b32 s8, -1, 0
	s_delay_alu instid0(SALU_CYCLE_1)
	s_and_b32 vcc_lo, exec_lo, s8
	s_xor_b32 s8, s8, -1
	s_cbranch_vccnz .LBB47_2
; %bb.1:
	v_dual_mov_b32 v1, s4 :: v_dual_mov_b32 v2, s5
	flat_load_b64 v[2:3], v[1:2]
.LBB47_2:
	v_dual_mov_b32 v9, s3 :: v_dual_mov_b32 v8, s2
	s_and_not1_b32 vcc_lo, exec_lo, s8
	s_cbranch_vccnz .LBB47_4
; %bb.3:
	v_dual_mov_b32 v5, s3 :: v_dual_mov_b32 v4, s2
	flat_load_b64 v[8:9], v[4:5]
.LBB47_4:
	s_waitcnt vmcnt(0) lgkmcnt(0)
	v_cmp_neq_f64_e32 vcc_lo, 0, v[2:3]
	v_cmp_neq_f64_e64 s2, 1.0, v[8:9]
	s_delay_alu instid0(VALU_DEP_1) | instskip(NEXT) | instid1(SALU_CYCLE_1)
	s_or_b32 s2, vcc_lo, s2
	s_and_saveexec_b32 s3, s2
	s_cbranch_execz .LBB47_10
; %bb.5:
	s_load_b64 s[2:3], s[0:1], 0x20
	v_lshrrev_b32_e32 v1, 4, v0
	v_mov_b32_e32 v5, 0
	s_mov_b32 s4, 0
	s_delay_alu instid0(VALU_DEP_2)
	v_lshl_or_b32 v4, s15, 3, v1
	s_waitcnt lgkmcnt(0)
	s_cmp_lg_u64 s[2:3], 0
	s_cbranch_scc0 .LBB47_11
; %bb.6:
	s_delay_alu instid0(VALU_DEP_1) | instskip(SKIP_2) | instid1(SALU_CYCLE_1)
	v_cmp_gt_i64_e32 vcc_lo, s[6:7], v[4:5]
	s_mov_b32 s5, 0
                                        ; implicit-def: $vgpr10_vgpr11
	s_and_saveexec_b32 s6, vcc_lo
	s_xor_b32 s6, exec_lo, s6
                                        ; implicit-def: $sgpr14_sgpr15
	s_cbranch_execz .LBB47_8
; %bb.7:
	v_lshlrev_b64 v[6:7], 3, v[4:5]
	s_mov_b32 s4, exec_lo
	s_mov_b32 s15, 0
	s_delay_alu instid0(VALU_DEP_1) | instskip(NEXT) | instid1(VALU_DEP_2)
	v_add_co_u32 v6, vcc_lo, s2, v6
	v_add_co_ci_u32_e32 v7, vcc_lo, s3, v7, vcc_lo
	global_load_b64 v[6:7], v[6:7], off
	s_waitcnt vmcnt(0)
	v_sub_co_u32 v10, vcc_lo, v6, s12
	v_subrev_co_ci_u32_e32 v11, vcc_lo, 0, v7, vcc_lo
.LBB47_8:
	s_or_b32 exec_lo, exec_lo, s6
	s_delay_alu instid0(SALU_CYCLE_1)
	s_and_b32 vcc_lo, exec_lo, s5
	s_cbranch_vccnz .LBB47_12
.LBB47_9:
	s_and_b32 exec_lo, exec_lo, s4
	s_cbranch_execnz .LBB47_15
.LBB47_10:
	s_nop 0
	s_sendmsg sendmsg(MSG_DEALLOC_VGPRS)
	s_endpgm
.LBB47_11:
                                        ; implicit-def: $vgpr10_vgpr11
                                        ; implicit-def: $sgpr14_sgpr15
	s_cbranch_execz .LBB47_9
.LBB47_12:
	s_load_b64 s[2:3], s[0:1], 0x0
                                        ; implicit-def: $vgpr10_vgpr11
	s_waitcnt lgkmcnt(0)
	v_cmp_gt_i64_e32 vcc_lo, s[2:3], v[4:5]
	s_and_saveexec_b32 s2, vcc_lo
                                        ; implicit-def: $sgpr14_sgpr15
; %bb.13:
	v_dual_mov_b32 v11, v5 :: v_dual_mov_b32 v10, v4
	s_mov_b32 s15, 0
	s_or_b32 s4, s4, exec_lo
; %bb.14:
	s_or_b32 exec_lo, exec_lo, s2
	s_delay_alu instid0(SALU_CYCLE_1)
	s_and_b32 exec_lo, exec_lo, s4
	s_cbranch_execz .LBB47_10
.LBB47_15:
	s_load_b256 s[4:11], s[0:1], 0x28
	v_lshlrev_b64 v[4:5], 3, v[10:11]
	v_and_b32_e32 v32, 15, v0
	s_load_b32 s3, s[0:1], 0x8
	s_waitcnt lgkmcnt(0)
	s_delay_alu instid0(VALU_DEP_2) | instskip(NEXT) | instid1(VALU_DEP_3)
	v_add_co_u32 v6, vcc_lo, s4, v4
	v_add_co_ci_u32_e32 v7, vcc_lo, s5, v5, vcc_lo
	v_add_co_u32 v1, vcc_lo, s6, v4
	v_add_co_ci_u32_e32 v4, vcc_lo, s7, v5, vcc_lo
	s_delay_alu instid0(VALU_DEP_4)
	v_add_co_u32 v12, vcc_lo, v6, 8
	global_load_b64 v[20:21], v[6:7], off
	v_add_co_ci_u32_e32 v5, vcc_lo, 0, v7, vcc_lo
	s_cmp_eq_u64 s[6:7], 0
	s_load_b64 s[4:5], s[0:1], 0x48
	s_cselect_b32 vcc_lo, -1, 0
	s_cmp_eq_u32 s3, 1
	v_dual_cndmask_b32 v5, v4, v5 :: v_dual_cndmask_b32 v4, v1, v12
	global_load_b64 v[4:5], v[4:5], off
	s_waitcnt vmcnt(1)
	v_sub_co_u32 v0, vcc_lo, v20, s12
	v_subrev_co_ci_u32_e32 v1, vcc_lo, s15, v21, vcc_lo
	s_delay_alu instid0(VALU_DEP_2) | instskip(NEXT) | instid1(VALU_DEP_2)
	v_add_co_u32 v0, vcc_lo, v0, v32
	v_add_co_ci_u32_e32 v1, vcc_lo, 0, v1, vcc_lo
	s_delay_alu instid0(VALU_DEP_1) | instskip(SKIP_3) | instid1(VALU_DEP_3)
	v_lshlrev_b64 v[6:7], 7, v[0:1]
	s_waitcnt vmcnt(0)
	v_sub_co_u32 v4, vcc_lo, v4, s12
	v_subrev_co_ci_u32_e32 v5, vcc_lo, s15, v5, vcc_lo
	v_add_co_u32 v6, vcc_lo, s10, v6
	s_delay_alu instid0(VALU_DEP_2)
	v_cmp_lt_i64_e64 s2, v[0:1], v[4:5]
	v_add_co_ci_u32_e32 v7, vcc_lo, s11, v7, vcc_lo
	s_cbranch_scc1 .LBB47_27
; %bb.16:
	v_mov_b32_e32 v12, 0
	v_mov_b32_e32 v13, 0
	s_delay_alu instid0(VALU_DEP_1)
	v_dual_mov_b32 v15, v13 :: v_dual_mov_b32 v14, v12
	v_dual_mov_b32 v19, v13 :: v_dual_mov_b32 v18, v12
	;; [unrolled: 1-line block ×3, first 2 shown]
	s_and_saveexec_b32 s6, s2
	s_cbranch_execz .LBB47_26
; %bb.17:
	v_or_b32_e32 v12, 16, v32
	v_not_b32_e32 v15, v20
	v_not_b32_e32 v14, v21
	s_mov_b32 s10, 0
	s_mov_b32 s7, exec_lo
	v_sub_co_u32 v12, s3, v12, s12
	s_delay_alu instid0(VALU_DEP_1) | instskip(SKIP_1) | instid1(VALU_DEP_3)
	v_sub_co_ci_u32_e64 v13, null, 0, s15, s3
	v_sub_co_u32 v16, s3, s12, v32
	v_add_co_u32 v12, vcc_lo, v12, v20
	s_delay_alu instid0(VALU_DEP_3) | instskip(SKIP_2) | instid1(VALU_DEP_3)
	v_add_co_ci_u32_e32 v13, vcc_lo, v13, v21, vcc_lo
	v_sub_co_ci_u32_e64 v17, null, s15, 0, s3
	v_mov_b32_e32 v23, v1
	v_cmp_gt_i64_e32 vcc_lo, v[12:13], v[4:5]
	v_dual_mov_b32 v25, v7 :: v_dual_mov_b32 v24, v6
	v_dual_cndmask_b32 v13, v5, v13 :: v_dual_cndmask_b32 v12, v4, v12
	v_add_co_u32 v15, vcc_lo, v16, v15
	v_add_co_ci_u32_e32 v14, vcc_lo, v17, v14, vcc_lo
	v_mov_b32_e32 v16, 0
	s_delay_alu instid0(VALU_DEP_3) | instskip(SKIP_1) | instid1(VALU_DEP_4)
	v_add_co_u32 v26, vcc_lo, v15, v12
	v_mov_b32_e32 v17, 0
	v_add_co_ci_u32_e32 v27, vcc_lo, v14, v13, vcc_lo
	s_delay_alu instid0(VALU_DEP_3) | instskip(SKIP_1) | instid1(VALU_DEP_4)
	v_lshrrev_b32_e32 v12, 4, v26
	v_mov_b32_e32 v14, v16
	v_dual_mov_b32 v22, v0 :: v_dual_mov_b32 v15, v17
	s_delay_alu instid0(VALU_DEP_3) | instskip(SKIP_1) | instid1(VALU_DEP_2)
	v_dual_mov_b32 v19, v17 :: v_dual_add_nc_u32 v12, 1, v12
	v_mov_b32_e32 v18, v16
	v_and_b32_e32 v28, 3, v12
	v_dual_mov_b32 v12, v16 :: v_dual_mov_b32 v13, v17
	s_delay_alu instid0(VALU_DEP_2)
	v_cmpx_ne_u32_e32 0, v28
	s_cbranch_execz .LBB47_21
; %bb.18:
	v_lshlrev_b64 v[14:15], 3, v[0:1]
	v_dual_mov_b32 v29, 0 :: v_dual_mov_b32 v12, 0
	v_dual_mov_b32 v13, 0 :: v_dual_lshlrev_b32 v28, 4, v28
	v_dual_mov_b32 v25, v7 :: v_dual_mov_b32 v24, v6
	s_delay_alu instid0(VALU_DEP_4)
	v_add_co_u32 v30, vcc_lo, s8, v14
	v_add_co_ci_u32_e32 v31, vcc_lo, s9, v15, vcc_lo
	v_dual_mov_b32 v23, v1 :: v_dual_mov_b32 v22, v0
	v_dual_mov_b32 v15, v13 :: v_dual_mov_b32 v14, v12
	;; [unrolled: 1-line block ×4, first 2 shown]
.LBB47_19:                              ; =>This Inner Loop Header: Depth=1
	global_load_b64 v[61:62], v[30:31], off
	s_clause 0x6
	global_load_b128 v[33:36], v[24:25], off offset:48
	global_load_b128 v[37:40], v[24:25], off offset:32
	;; [unrolled: 1-line block ×3, first 2 shown]
	global_load_b128 v[45:48], v[24:25], off
	global_load_b128 v[49:52], v[24:25], off offset:112
	global_load_b128 v[53:56], v[24:25], off offset:96
	;; [unrolled: 1-line block ×3, first 2 shown]
	v_add_co_u32 v30, s3, 0x80, v30
	s_delay_alu instid0(VALU_DEP_1) | instskip(SKIP_3) | instid1(VALU_DEP_1)
	v_add_co_ci_u32_e64 v31, s3, 0, v31, s3
	s_waitcnt vmcnt(7)
	v_sub_co_u32 v61, vcc_lo, v61, s12
	v_subrev_co_ci_u32_e32 v62, vcc_lo, s15, v62, vcc_lo
	v_lshlrev_b64 v[61:62], 5, v[61:62]
	s_waitcnt lgkmcnt(0)
	s_delay_alu instid0(VALU_DEP_1) | instskip(NEXT) | instid1(VALU_DEP_2)
	v_add_co_u32 v69, vcc_lo, s4, v61
	v_add_co_ci_u32_e32 v70, vcc_lo, s5, v62, vcc_lo
	global_load_b128 v[61:64], v[24:25], off offset:64
	s_clause 0x1
	global_load_b128 v[65:68], v[69:70], off
	global_load_b128 v[69:72], v[69:70], off offset:16
	v_add_co_u32 v24, vcc_lo, 0x800, v24
	v_add_co_ci_u32_e32 v25, vcc_lo, 0, v25, vcc_lo
	v_add_co_u32 v28, vcc_lo, v28, -16
	v_add_co_ci_u32_e32 v29, vcc_lo, -1, v29, vcc_lo
	v_add_co_u32 v22, vcc_lo, v22, 16
	v_add_co_ci_u32_e32 v23, vcc_lo, 0, v23, vcc_lo
	s_delay_alu instid0(VALU_DEP_3)
	v_cmp_eq_u64_e32 vcc_lo, 0, v[28:29]
	s_or_b32 s10, vcc_lo, s10
	s_waitcnt vmcnt(1)
	v_fma_f64 v[16:17], v[45:46], v[65:66], v[16:17]
	v_fma_f64 v[18:19], v[37:38], v[65:66], v[18:19]
	;; [unrolled: 1-line block ×4, first 2 shown]
	s_delay_alu instid0(VALU_DEP_4) | instskip(NEXT) | instid1(VALU_DEP_4)
	v_fma_f64 v[16:17], v[47:48], v[67:68], v[16:17]
	v_fma_f64 v[18:19], v[39:40], v[67:68], v[18:19]
	s_delay_alu instid0(VALU_DEP_4) | instskip(NEXT) | instid1(VALU_DEP_4)
	v_fma_f64 v[14:15], v[63:64], v[67:68], v[14:15]
	v_fma_f64 v[12:13], v[55:56], v[67:68], v[12:13]
	s_waitcnt vmcnt(0)
	s_delay_alu instid0(VALU_DEP_4) | instskip(NEXT) | instid1(VALU_DEP_4)
	v_fma_f64 v[16:17], v[41:42], v[69:70], v[16:17]
	v_fma_f64 v[18:19], v[33:34], v[69:70], v[18:19]
	s_delay_alu instid0(VALU_DEP_4) | instskip(NEXT) | instid1(VALU_DEP_4)
	v_fma_f64 v[14:15], v[57:58], v[69:70], v[14:15]
	v_fma_f64 v[12:13], v[49:50], v[69:70], v[12:13]
	;; [unrolled: 3-line block ×4, first 2 shown]
	s_and_not1_b32 exec_lo, exec_lo, s10
	s_cbranch_execnz .LBB47_19
; %bb.20:
	s_or_b32 exec_lo, exec_lo, s10
.LBB47_21:
	s_delay_alu instid0(SALU_CYCLE_1) | instskip(NEXT) | instid1(SALU_CYCLE_1)
	s_or_b32 exec_lo, exec_lo, s7
	s_mov_b32 s7, exec_lo
	v_cmpx_lt_u64_e32 47, v[26:27]
	s_cbranch_execz .LBB47_25
; %bb.22:
	v_lshlrev_b64 v[26:27], 3, v[22:23]
	s_mov_b32 s10, 0
	s_delay_alu instid0(VALU_DEP_1) | instskip(NEXT) | instid1(VALU_DEP_2)
	v_add_co_u32 v26, vcc_lo, v26, s8
	v_add_co_ci_u32_e32 v27, vcc_lo, s9, v27, vcc_lo
	s_delay_alu instid0(VALU_DEP_2) | instskip(NEXT) | instid1(VALU_DEP_2)
	v_add_co_u32 v26, vcc_lo, 0x100, v26
	v_add_co_ci_u32_e32 v27, vcc_lo, 0, v27, vcc_lo
.LBB47_23:                              ; =>This Inner Loop Header: Depth=1
	s_clause 0x2
	global_load_b64 v[61:62], v[26:27], off offset:-256
	global_load_b64 v[97:98], v[26:27], off offset:-128
	global_load_b64 v[133:134], v[26:27], off
	s_clause 0x7
	global_load_b128 v[28:31], v[24:25], off offset:48
	global_load_b128 v[33:36], v[24:25], off offset:32
	;; [unrolled: 1-line block ×3, first 2 shown]
	global_load_b128 v[41:44], v[24:25], off
	global_load_b128 v[45:48], v[24:25], off offset:112
	global_load_b128 v[49:52], v[24:25], off offset:96
	;; [unrolled: 1-line block ×4, first 2 shown]
	global_load_b64 v[141:142], v[26:27], off offset:128
	s_waitcnt vmcnt(11)
	v_sub_co_u32 v61, vcc_lo, v61, s12
	v_subrev_co_ci_u32_e32 v62, vcc_lo, s15, v62, vcc_lo
	s_delay_alu instid0(VALU_DEP_1) | instskip(SKIP_1) | instid1(VALU_DEP_1)
	v_lshlrev_b64 v[61:62], 5, v[61:62]
	s_waitcnt lgkmcnt(0)
	v_add_co_u32 v65, vcc_lo, s4, v61
	s_delay_alu instid0(VALU_DEP_2)
	v_add_co_ci_u32_e32 v66, vcc_lo, s5, v62, vcc_lo
	s_waitcnt vmcnt(10)
	v_sub_co_u32 v97, vcc_lo, v97, s12
	v_subrev_co_ci_u32_e32 v98, vcc_lo, s15, v98, vcc_lo
	s_clause 0x1
	global_load_b128 v[61:64], v[65:66], off
	global_load_b128 v[65:68], v[65:66], off offset:16
	s_clause 0x6
	global_load_b128 v[69:72], v[24:25], off offset:2096
	global_load_b128 v[73:76], v[24:25], off offset:2080
	;; [unrolled: 1-line block ×7, first 2 shown]
	v_lshlrev_b64 v[97:98], 5, v[97:98]
	s_delay_alu instid0(VALU_DEP_1) | instskip(NEXT) | instid1(VALU_DEP_2)
	v_add_co_u32 v105, vcc_lo, s4, v97
	v_add_co_ci_u32_e32 v106, vcc_lo, s5, v98, vcc_lo
	v_add_co_u32 v143, vcc_lo, 0x1000, v24
	global_load_b128 v[97:100], v[24:25], off offset:2112
	s_clause 0x1
	global_load_b128 v[101:104], v[105:106], off
	global_load_b128 v[105:108], v[105:106], off offset:16
	v_add_co_ci_u32_e32 v144, vcc_lo, 0, v25, vcc_lo
	s_waitcnt vmcnt(21)
	v_sub_co_u32 v133, vcc_lo, v133, s12
	v_subrev_co_ci_u32_e32 v134, vcc_lo, s15, v134, vcc_lo
	s_clause 0x5
	global_load_b128 v[109:112], v[143:144], off offset:48
	global_load_b128 v[113:116], v[143:144], off offset:32
	;; [unrolled: 1-line block ×6, first 2 shown]
	v_add_co_u32 v24, s3, 0x2000, v24
	v_lshlrev_b64 v[133:134], 5, v[133:134]
	v_add_co_ci_u32_e64 v25, s3, 0, v25, s3
	s_delay_alu instid0(VALU_DEP_2) | instskip(NEXT) | instid1(VALU_DEP_3)
	v_add_co_u32 v145, vcc_lo, s4, v133
	v_add_co_ci_u32_e32 v146, vcc_lo, s5, v134, vcc_lo
	global_load_b128 v[133:136], v[143:144], off
	global_load_b128 v[137:140], v[145:146], off
	s_waitcnt vmcnt(19)
	v_fma_f64 v[16:17], v[41:42], v[61:62], v[16:17]
	v_fma_f64 v[18:19], v[33:34], v[61:62], v[18:19]
	;; [unrolled: 1-line block ×4, first 2 shown]
	s_delay_alu instid0(VALU_DEP_4) | instskip(NEXT) | instid1(VALU_DEP_4)
	v_fma_f64 v[33:34], v[43:44], v[63:64], v[16:17]
	v_fma_f64 v[35:36], v[35:36], v[63:64], v[18:19]
	s_delay_alu instid0(VALU_DEP_4) | instskip(NEXT) | instid1(VALU_DEP_4)
	v_fma_f64 v[41:42], v[59:60], v[63:64], v[14:15]
	v_fma_f64 v[43:44], v[51:52], v[63:64], v[12:13]
	global_load_b128 v[12:15], v[143:144], off offset:16
	global_load_b128 v[16:19], v[145:146], off offset:16
	s_waitcnt vmcnt(20)
	v_fma_f64 v[37:38], v[37:38], v[65:66], v[33:34]
	v_fma_f64 v[28:29], v[28:29], v[65:66], v[35:36]
	;; [unrolled: 1-line block ×4, first 2 shown]
	s_clause 0x4
	global_load_b128 v[33:36], v[143:144], off offset:2096
	global_load_b128 v[41:44], v[143:144], off offset:2080
	;; [unrolled: 1-line block ×5, first 2 shown]
	v_fma_f64 v[65:66], v[39:40], v[67:68], v[37:38]
	v_fma_f64 v[145:146], v[30:31], v[67:68], v[28:29]
	;; [unrolled: 1-line block ×4, first 2 shown]
	v_sub_co_u32 v37, vcc_lo, v141, s12
	v_subrev_co_ci_u32_e32 v38, vcc_lo, s15, v142, vcc_lo
	s_delay_alu instid0(VALU_DEP_1) | instskip(NEXT) | instid1(VALU_DEP_1)
	v_lshlrev_b64 v[28:29], 5, v[37:38]
	v_add_co_u32 v67, vcc_lo, s4, v28
	s_delay_alu instid0(VALU_DEP_2)
	v_add_co_ci_u32_e32 v68, vcc_lo, s5, v29, vcc_lo
	global_load_b128 v[28:31], v[143:144], off offset:2144
	global_load_b128 v[37:40], v[67:68], off
	v_add_co_u32 v22, vcc_lo, v22, 64
	v_add_co_ci_u32_e32 v23, vcc_lo, 0, v23, vcc_lo
	v_add_co_u32 v26, vcc_lo, 0x200, v26
	v_add_co_ci_u32_e32 v27, vcc_lo, 0, v27, vcc_lo
	s_delay_alu instid0(VALU_DEP_3)
	v_cmp_ge_i64_e32 vcc_lo, v[22:23], v[4:5]
	s_or_b32 s10, vcc_lo, s10
	s_waitcnt vmcnt(18)
	v_fma_f64 v[47:48], v[81:82], v[101:102], v[65:66]
	v_fma_f64 v[55:56], v[73:74], v[101:102], v[145:146]
	;; [unrolled: 1-line block ×4, first 2 shown]
	s_delay_alu instid0(VALU_DEP_4) | instskip(NEXT) | instid1(VALU_DEP_4)
	v_fma_f64 v[73:74], v[83:84], v[103:104], v[47:48]
	v_fma_f64 v[75:76], v[75:76], v[103:104], v[55:56]
	s_delay_alu instid0(VALU_DEP_4) | instskip(NEXT) | instid1(VALU_DEP_4)
	v_fma_f64 v[81:82], v[99:100], v[103:104], v[53:54]
	v_fma_f64 v[83:84], v[91:92], v[103:104], v[45:46]
	s_clause 0x1
	global_load_b128 v[45:48], v[143:144], off offset:2160
	global_load_b128 v[53:56], v[143:144], off offset:2128
	;; [unrolled: 1-line block ×3, first 2 shown]
	s_waitcnt vmcnt(20)
	v_fma_f64 v[73:74], v[77:78], v[105:106], v[73:74]
	v_fma_f64 v[69:70], v[69:70], v[105:106], v[75:76]
	;; [unrolled: 1-line block ×4, first 2 shown]
	s_delay_alu instid0(VALU_DEP_4) | instskip(NEXT) | instid1(VALU_DEP_4)
	v_fma_f64 v[73:74], v[79:80], v[107:108], v[73:74]
	v_fma_f64 v[69:70], v[71:72], v[107:108], v[69:70]
	s_delay_alu instid0(VALU_DEP_4) | instskip(NEXT) | instid1(VALU_DEP_4)
	v_fma_f64 v[71:72], v[95:96], v[107:108], v[75:76]
	v_fma_f64 v[75:76], v[87:88], v[107:108], v[77:78]
	s_waitcnt vmcnt(12)
	s_delay_alu instid0(VALU_DEP_4) | instskip(NEXT) | instid1(VALU_DEP_4)
	v_fma_f64 v[73:74], v[133:134], v[137:138], v[73:74]
	v_fma_f64 v[69:70], v[113:114], v[137:138], v[69:70]
	s_delay_alu instid0(VALU_DEP_4) | instskip(NEXT) | instid1(VALU_DEP_4)
	v_fma_f64 v[71:72], v[129:130], v[137:138], v[71:72]
	v_fma_f64 v[75:76], v[121:122], v[137:138], v[75:76]
	s_delay_alu instid0(VALU_DEP_4) | instskip(NEXT) | instid1(VALU_DEP_4)
	v_fma_f64 v[73:74], v[135:136], v[139:140], v[73:74]
	v_fma_f64 v[69:70], v[115:116], v[139:140], v[69:70]
	s_delay_alu instid0(VALU_DEP_4) | instskip(NEXT) | instid1(VALU_DEP_4)
	v_fma_f64 v[71:72], v[131:132], v[139:140], v[71:72]
	v_fma_f64 v[75:76], v[123:124], v[139:140], v[75:76]
	s_waitcnt vmcnt(10)
	s_delay_alu instid0(VALU_DEP_4) | instskip(NEXT) | instid1(VALU_DEP_4)
	v_fma_f64 v[12:13], v[12:13], v[16:17], v[73:74]
	v_fma_f64 v[69:70], v[109:110], v[16:17], v[69:70]
	s_delay_alu instid0(VALU_DEP_4) | instskip(NEXT) | instid1(VALU_DEP_4)
	v_fma_f64 v[71:72], v[125:126], v[16:17], v[71:72]
	v_fma_f64 v[16:17], v[117:118], v[16:17], v[75:76]
	;; [unrolled: 13-line block ×4, first 2 shown]
	s_delay_alu instid0(VALU_DEP_4) | instskip(NEXT) | instid1(VALU_DEP_4)
	v_fma_f64 v[16:17], v[51:52], v[67:68], v[12:13]
	v_fma_f64 v[18:19], v[35:36], v[67:68], v[14:15]
	s_delay_alu instid0(VALU_DEP_4) | instskip(NEXT) | instid1(VALU_DEP_4)
	v_fma_f64 v[14:15], v[55:56], v[67:68], v[28:29]
	v_fma_f64 v[12:13], v[47:48], v[67:68], v[30:31]
	s_and_not1_b32 exec_lo, exec_lo, s10
	s_cbranch_execnz .LBB47_23
; %bb.24:
	s_or_b32 exec_lo, exec_lo, s10
.LBB47_25:
	s_delay_alu instid0(SALU_CYCLE_1)
	s_or_b32 exec_lo, exec_lo, s7
.LBB47_26:
	s_delay_alu instid0(SALU_CYCLE_1)
	s_or_b32 exec_lo, exec_lo, s6
	s_cbranch_execz .LBB47_28
	s_branch .LBB47_39
.LBB47_27:
                                        ; implicit-def: $vgpr12_vgpr13
                                        ; implicit-def: $vgpr14_vgpr15
                                        ; implicit-def: $vgpr18_vgpr19
                                        ; implicit-def: $vgpr16_vgpr17
.LBB47_28:
	v_mov_b32_e32 v12, 0
	v_mov_b32_e32 v13, 0
	s_delay_alu instid0(VALU_DEP_1)
	v_dual_mov_b32 v15, v13 :: v_dual_mov_b32 v14, v12
	v_dual_mov_b32 v19, v13 :: v_dual_mov_b32 v18, v12
	v_dual_mov_b32 v17, v13 :: v_dual_mov_b32 v16, v12
	s_and_saveexec_b32 s3, s2
	s_cbranch_execz .LBB47_38
; %bb.29:
	v_or_b32_e32 v12, 16, v32
	v_not_b32_e32 v15, v20
	v_not_b32_e32 v14, v21
	s_mov_b32 s7, 0
	s_mov_b32 s6, exec_lo
	v_sub_co_u32 v12, s2, v12, s12
	s_delay_alu instid0(VALU_DEP_1) | instskip(SKIP_1) | instid1(VALU_DEP_3)
	v_sub_co_ci_u32_e64 v13, null, 0, s15, s2
	v_sub_co_u32 v16, s2, s12, v32
	v_add_co_u32 v12, vcc_lo, v12, v20
	s_delay_alu instid0(VALU_DEP_3) | instskip(SKIP_1) | instid1(VALU_DEP_2)
	v_add_co_ci_u32_e32 v13, vcc_lo, v13, v21, vcc_lo
	v_sub_co_ci_u32_e64 v17, null, s15, 0, s2
	v_cmp_gt_i64_e32 vcc_lo, v[12:13], v[4:5]
	v_dual_cndmask_b32 v13, v5, v13 :: v_dual_cndmask_b32 v12, v4, v12
	v_add_co_u32 v15, vcc_lo, v16, v15
	s_delay_alu instid0(VALU_DEP_4) | instskip(SKIP_1) | instid1(VALU_DEP_3)
	v_add_co_ci_u32_e32 v14, vcc_lo, v17, v14, vcc_lo
	v_mov_b32_e32 v16, 0
	v_add_co_u32 v20, vcc_lo, v15, v12
	s_delay_alu instid0(VALU_DEP_3) | instskip(SKIP_1) | instid1(VALU_DEP_3)
	v_add_co_ci_u32_e32 v21, vcc_lo, v14, v13, vcc_lo
	v_mov_b32_e32 v17, 0
	v_lshrrev_b32_e32 v12, 4, v20
	s_delay_alu instid0(VALU_DEP_2) | instskip(NEXT) | instid1(VALU_DEP_2)
	v_dual_mov_b32 v14, v16 :: v_dual_mov_b32 v19, v17
	v_add_nc_u32_e32 v12, 1, v12
	v_dual_mov_b32 v18, v16 :: v_dual_mov_b32 v15, v17
	s_delay_alu instid0(VALU_DEP_2) | instskip(SKIP_1) | instid1(VALU_DEP_2)
	v_and_b32_e32 v22, 3, v12
	v_dual_mov_b32 v12, v16 :: v_dual_mov_b32 v13, v17
	v_cmpx_ne_u32_e32 0, v22
	s_cbranch_execz .LBB47_33
; %bb.30:
	v_lshlrev_b64 v[14:15], 3, v[0:1]
	v_dual_mov_b32 v23, 0 :: v_dual_mov_b32 v12, 0
	v_dual_mov_b32 v13, 0 :: v_dual_lshlrev_b32 v22, 4, v22
	s_delay_alu instid0(VALU_DEP_3) | instskip(NEXT) | instid1(VALU_DEP_4)
	v_add_co_u32 v24, vcc_lo, s8, v14
	v_add_co_ci_u32_e32 v25, vcc_lo, s9, v15, vcc_lo
	s_delay_alu instid0(VALU_DEP_3)
	v_dual_mov_b32 v15, v13 :: v_dual_mov_b32 v14, v12
	v_dual_mov_b32 v19, v13 :: v_dual_mov_b32 v18, v12
	;; [unrolled: 1-line block ×3, first 2 shown]
.LBB47_31:                              ; =>This Inner Loop Header: Depth=1
	global_load_b64 v[30:31], v[24:25], off
	global_load_b128 v[26:29], v[6:7], off offset:16
	v_add_co_u32 v24, s2, 0x80, v24
	s_delay_alu instid0(VALU_DEP_1) | instskip(SKIP_3) | instid1(VALU_DEP_1)
	v_add_co_ci_u32_e64 v25, s2, 0, v25, s2
	s_waitcnt vmcnt(1)
	v_sub_co_u32 v30, vcc_lo, v30, s12
	v_subrev_co_ci_u32_e32 v31, vcc_lo, s15, v31, vcc_lo
	v_lshlrev_b64 v[30:31], 5, v[30:31]
	s_waitcnt lgkmcnt(0)
	s_delay_alu instid0(VALU_DEP_1) | instskip(NEXT) | instid1(VALU_DEP_2)
	v_add_co_u32 v30, vcc_lo, s4, v30
	v_add_co_ci_u32_e32 v31, vcc_lo, s5, v31, vcc_lo
	global_load_b128 v[33:36], v[6:7], off
	s_clause 0x1
	global_load_b128 v[37:40], v[30:31], off
	global_load_b128 v[41:44], v[30:31], off offset:16
	s_clause 0x5
	global_load_b128 v[45:48], v[6:7], off offset:32
	global_load_b128 v[49:52], v[6:7], off offset:48
	;; [unrolled: 1-line block ×6, first 2 shown]
	v_add_co_u32 v6, vcc_lo, 0x800, v6
	v_add_co_ci_u32_e32 v7, vcc_lo, 0, v7, vcc_lo
	v_add_co_u32 v22, vcc_lo, v22, -16
	v_add_co_ci_u32_e32 v23, vcc_lo, -1, v23, vcc_lo
	v_add_co_u32 v0, vcc_lo, v0, 16
	v_add_co_ci_u32_e32 v1, vcc_lo, 0, v1, vcc_lo
	s_delay_alu instid0(VALU_DEP_3)
	v_cmp_eq_u64_e32 vcc_lo, 0, v[22:23]
	s_or_b32 s7, vcc_lo, s7
	s_waitcnt vmcnt(7)
	v_fma_f64 v[16:17], v[33:34], v[37:38], v[16:17]
	v_fma_f64 v[18:19], v[35:36], v[37:38], v[18:19]
	v_fma_f64 v[14:15], v[26:27], v[37:38], v[14:15]
	v_fma_f64 v[12:13], v[28:29], v[37:38], v[12:13]
	s_waitcnt vmcnt(5)
	s_delay_alu instid0(VALU_DEP_4) | instskip(NEXT) | instid1(VALU_DEP_4)
	v_fma_f64 v[16:17], v[45:46], v[39:40], v[16:17]
	v_fma_f64 v[18:19], v[47:48], v[39:40], v[18:19]
	s_waitcnt vmcnt(4)
	s_delay_alu instid0(VALU_DEP_4) | instskip(NEXT) | instid1(VALU_DEP_4)
	v_fma_f64 v[14:15], v[49:50], v[39:40], v[14:15]
	v_fma_f64 v[12:13], v[51:52], v[39:40], v[12:13]
	;; [unrolled: 4-line block ×6, first 2 shown]
	s_and_not1_b32 exec_lo, exec_lo, s7
	s_cbranch_execnz .LBB47_31
; %bb.32:
	s_or_b32 exec_lo, exec_lo, s7
.LBB47_33:
	s_delay_alu instid0(SALU_CYCLE_1) | instskip(NEXT) | instid1(SALU_CYCLE_1)
	s_or_b32 exec_lo, exec_lo, s6
	s_mov_b32 s6, exec_lo
	v_cmpx_lt_u64_e32 47, v[20:21]
	s_cbranch_execz .LBB47_37
; %bb.34:
	v_lshlrev_b64 v[20:21], 3, v[0:1]
	s_mov_b32 s7, 0
	s_delay_alu instid0(VALU_DEP_1) | instskip(NEXT) | instid1(VALU_DEP_2)
	v_add_co_u32 v20, vcc_lo, v20, s8
	v_add_co_ci_u32_e32 v21, vcc_lo, s9, v21, vcc_lo
	s_delay_alu instid0(VALU_DEP_2) | instskip(NEXT) | instid1(VALU_DEP_2)
	v_add_co_u32 v20, vcc_lo, 0x100, v20
	v_add_co_ci_u32_e32 v21, vcc_lo, 0, v21, vcc_lo
.LBB47_35:                              ; =>This Inner Loop Header: Depth=1
	s_clause 0x2
	global_load_b64 v[30:31], v[20:21], off offset:-256
	global_load_b64 v[69:70], v[20:21], off offset:-128
	global_load_b64 v[109:110], v[20:21], off
	s_clause 0x1
	global_load_b128 v[22:25], v[6:7], off offset:16
	global_load_b128 v[26:29], v[6:7], off
	global_load_b64 v[117:118], v[20:21], off offset:128
	s_waitcnt vmcnt(5)
	v_sub_co_u32 v30, vcc_lo, v30, s12
	v_subrev_co_ci_u32_e32 v31, vcc_lo, s15, v31, vcc_lo
	s_delay_alu instid0(VALU_DEP_1) | instskip(SKIP_1) | instid1(VALU_DEP_1)
	v_lshlrev_b64 v[30:31], 5, v[30:31]
	s_waitcnt lgkmcnt(0)
	v_add_co_u32 v30, vcc_lo, s4, v30
	s_delay_alu instid0(VALU_DEP_2)
	v_add_co_ci_u32_e32 v31, vcc_lo, s5, v31, vcc_lo
	global_load_b128 v[33:36], v[30:31], off
	s_clause 0x3
	global_load_b128 v[37:40], v[6:7], off offset:32
	global_load_b128 v[41:44], v[6:7], off offset:48
	;; [unrolled: 1-line block ×5, first 2 shown]
	s_clause 0x2
	global_load_b128 v[57:60], v[6:7], off offset:96
	global_load_b128 v[61:64], v[6:7], off offset:112
	;; [unrolled: 1-line block ×3, first 2 shown]
	s_waitcnt vmcnt(13)
	v_sub_co_u32 v30, vcc_lo, v69, s12
	v_subrev_co_ci_u32_e32 v31, vcc_lo, s15, v70, vcc_lo
	s_delay_alu instid0(VALU_DEP_1) | instskip(NEXT) | instid1(VALU_DEP_1)
	v_lshlrev_b64 v[30:31], 5, v[30:31]
	v_add_co_u32 v30, vcc_lo, s4, v30
	s_delay_alu instid0(VALU_DEP_2)
	v_add_co_ci_u32_e32 v31, vcc_lo, s5, v31, vcc_lo
	global_load_b128 v[69:72], v[6:7], off offset:2048
	global_load_b128 v[73:76], v[30:31], off
	s_clause 0x3
	global_load_b128 v[77:80], v[6:7], off offset:2080
	global_load_b128 v[81:84], v[6:7], off offset:2096
	;; [unrolled: 1-line block ×5, first 2 shown]
	s_clause 0x1
	global_load_b128 v[97:100], v[6:7], off offset:2144
	global_load_b128 v[101:104], v[6:7], off offset:2160
	v_add_co_u32 v30, vcc_lo, 0x1000, v6
	v_add_co_ci_u32_e32 v31, vcc_lo, 0, v7, vcc_lo
	s_waitcnt vmcnt(21)
	v_sub_co_u32 v109, vcc_lo, v109, s12
	v_subrev_co_ci_u32_e32 v110, vcc_lo, s15, v110, vcc_lo
	global_load_b128 v[105:108], v[30:31], off
	v_add_co_u32 v6, s2, 0x2000, v6
	v_lshlrev_b64 v[109:110], 5, v[109:110]
	v_add_co_ci_u32_e64 v7, s2, 0, v7, s2
	s_delay_alu instid0(VALU_DEP_2) | instskip(NEXT) | instid1(VALU_DEP_3)
	v_add_co_u32 v119, vcc_lo, s4, v109
	v_add_co_ci_u32_e32 v120, vcc_lo, s5, v110, vcc_lo
	global_load_b128 v[109:112], v[30:31], off offset:16
	global_load_b128 v[113:116], v[119:120], off
	s_waitcnt vmcnt(20)
	v_fma_f64 v[26:27], v[26:27], v[33:34], v[16:17]
	v_fma_f64 v[28:29], v[28:29], v[33:34], v[18:19]
	;; [unrolled: 1-line block ×4, first 2 shown]
	s_clause 0x1
	global_load_b128 v[12:15], v[30:31], off offset:32
	global_load_b128 v[16:19], v[30:31], off offset:48
	s_waitcnt vmcnt(21)
	v_fma_f64 v[37:38], v[37:38], v[35:36], v[26:27]
	v_fma_f64 v[39:40], v[39:40], v[35:36], v[28:29]
	s_waitcnt vmcnt(20)
	v_fma_f64 v[41:42], v[41:42], v[35:36], v[22:23]
	v_fma_f64 v[43:44], v[43:44], v[35:36], v[24:25]
	s_clause 0x1
	global_load_b128 v[22:25], v[30:31], off offset:80
	global_load_b128 v[26:29], v[30:31], off offset:64
	;; [unrolled: 1-line block ×3, first 2 shown]
	s_waitcnt vmcnt(20)
	v_fma_f64 v[119:120], v[45:46], v[53:54], v[37:38]
	v_fma_f64 v[121:122], v[47:48], v[53:54], v[39:40]
	;; [unrolled: 1-line block ×4, first 2 shown]
	s_clause 0x2
	global_load_b128 v[37:40], v[30:31], off offset:96
	global_load_b128 v[41:44], v[30:31], off offset:112
	;; [unrolled: 1-line block ×3, first 2 shown]
	v_sub_co_u32 v53, vcc_lo, v117, s12
	v_subrev_co_ci_u32_e32 v54, vcc_lo, s15, v118, vcc_lo
	s_waitcnt vmcnt(22)
	v_fma_f64 v[57:58], v[57:58], v[55:56], v[119:120]
	v_fma_f64 v[59:60], v[59:60], v[55:56], v[121:122]
	s_waitcnt vmcnt(21)
	v_fma_f64 v[61:62], v[61:62], v[55:56], v[49:50]
	v_fma_f64 v[63:64], v[63:64], v[55:56], v[51:52]
	v_lshlrev_b64 v[49:50], 5, v[53:54]
	s_delay_alu instid0(VALU_DEP_1) | instskip(NEXT) | instid1(VALU_DEP_2)
	v_add_co_u32 v117, vcc_lo, s4, v49
	v_add_co_ci_u32_e32 v118, vcc_lo, s5, v50, vcc_lo
	global_load_b128 v[49:52], v[30:31], off offset:2048
	global_load_b128 v[53:56], v[117:118], off
	v_add_co_u32 v0, vcc_lo, v0, 64
	v_add_co_ci_u32_e32 v1, vcc_lo, 0, v1, vcc_lo
	v_add_co_u32 v20, vcc_lo, 0x200, v20
	v_add_co_ci_u32_e32 v21, vcc_lo, 0, v21, vcc_lo
	s_delay_alu instid0(VALU_DEP_3)
	v_cmp_ge_i64_e32 vcc_lo, v[0:1], v[4:5]
	s_or_b32 s7, vcc_lo, s7
	s_waitcnt vmcnt(20)
	v_fma_f64 v[69:70], v[69:70], v[73:74], v[57:58]
	v_fma_f64 v[71:72], v[71:72], v[73:74], v[59:60]
	;; [unrolled: 1-line block ×4, first 2 shown]
	s_clause 0x1
	global_load_b128 v[57:60], v[30:31], off offset:2080
	global_load_b128 v[61:64], v[30:31], off offset:2096
	s_waitcnt vmcnt(21)
	v_fma_f64 v[77:78], v[77:78], v[75:76], v[69:70]
	v_fma_f64 v[79:80], v[79:80], v[75:76], v[71:72]
	s_waitcnt vmcnt(20)
	v_fma_f64 v[81:82], v[81:82], v[75:76], v[65:66]
	v_fma_f64 v[83:84], v[83:84], v[75:76], v[67:68]
	s_clause 0x1
	global_load_b128 v[65:68], v[30:31], off offset:2112
	global_load_b128 v[69:72], v[30:31], off offset:2128
	;; [unrolled: 1-line block ×3, first 2 shown]
	s_waitcnt vmcnt(20)
	v_fma_f64 v[85:86], v[85:86], v[93:94], v[77:78]
	v_fma_f64 v[87:88], v[87:88], v[93:94], v[79:80]
	;; [unrolled: 1-line block ×4, first 2 shown]
	s_clause 0x1
	global_load_b128 v[77:80], v[30:31], off offset:2144
	global_load_b128 v[81:84], v[30:31], off offset:2160
	s_waitcnt vmcnt(21)
	v_fma_f64 v[30:31], v[97:98], v[95:96], v[85:86]
	v_fma_f64 v[85:86], v[99:100], v[95:96], v[87:88]
	s_waitcnt vmcnt(20)
	v_fma_f64 v[87:88], v[101:102], v[95:96], v[89:90]
	v_fma_f64 v[89:90], v[103:104], v[95:96], v[91:92]
	s_waitcnt vmcnt(17)
	s_delay_alu instid0(VALU_DEP_4) | instskip(NEXT) | instid1(VALU_DEP_4)
	v_fma_f64 v[30:31], v[105:106], v[113:114], v[30:31]
	v_fma_f64 v[85:86], v[107:108], v[113:114], v[85:86]
	s_delay_alu instid0(VALU_DEP_4) | instskip(NEXT) | instid1(VALU_DEP_4)
	v_fma_f64 v[87:88], v[109:110], v[113:114], v[87:88]
	v_fma_f64 v[89:90], v[111:112], v[113:114], v[89:90]
	s_waitcnt vmcnt(16)
	s_delay_alu instid0(VALU_DEP_4) | instskip(NEXT) | instid1(VALU_DEP_4)
	v_fma_f64 v[12:13], v[12:13], v[115:116], v[30:31]
	v_fma_f64 v[14:15], v[14:15], v[115:116], v[85:86]
	s_waitcnt vmcnt(15)
	s_delay_alu instid0(VALU_DEP_4) | instskip(NEXT) | instid1(VALU_DEP_4)
	v_fma_f64 v[16:17], v[16:17], v[115:116], v[87:88]
	v_fma_f64 v[18:19], v[18:19], v[115:116], v[89:90]
	s_waitcnt vmcnt(12)
	s_delay_alu instid0(VALU_DEP_4) | instskip(NEXT) | instid1(VALU_DEP_4)
	v_fma_f64 v[12:13], v[26:27], v[33:34], v[12:13]
	v_fma_f64 v[14:15], v[28:29], v[33:34], v[14:15]
	s_delay_alu instid0(VALU_DEP_4) | instskip(NEXT) | instid1(VALU_DEP_4)
	v_fma_f64 v[16:17], v[22:23], v[33:34], v[16:17]
	v_fma_f64 v[18:19], v[24:25], v[33:34], v[18:19]
	s_waitcnt vmcnt(11)
	s_delay_alu instid0(VALU_DEP_4) | instskip(NEXT) | instid1(VALU_DEP_4)
	v_fma_f64 v[12:13], v[37:38], v[35:36], v[12:13]
	v_fma_f64 v[14:15], v[39:40], v[35:36], v[14:15]
	s_waitcnt vmcnt(10)
	s_delay_alu instid0(VALU_DEP_4) | instskip(NEXT) | instid1(VALU_DEP_4)
	;; [unrolled: 15-line block ×4, first 2 shown]
	v_fma_f64 v[14:15], v[81:82], v[75:76], v[22:23]
	v_fma_f64 v[12:13], v[83:84], v[75:76], v[24:25]
	s_and_not1_b32 exec_lo, exec_lo, s7
	s_cbranch_execnz .LBB47_35
; %bb.36:
	s_or_b32 exec_lo, exec_lo, s7
.LBB47_37:
	s_delay_alu instid0(SALU_CYCLE_1)
	s_or_b32 exec_lo, exec_lo, s6
.LBB47_38:
	s_delay_alu instid0(SALU_CYCLE_1)
	s_or_b32 exec_lo, exec_lo, s3
.LBB47_39:
	v_mbcnt_lo_u32_b32 v24, -1, 0
	s_delay_alu instid0(VALU_DEP_1) | instskip(NEXT) | instid1(VALU_DEP_1)
	v_xor_b32_e32 v0, 8, v24
	v_cmp_gt_i32_e32 vcc_lo, 32, v0
	v_cndmask_b32_e32 v0, v24, v0, vcc_lo
	s_delay_alu instid0(VALU_DEP_1)
	v_lshlrev_b32_e32 v21, 2, v0
	ds_bpermute_b32 v6, v21, v14
	ds_bpermute_b32 v7, v21, v15
	s_waitcnt lgkmcnt(0)
	v_add_f64 v[6:7], v[14:15], v[6:7]
	v_xor_b32_e32 v14, 4, v24
	s_delay_alu instid0(VALU_DEP_1)
	v_cmp_gt_i32_e32 vcc_lo, 32, v14
	v_cndmask_b32_e32 v14, v24, v14, vcc_lo
	ds_bpermute_b32 v0, v21, v16
	ds_bpermute_b32 v1, v21, v17
	;; [unrolled: 1-line block ×6, first 2 shown]
	s_waitcnt lgkmcnt(4)
	v_add_f64 v[0:1], v[16:17], v[0:1]
	s_waitcnt lgkmcnt(2)
	v_add_f64 v[4:5], v[18:19], v[4:5]
	;; [unrolled: 2-line block ×3, first 2 shown]
	v_lshlrev_b32_e32 v21, 2, v14
	ds_bpermute_b32 v18, v21, v6
	ds_bpermute_b32 v19, v21, v7
	;; [unrolled: 1-line block ×8, first 2 shown]
	s_waitcnt lgkmcnt(4)
	v_add_f64 v[0:1], v[0:1], v[14:15]
	v_add_f64 v[14:15], v[6:7], v[18:19]
	s_waitcnt lgkmcnt(2)
	v_add_f64 v[4:5], v[4:5], v[16:17]
	v_xor_b32_e32 v6, 2, v24
	s_waitcnt lgkmcnt(0)
	v_add_f64 v[16:17], v[12:13], v[20:21]
	s_delay_alu instid0(VALU_DEP_2) | instskip(SKIP_1) | instid1(VALU_DEP_1)
	v_cmp_gt_i32_e32 vcc_lo, 32, v6
	v_cndmask_b32_e32 v6, v24, v6, vcc_lo
	v_lshlrev_b32_e32 v12, 2, v6
	ds_bpermute_b32 v6, v12, v0
	ds_bpermute_b32 v7, v12, v1
	;; [unrolled: 1-line block ×8, first 2 shown]
	s_waitcnt lgkmcnt(6)
	v_add_f64 v[12:13], v[0:1], v[6:7]
	s_waitcnt lgkmcnt(4)
	v_add_f64 v[6:7], v[4:5], v[18:19]
	;; [unrolled: 2-line block ×3, first 2 shown]
	v_xor_b32_e32 v14, 1, v24
	s_waitcnt lgkmcnt(0)
	v_add_f64 v[4:5], v[16:17], v[22:23]
	s_delay_alu instid0(VALU_DEP_2) | instskip(SKIP_2) | instid1(VALU_DEP_2)
	v_cmp_gt_i32_e32 vcc_lo, 32, v14
	v_cndmask_b32_e32 v14, v24, v14, vcc_lo
	v_cmp_eq_u32_e32 vcc_lo, 15, v32
	v_lshlrev_b32_e32 v15, 2, v14
	ds_bpermute_b32 v20, v15, v12
	ds_bpermute_b32 v21, v15, v13
	;; [unrolled: 1-line block ×8, first 2 shown]
	s_and_b32 exec_lo, exec_lo, vcc_lo
	s_cbranch_execz .LBB47_10
; %bb.40:
	s_waitcnt lgkmcnt(6)
	v_add_f64 v[12:13], v[12:13], v[20:21]
	s_waitcnt lgkmcnt(4)
	v_add_f64 v[6:7], v[6:7], v[18:19]
	;; [unrolled: 2-line block ×4, first 2 shown]
	s_load_b64 s[0:1], s[0:1], 0x58
	v_lshlrev_b64 v[10:11], 5, v[10:11]
	s_mov_b32 s2, exec_lo
	v_mul_f64 v[4:5], v[2:3], v[12:13]
	v_mul_f64 v[6:7], v[2:3], v[6:7]
	;; [unrolled: 1-line block ×4, first 2 shown]
	v_cmpx_eq_f64_e32 0, v[8:9]
	s_xor_b32 s2, exec_lo, s2
	s_cbranch_execz .LBB47_42
; %bb.41:
	s_waitcnt lgkmcnt(0)
	v_add_co_u32 v8, vcc_lo, s0, v10
	v_add_co_ci_u32_e32 v9, vcc_lo, s1, v11, vcc_lo
                                        ; implicit-def: $vgpr10_vgpr11
	s_clause 0x1
	global_store_b128 v[8:9], v[4:7], off
	global_store_b128 v[8:9], v[0:3], off offset:16
                                        ; implicit-def: $vgpr8_vgpr9
                                        ; implicit-def: $vgpr4_vgpr5
                                        ; implicit-def: $vgpr0_vgpr1
.LBB47_42:
	s_and_not1_saveexec_b32 s2, s2
	s_cbranch_execz .LBB47_10
; %bb.43:
	s_waitcnt lgkmcnt(0)
	v_add_co_u32 v18, vcc_lo, s0, v10
	v_add_co_ci_u32_e32 v19, vcc_lo, s1, v11, vcc_lo
	s_clause 0x1
	global_load_b128 v[10:13], v[18:19], off
	global_load_b128 v[14:17], v[18:19], off offset:16
	s_waitcnt vmcnt(1)
	v_fma_f64 v[4:5], v[8:9], v[10:11], v[4:5]
	v_fma_f64 v[6:7], v[8:9], v[12:13], v[6:7]
	s_waitcnt vmcnt(0)
	v_fma_f64 v[0:1], v[8:9], v[14:15], v[0:1]
	v_fma_f64 v[2:3], v[8:9], v[16:17], v[2:3]
	s_clause 0x1
	global_store_b128 v[18:19], v[4:7], off
	global_store_b128 v[18:19], v[0:3], off offset:16
	s_nop 0
	s_sendmsg sendmsg(MSG_DEALLOC_VGPRS)
	s_endpgm
	.section	.rodata,"a",@progbits
	.p2align	6, 0x0
	.amdhsa_kernel _ZN9rocsparseL18bsrxmvn_4x4_kernelILj128ELj16EdlldddEEvT3_20rocsparse_direction_NS_24const_host_device_scalarIT1_EES1_PKS1_PKT2_SA_S7_PKT4_PKT5_S5_PT6_21rocsparse_index_base_b
		.amdhsa_group_segment_fixed_size 0
		.amdhsa_private_segment_fixed_size 0
		.amdhsa_kernarg_size 104
		.amdhsa_user_sgpr_count 15
		.amdhsa_user_sgpr_dispatch_ptr 0
		.amdhsa_user_sgpr_queue_ptr 0
		.amdhsa_user_sgpr_kernarg_segment_ptr 1
		.amdhsa_user_sgpr_dispatch_id 0
		.amdhsa_user_sgpr_private_segment_size 0
		.amdhsa_wavefront_size32 1
		.amdhsa_uses_dynamic_stack 0
		.amdhsa_enable_private_segment 0
		.amdhsa_system_sgpr_workgroup_id_x 1
		.amdhsa_system_sgpr_workgroup_id_y 0
		.amdhsa_system_sgpr_workgroup_id_z 0
		.amdhsa_system_sgpr_workgroup_info 0
		.amdhsa_system_vgpr_workitem_id 0
		.amdhsa_next_free_vgpr 147
		.amdhsa_next_free_sgpr 16
		.amdhsa_reserve_vcc 1
		.amdhsa_float_round_mode_32 0
		.amdhsa_float_round_mode_16_64 0
		.amdhsa_float_denorm_mode_32 3
		.amdhsa_float_denorm_mode_16_64 3
		.amdhsa_dx10_clamp 1
		.amdhsa_ieee_mode 1
		.amdhsa_fp16_overflow 0
		.amdhsa_workgroup_processor_mode 1
		.amdhsa_memory_ordered 1
		.amdhsa_forward_progress 0
		.amdhsa_shared_vgpr_count 0
		.amdhsa_exception_fp_ieee_invalid_op 0
		.amdhsa_exception_fp_denorm_src 0
		.amdhsa_exception_fp_ieee_div_zero 0
		.amdhsa_exception_fp_ieee_overflow 0
		.amdhsa_exception_fp_ieee_underflow 0
		.amdhsa_exception_fp_ieee_inexact 0
		.amdhsa_exception_int_div_zero 0
	.end_amdhsa_kernel
	.section	.text._ZN9rocsparseL18bsrxmvn_4x4_kernelILj128ELj16EdlldddEEvT3_20rocsparse_direction_NS_24const_host_device_scalarIT1_EES1_PKS1_PKT2_SA_S7_PKT4_PKT5_S5_PT6_21rocsparse_index_base_b,"axG",@progbits,_ZN9rocsparseL18bsrxmvn_4x4_kernelILj128ELj16EdlldddEEvT3_20rocsparse_direction_NS_24const_host_device_scalarIT1_EES1_PKS1_PKT2_SA_S7_PKT4_PKT5_S5_PT6_21rocsparse_index_base_b,comdat
.Lfunc_end47:
	.size	_ZN9rocsparseL18bsrxmvn_4x4_kernelILj128ELj16EdlldddEEvT3_20rocsparse_direction_NS_24const_host_device_scalarIT1_EES1_PKS1_PKT2_SA_S7_PKT4_PKT5_S5_PT6_21rocsparse_index_base_b, .Lfunc_end47-_ZN9rocsparseL18bsrxmvn_4x4_kernelILj128ELj16EdlldddEEvT3_20rocsparse_direction_NS_24const_host_device_scalarIT1_EES1_PKS1_PKT2_SA_S7_PKT4_PKT5_S5_PT6_21rocsparse_index_base_b
                                        ; -- End function
	.section	.AMDGPU.csdata,"",@progbits
; Kernel info:
; codeLenInByte = 5508
; NumSgprs: 18
; NumVgprs: 147
; ScratchSize: 0
; MemoryBound: 1
; FloatMode: 240
; IeeeMode: 1
; LDSByteSize: 0 bytes/workgroup (compile time only)
; SGPRBlocks: 2
; VGPRBlocks: 18
; NumSGPRsForWavesPerEU: 18
; NumVGPRsForWavesPerEU: 147
; Occupancy: 9
; WaveLimiterHint : 1
; COMPUTE_PGM_RSRC2:SCRATCH_EN: 0
; COMPUTE_PGM_RSRC2:USER_SGPR: 15
; COMPUTE_PGM_RSRC2:TRAP_HANDLER: 0
; COMPUTE_PGM_RSRC2:TGID_X_EN: 1
; COMPUTE_PGM_RSRC2:TGID_Y_EN: 0
; COMPUTE_PGM_RSRC2:TGID_Z_EN: 0
; COMPUTE_PGM_RSRC2:TIDIG_COMP_CNT: 0
	.section	.text._ZN9rocsparseL18bsrxmvn_4x4_kernelILj128ELj32EdlldddEEvT3_20rocsparse_direction_NS_24const_host_device_scalarIT1_EES1_PKS1_PKT2_SA_S7_PKT4_PKT5_S5_PT6_21rocsparse_index_base_b,"axG",@progbits,_ZN9rocsparseL18bsrxmvn_4x4_kernelILj128ELj32EdlldddEEvT3_20rocsparse_direction_NS_24const_host_device_scalarIT1_EES1_PKS1_PKT2_SA_S7_PKT4_PKT5_S5_PT6_21rocsparse_index_base_b,comdat
	.globl	_ZN9rocsparseL18bsrxmvn_4x4_kernelILj128ELj32EdlldddEEvT3_20rocsparse_direction_NS_24const_host_device_scalarIT1_EES1_PKS1_PKT2_SA_S7_PKT4_PKT5_S5_PT6_21rocsparse_index_base_b ; -- Begin function _ZN9rocsparseL18bsrxmvn_4x4_kernelILj128ELj32EdlldddEEvT3_20rocsparse_direction_NS_24const_host_device_scalarIT1_EES1_PKS1_PKT2_SA_S7_PKT4_PKT5_S5_PT6_21rocsparse_index_base_b
	.p2align	8
	.type	_ZN9rocsparseL18bsrxmvn_4x4_kernelILj128ELj32EdlldddEEvT3_20rocsparse_direction_NS_24const_host_device_scalarIT1_EES1_PKS1_PKT2_SA_S7_PKT4_PKT5_S5_PT6_21rocsparse_index_base_b,@function
_ZN9rocsparseL18bsrxmvn_4x4_kernelILj128ELj32EdlldddEEvT3_20rocsparse_direction_NS_24const_host_device_scalarIT1_EES1_PKS1_PKT2_SA_S7_PKT4_PKT5_S5_PT6_21rocsparse_index_base_b: ; @_ZN9rocsparseL18bsrxmvn_4x4_kernelILj128ELj32EdlldddEEvT3_20rocsparse_direction_NS_24const_host_device_scalarIT1_EES1_PKS1_PKT2_SA_S7_PKT4_PKT5_S5_PT6_21rocsparse_index_base_b
; %bb.0:
	s_clause 0x2
	s_load_b64 s[12:13], s[0:1], 0x60
	s_load_b128 s[4:7], s[0:1], 0x10
	s_load_b64 s[2:3], s[0:1], 0x50
	s_waitcnt lgkmcnt(0)
	s_bitcmp1_b32 s13, 0
	v_dual_mov_b32 v2, s4 :: v_dual_mov_b32 v3, s5
	s_cselect_b32 s8, -1, 0
	s_delay_alu instid0(SALU_CYCLE_1)
	s_and_b32 vcc_lo, exec_lo, s8
	s_xor_b32 s8, s8, -1
	s_cbranch_vccnz .LBB48_2
; %bb.1:
	v_dual_mov_b32 v1, s4 :: v_dual_mov_b32 v2, s5
	flat_load_b64 v[2:3], v[1:2]
.LBB48_2:
	v_dual_mov_b32 v9, s3 :: v_dual_mov_b32 v8, s2
	s_and_not1_b32 vcc_lo, exec_lo, s8
	s_cbranch_vccnz .LBB48_4
; %bb.3:
	v_dual_mov_b32 v5, s3 :: v_dual_mov_b32 v4, s2
	flat_load_b64 v[8:9], v[4:5]
.LBB48_4:
	s_waitcnt vmcnt(0) lgkmcnt(0)
	v_cmp_neq_f64_e32 vcc_lo, 0, v[2:3]
	v_cmp_neq_f64_e64 s2, 1.0, v[8:9]
	s_delay_alu instid0(VALU_DEP_1) | instskip(NEXT) | instid1(SALU_CYCLE_1)
	s_or_b32 s2, vcc_lo, s2
	s_and_saveexec_b32 s3, s2
	s_cbranch_execz .LBB48_10
; %bb.5:
	s_load_b64 s[2:3], s[0:1], 0x20
	v_lshrrev_b32_e32 v1, 5, v0
	v_mov_b32_e32 v5, 0
	s_mov_b32 s4, 0
	s_delay_alu instid0(VALU_DEP_2)
	v_lshl_or_b32 v4, s15, 2, v1
	s_waitcnt lgkmcnt(0)
	s_cmp_lg_u64 s[2:3], 0
	s_cbranch_scc0 .LBB48_11
; %bb.6:
	s_delay_alu instid0(VALU_DEP_1) | instskip(SKIP_2) | instid1(SALU_CYCLE_1)
	v_cmp_gt_i64_e32 vcc_lo, s[6:7], v[4:5]
	s_mov_b32 s5, 0
                                        ; implicit-def: $vgpr10_vgpr11
	s_and_saveexec_b32 s6, vcc_lo
	s_xor_b32 s6, exec_lo, s6
                                        ; implicit-def: $sgpr14_sgpr15
	s_cbranch_execz .LBB48_8
; %bb.7:
	v_lshlrev_b64 v[6:7], 3, v[4:5]
	s_mov_b32 s4, exec_lo
	s_mov_b32 s15, 0
	s_delay_alu instid0(VALU_DEP_1) | instskip(NEXT) | instid1(VALU_DEP_2)
	v_add_co_u32 v6, vcc_lo, s2, v6
	v_add_co_ci_u32_e32 v7, vcc_lo, s3, v7, vcc_lo
	global_load_b64 v[6:7], v[6:7], off
	s_waitcnt vmcnt(0)
	v_sub_co_u32 v10, vcc_lo, v6, s12
	v_subrev_co_ci_u32_e32 v11, vcc_lo, 0, v7, vcc_lo
.LBB48_8:
	s_or_b32 exec_lo, exec_lo, s6
	s_delay_alu instid0(SALU_CYCLE_1)
	s_and_b32 vcc_lo, exec_lo, s5
	s_cbranch_vccnz .LBB48_12
.LBB48_9:
	s_and_b32 exec_lo, exec_lo, s4
	s_cbranch_execnz .LBB48_15
.LBB48_10:
	s_nop 0
	s_sendmsg sendmsg(MSG_DEALLOC_VGPRS)
	s_endpgm
.LBB48_11:
                                        ; implicit-def: $vgpr10_vgpr11
                                        ; implicit-def: $sgpr14_sgpr15
	s_cbranch_execz .LBB48_9
.LBB48_12:
	s_load_b64 s[2:3], s[0:1], 0x0
                                        ; implicit-def: $vgpr10_vgpr11
	s_waitcnt lgkmcnt(0)
	v_cmp_gt_i64_e32 vcc_lo, s[2:3], v[4:5]
	s_and_saveexec_b32 s2, vcc_lo
                                        ; implicit-def: $sgpr14_sgpr15
; %bb.13:
	v_dual_mov_b32 v11, v5 :: v_dual_mov_b32 v10, v4
	s_mov_b32 s15, 0
	s_or_b32 s4, s4, exec_lo
; %bb.14:
	s_or_b32 exec_lo, exec_lo, s2
	s_delay_alu instid0(SALU_CYCLE_1)
	s_and_b32 exec_lo, exec_lo, s4
	s_cbranch_execz .LBB48_10
.LBB48_15:
	s_load_b256 s[4:11], s[0:1], 0x28
	v_lshlrev_b64 v[4:5], 3, v[10:11]
	v_and_b32_e32 v32, 31, v0
	s_load_b32 s3, s[0:1], 0x8
	s_waitcnt lgkmcnt(0)
	s_delay_alu instid0(VALU_DEP_2) | instskip(NEXT) | instid1(VALU_DEP_3)
	v_add_co_u32 v6, vcc_lo, s4, v4
	v_add_co_ci_u32_e32 v7, vcc_lo, s5, v5, vcc_lo
	v_add_co_u32 v1, vcc_lo, s6, v4
	v_add_co_ci_u32_e32 v4, vcc_lo, s7, v5, vcc_lo
	s_delay_alu instid0(VALU_DEP_4)
	v_add_co_u32 v12, vcc_lo, v6, 8
	global_load_b64 v[20:21], v[6:7], off
	v_add_co_ci_u32_e32 v5, vcc_lo, 0, v7, vcc_lo
	s_cmp_eq_u64 s[6:7], 0
	s_load_b64 s[4:5], s[0:1], 0x48
	s_cselect_b32 vcc_lo, -1, 0
	s_cmp_eq_u32 s3, 1
	v_dual_cndmask_b32 v5, v4, v5 :: v_dual_cndmask_b32 v4, v1, v12
	global_load_b64 v[4:5], v[4:5], off
	s_waitcnt vmcnt(1)
	v_sub_co_u32 v0, vcc_lo, v20, s12
	v_subrev_co_ci_u32_e32 v1, vcc_lo, s15, v21, vcc_lo
	s_delay_alu instid0(VALU_DEP_2) | instskip(NEXT) | instid1(VALU_DEP_2)
	v_add_co_u32 v0, vcc_lo, v0, v32
	v_add_co_ci_u32_e32 v1, vcc_lo, 0, v1, vcc_lo
	s_delay_alu instid0(VALU_DEP_1) | instskip(SKIP_3) | instid1(VALU_DEP_3)
	v_lshlrev_b64 v[6:7], 7, v[0:1]
	s_waitcnt vmcnt(0)
	v_sub_co_u32 v4, vcc_lo, v4, s12
	v_subrev_co_ci_u32_e32 v5, vcc_lo, s15, v5, vcc_lo
	v_add_co_u32 v6, vcc_lo, s10, v6
	s_delay_alu instid0(VALU_DEP_2)
	v_cmp_lt_i64_e64 s2, v[0:1], v[4:5]
	v_add_co_ci_u32_e32 v7, vcc_lo, s11, v7, vcc_lo
	s_cbranch_scc1 .LBB48_27
; %bb.16:
	v_mov_b32_e32 v12, 0
	v_mov_b32_e32 v13, 0
	s_delay_alu instid0(VALU_DEP_1)
	v_dual_mov_b32 v15, v13 :: v_dual_mov_b32 v14, v12
	v_dual_mov_b32 v19, v13 :: v_dual_mov_b32 v18, v12
	v_dual_mov_b32 v17, v13 :: v_dual_mov_b32 v16, v12
	s_and_saveexec_b32 s6, s2
	s_cbranch_execz .LBB48_26
; %bb.17:
	v_or_b32_e32 v12, 32, v32
	v_not_b32_e32 v15, v20
	v_not_b32_e32 v14, v21
	s_mov_b32 s10, 0
	s_mov_b32 s7, exec_lo
	v_sub_co_u32 v12, s3, v12, s12
	s_delay_alu instid0(VALU_DEP_1) | instskip(SKIP_1) | instid1(VALU_DEP_3)
	v_sub_co_ci_u32_e64 v13, null, 0, s15, s3
	v_sub_co_u32 v16, s3, s12, v32
	v_add_co_u32 v12, vcc_lo, v12, v20
	s_delay_alu instid0(VALU_DEP_3) | instskip(SKIP_2) | instid1(VALU_DEP_3)
	v_add_co_ci_u32_e32 v13, vcc_lo, v13, v21, vcc_lo
	v_sub_co_ci_u32_e64 v17, null, s15, 0, s3
	v_mov_b32_e32 v23, v1
	v_cmp_gt_i64_e32 vcc_lo, v[12:13], v[4:5]
	v_dual_mov_b32 v25, v7 :: v_dual_mov_b32 v24, v6
	v_dual_cndmask_b32 v13, v5, v13 :: v_dual_cndmask_b32 v12, v4, v12
	v_add_co_u32 v15, vcc_lo, v16, v15
	v_add_co_ci_u32_e32 v14, vcc_lo, v17, v14, vcc_lo
	v_mov_b32_e32 v16, 0
	s_delay_alu instid0(VALU_DEP_3) | instskip(SKIP_1) | instid1(VALU_DEP_4)
	v_add_co_u32 v26, vcc_lo, v15, v12
	v_mov_b32_e32 v17, 0
	v_add_co_ci_u32_e32 v27, vcc_lo, v14, v13, vcc_lo
	s_delay_alu instid0(VALU_DEP_3) | instskip(SKIP_1) | instid1(VALU_DEP_4)
	v_lshrrev_b32_e32 v12, 5, v26
	v_mov_b32_e32 v14, v16
	v_dual_mov_b32 v22, v0 :: v_dual_mov_b32 v15, v17
	s_delay_alu instid0(VALU_DEP_3) | instskip(SKIP_1) | instid1(VALU_DEP_2)
	v_dual_mov_b32 v19, v17 :: v_dual_add_nc_u32 v12, 1, v12
	v_mov_b32_e32 v18, v16
	v_and_b32_e32 v28, 3, v12
	v_dual_mov_b32 v12, v16 :: v_dual_mov_b32 v13, v17
	s_delay_alu instid0(VALU_DEP_2)
	v_cmpx_ne_u32_e32 0, v28
	s_cbranch_execz .LBB48_21
; %bb.18:
	v_lshlrev_b64 v[14:15], 3, v[0:1]
	v_dual_mov_b32 v29, 0 :: v_dual_mov_b32 v12, 0
	v_dual_mov_b32 v13, 0 :: v_dual_lshlrev_b32 v28, 4, v28
	v_dual_mov_b32 v25, v7 :: v_dual_mov_b32 v24, v6
	s_delay_alu instid0(VALU_DEP_4)
	v_add_co_u32 v30, vcc_lo, s8, v14
	v_add_co_ci_u32_e32 v31, vcc_lo, s9, v15, vcc_lo
	v_dual_mov_b32 v23, v1 :: v_dual_mov_b32 v22, v0
	v_dual_mov_b32 v15, v13 :: v_dual_mov_b32 v14, v12
	;; [unrolled: 1-line block ×4, first 2 shown]
.LBB48_19:                              ; =>This Inner Loop Header: Depth=1
	global_load_b64 v[61:62], v[30:31], off
	s_clause 0x6
	global_load_b128 v[33:36], v[24:25], off offset:48
	global_load_b128 v[37:40], v[24:25], off offset:32
	;; [unrolled: 1-line block ×3, first 2 shown]
	global_load_b128 v[45:48], v[24:25], off
	global_load_b128 v[49:52], v[24:25], off offset:112
	global_load_b128 v[53:56], v[24:25], off offset:96
	;; [unrolled: 1-line block ×3, first 2 shown]
	v_add_co_u32 v30, s3, 0x100, v30
	s_delay_alu instid0(VALU_DEP_1) | instskip(SKIP_3) | instid1(VALU_DEP_1)
	v_add_co_ci_u32_e64 v31, s3, 0, v31, s3
	s_waitcnt vmcnt(7)
	v_sub_co_u32 v61, vcc_lo, v61, s12
	v_subrev_co_ci_u32_e32 v62, vcc_lo, s15, v62, vcc_lo
	v_lshlrev_b64 v[61:62], 5, v[61:62]
	s_waitcnt lgkmcnt(0)
	s_delay_alu instid0(VALU_DEP_1) | instskip(NEXT) | instid1(VALU_DEP_2)
	v_add_co_u32 v69, vcc_lo, s4, v61
	v_add_co_ci_u32_e32 v70, vcc_lo, s5, v62, vcc_lo
	global_load_b128 v[61:64], v[24:25], off offset:64
	s_clause 0x1
	global_load_b128 v[65:68], v[69:70], off
	global_load_b128 v[69:72], v[69:70], off offset:16
	v_add_co_u32 v24, vcc_lo, 0x1000, v24
	v_add_co_ci_u32_e32 v25, vcc_lo, 0, v25, vcc_lo
	v_add_co_u32 v28, vcc_lo, v28, -16
	v_add_co_ci_u32_e32 v29, vcc_lo, -1, v29, vcc_lo
	v_add_co_u32 v22, vcc_lo, v22, 32
	v_add_co_ci_u32_e32 v23, vcc_lo, 0, v23, vcc_lo
	s_delay_alu instid0(VALU_DEP_3)
	v_cmp_eq_u64_e32 vcc_lo, 0, v[28:29]
	s_or_b32 s10, vcc_lo, s10
	s_waitcnt vmcnt(1)
	v_fma_f64 v[16:17], v[45:46], v[65:66], v[16:17]
	v_fma_f64 v[18:19], v[37:38], v[65:66], v[18:19]
	v_fma_f64 v[14:15], v[61:62], v[65:66], v[14:15]
	v_fma_f64 v[12:13], v[53:54], v[65:66], v[12:13]
	s_delay_alu instid0(VALU_DEP_4) | instskip(NEXT) | instid1(VALU_DEP_4)
	v_fma_f64 v[16:17], v[47:48], v[67:68], v[16:17]
	v_fma_f64 v[18:19], v[39:40], v[67:68], v[18:19]
	s_delay_alu instid0(VALU_DEP_4) | instskip(NEXT) | instid1(VALU_DEP_4)
	v_fma_f64 v[14:15], v[63:64], v[67:68], v[14:15]
	v_fma_f64 v[12:13], v[55:56], v[67:68], v[12:13]
	s_waitcnt vmcnt(0)
	s_delay_alu instid0(VALU_DEP_4) | instskip(NEXT) | instid1(VALU_DEP_4)
	v_fma_f64 v[16:17], v[41:42], v[69:70], v[16:17]
	v_fma_f64 v[18:19], v[33:34], v[69:70], v[18:19]
	s_delay_alu instid0(VALU_DEP_4) | instskip(NEXT) | instid1(VALU_DEP_4)
	v_fma_f64 v[14:15], v[57:58], v[69:70], v[14:15]
	v_fma_f64 v[12:13], v[49:50], v[69:70], v[12:13]
	;; [unrolled: 3-line block ×4, first 2 shown]
	s_and_not1_b32 exec_lo, exec_lo, s10
	s_cbranch_execnz .LBB48_19
; %bb.20:
	s_or_b32 exec_lo, exec_lo, s10
.LBB48_21:
	s_delay_alu instid0(SALU_CYCLE_1) | instskip(NEXT) | instid1(SALU_CYCLE_1)
	s_or_b32 exec_lo, exec_lo, s7
	s_mov_b32 s7, exec_lo
	v_cmpx_lt_u64_e32 0x5f, v[26:27]
	s_cbranch_execz .LBB48_25
; %bb.22:
	v_lshlrev_b64 v[26:27], 3, v[22:23]
	s_mov_b32 s10, 0
	s_delay_alu instid0(VALU_DEP_1) | instskip(NEXT) | instid1(VALU_DEP_2)
	v_add_co_u32 v26, vcc_lo, v26, s8
	v_add_co_ci_u32_e32 v27, vcc_lo, s9, v27, vcc_lo
	s_delay_alu instid0(VALU_DEP_2) | instskip(NEXT) | instid1(VALU_DEP_2)
	v_add_co_u32 v26, vcc_lo, 0x200, v26
	v_add_co_ci_u32_e32 v27, vcc_lo, 0, v27, vcc_lo
.LBB48_23:                              ; =>This Inner Loop Header: Depth=1
	s_clause 0x2
	global_load_b64 v[61:62], v[26:27], off offset:-512
	global_load_b64 v[85:86], v[26:27], off offset:-256
	global_load_b64 v[125:126], v[26:27], off
	s_clause 0x7
	global_load_b128 v[28:31], v[24:25], off offset:48
	global_load_b128 v[33:36], v[24:25], off offset:32
	;; [unrolled: 1-line block ×3, first 2 shown]
	global_load_b128 v[41:44], v[24:25], off
	global_load_b128 v[45:48], v[24:25], off offset:112
	global_load_b128 v[49:52], v[24:25], off offset:96
	;; [unrolled: 1-line block ×4, first 2 shown]
	global_load_b64 v[141:142], v[26:27], off offset:256
	s_waitcnt vmcnt(11)
	v_sub_co_u32 v61, vcc_lo, v61, s12
	v_subrev_co_ci_u32_e32 v62, vcc_lo, s15, v62, vcc_lo
	s_delay_alu instid0(VALU_DEP_1) | instskip(SKIP_1) | instid1(VALU_DEP_1)
	v_lshlrev_b64 v[61:62], 5, v[61:62]
	s_waitcnt lgkmcnt(0)
	v_add_co_u32 v65, vcc_lo, s4, v61
	s_delay_alu instid0(VALU_DEP_2)
	v_add_co_ci_u32_e32 v66, vcc_lo, s5, v62, vcc_lo
	v_add_co_u32 v101, vcc_lo, 0x1000, v24
	v_add_co_ci_u32_e32 v102, vcc_lo, 0, v25, vcc_lo
	s_clause 0x1
	global_load_b128 v[61:64], v[65:66], off
	global_load_b128 v[65:68], v[65:66], off offset:16
	v_add_co_u32 v109, vcc_lo, v24, 0x2000
	v_add_co_ci_u32_e32 v110, vcc_lo, 0, v25, vcc_lo
	s_waitcnt vmcnt(12)
	v_sub_co_u32 v85, vcc_lo, v85, s12
	v_subrev_co_ci_u32_e32 v86, vcc_lo, s15, v86, vcc_lo
	s_clause 0x3
	global_load_b128 v[69:72], v[101:102], off offset:96
	global_load_b128 v[73:76], v[101:102], off offset:48
	;; [unrolled: 1-line block ×3, first 2 shown]
	global_load_b128 v[81:84], v[109:110], off offset:-4096
	v_lshlrev_b64 v[85:86], 5, v[85:86]
	s_delay_alu instid0(VALU_DEP_1) | instskip(NEXT) | instid1(VALU_DEP_2)
	v_add_co_u32 v105, vcc_lo, s4, v85
	v_add_co_ci_u32_e32 v106, vcc_lo, s5, v86, vcc_lo
	global_load_b128 v[85:88], v[101:102], off offset:32
	global_load_b128 v[89:92], v[105:106], off
	s_clause 0x2
	global_load_b128 v[93:96], v[101:102], off offset:16
	global_load_b128 v[97:100], v[101:102], off offset:112
	;; [unrolled: 1-line block ×4, first 2 shown]
	v_add_co_u32 v133, vcc_lo, 0x2000, v24
	v_add_co_ci_u32_e32 v134, vcc_lo, 0, v25, vcc_lo
	s_waitcnt vmcnt(21)
	v_sub_co_u32 v125, vcc_lo, v125, s12
	v_subrev_co_ci_u32_e32 v126, vcc_lo, s15, v126, vcc_lo
	s_clause 0x3
	global_load_b128 v[109:112], v[109:110], off
	global_load_b128 v[113:116], v[133:134], off offset:96
	global_load_b128 v[117:120], v[133:134], off offset:48
	;; [unrolled: 1-line block ×3, first 2 shown]
	v_lshlrev_b64 v[125:126], 5, v[125:126]
	s_delay_alu instid0(VALU_DEP_1) | instskip(NEXT) | instid1(VALU_DEP_2)
	v_add_co_u32 v135, vcc_lo, s4, v125
	v_add_co_ci_u32_e32 v136, vcc_lo, s5, v126, vcc_lo
	global_load_b128 v[125:128], v[133:134], off offset:32
	global_load_b128 v[129:132], v[135:136], off
	s_waitcnt vmcnt(17)
	v_fma_f64 v[16:17], v[41:42], v[61:62], v[16:17]
	v_fma_f64 v[18:19], v[33:34], v[61:62], v[18:19]
	;; [unrolled: 1-line block ×4, first 2 shown]
	s_delay_alu instid0(VALU_DEP_4) | instskip(NEXT) | instid1(VALU_DEP_4)
	v_fma_f64 v[49:50], v[43:44], v[63:64], v[16:17]
	v_fma_f64 v[57:58], v[35:36], v[63:64], v[18:19]
	s_delay_alu instid0(VALU_DEP_4) | instskip(NEXT) | instid1(VALU_DEP_4)
	v_fma_f64 v[59:60], v[59:60], v[63:64], v[14:15]
	v_fma_f64 v[51:52], v[51:52], v[63:64], v[12:13]
	s_clause 0x2
	global_load_b128 v[12:15], v[133:134], off offset:16
	global_load_b128 v[16:19], v[133:134], off offset:112
	;; [unrolled: 1-line block ×4, first 2 shown]
	s_waitcnt vmcnt(20)
	v_fma_f64 v[37:38], v[37:38], v[65:66], v[49:50]
	v_fma_f64 v[28:29], v[28:29], v[65:66], v[57:58]
	;; [unrolled: 1-line block ×4, first 2 shown]
	v_add_co_u32 v65, vcc_lo, 0x3000, v24
	v_add_co_ci_u32_e32 v66, vcc_lo, 0, v25, vcc_lo
	s_clause 0x4
	global_load_b128 v[49:52], v[65:66], off
	global_load_b128 v[57:60], v[65:66], off offset:48
	global_load_b128 v[61:64], v[65:66], off offset:32
	;; [unrolled: 1-line block ×4, first 2 shown]
	v_add_co_u32 v24, s3, 0x4000, v24
	s_delay_alu instid0(VALU_DEP_1)
	v_add_co_ci_u32_e64 v25, s3, 0, v25, s3
	v_fma_f64 v[143:144], v[39:40], v[67:68], v[37:38]
	v_fma_f64 v[145:146], v[30:31], v[67:68], v[28:29]
	;; [unrolled: 1-line block ×4, first 2 shown]
	v_sub_co_u32 v37, vcc_lo, v141, s12
	v_subrev_co_ci_u32_e32 v38, vcc_lo, s15, v142, vcc_lo
	s_delay_alu instid0(VALU_DEP_1) | instskip(NEXT) | instid1(VALU_DEP_1)
	v_lshlrev_b64 v[28:29], 5, v[37:38]
	v_add_co_u32 v67, vcc_lo, s4, v28
	s_delay_alu instid0(VALU_DEP_2)
	v_add_co_ci_u32_e32 v68, vcc_lo, s5, v29, vcc_lo
	global_load_b128 v[28:31], v[65:66], off offset:64
	global_load_b128 v[37:40], v[67:68], off
	v_add_co_u32 v22, vcc_lo, 0x80, v22
	v_add_co_ci_u32_e32 v23, vcc_lo, 0, v23, vcc_lo
	v_add_co_u32 v26, vcc_lo, 0x400, v26
	v_add_co_ci_u32_e32 v27, vcc_lo, 0, v27, vcc_lo
	s_delay_alu instid0(VALU_DEP_3)
	v_cmp_ge_i64_e32 vcc_lo, v[22:23], v[4:5]
	s_or_b32 s10, vcc_lo, s10
	s_waitcnt vmcnt(21)
	v_fma_f64 v[47:48], v[81:82], v[89:90], v[143:144]
	v_fma_f64 v[55:56], v[85:86], v[89:90], v[145:146]
	;; [unrolled: 1-line block ×4, first 2 shown]
	s_delay_alu instid0(VALU_DEP_4) | instskip(NEXT) | instid1(VALU_DEP_4)
	v_fma_f64 v[69:70], v[83:84], v[91:92], v[47:48]
	v_fma_f64 v[77:78], v[87:88], v[91:92], v[55:56]
	s_delay_alu instid0(VALU_DEP_4) | instskip(NEXT) | instid1(VALU_DEP_4)
	v_fma_f64 v[79:80], v[79:80], v[91:92], v[53:54]
	v_fma_f64 v[71:72], v[71:72], v[91:92], v[45:46]
	s_clause 0x1
	global_load_b128 v[45:48], v[65:66], off offset:80
	global_load_b128 v[53:56], v[65:66], off offset:16
	global_load_b128 v[65:68], v[67:68], off offset:16
	s_waitcnt vmcnt(20)
	v_fma_f64 v[69:70], v[93:94], v[105:106], v[69:70]
	v_fma_f64 v[73:74], v[73:74], v[105:106], v[77:78]
	;; [unrolled: 1-line block ×4, first 2 shown]
	s_delay_alu instid0(VALU_DEP_4) | instskip(NEXT) | instid1(VALU_DEP_4)
	v_fma_f64 v[69:70], v[95:96], v[107:108], v[69:70]
	v_fma_f64 v[73:74], v[75:76], v[107:108], v[73:74]
	s_delay_alu instid0(VALU_DEP_4) | instskip(NEXT) | instid1(VALU_DEP_4)
	v_fma_f64 v[75:76], v[103:104], v[107:108], v[77:78]
	v_fma_f64 v[71:72], v[99:100], v[107:108], v[71:72]
	s_waitcnt vmcnt(14)
	s_delay_alu instid0(VALU_DEP_4) | instskip(NEXT) | instid1(VALU_DEP_4)
	v_fma_f64 v[69:70], v[109:110], v[129:130], v[69:70]
	v_fma_f64 v[73:74], v[125:126], v[129:130], v[73:74]
	s_delay_alu instid0(VALU_DEP_4) | instskip(NEXT) | instid1(VALU_DEP_4)
	v_fma_f64 v[75:76], v[121:122], v[129:130], v[75:76]
	v_fma_f64 v[71:72], v[113:114], v[129:130], v[71:72]
	s_delay_alu instid0(VALU_DEP_4) | instskip(NEXT) | instid1(VALU_DEP_4)
	v_fma_f64 v[69:70], v[111:112], v[131:132], v[69:70]
	v_fma_f64 v[73:74], v[127:128], v[131:132], v[73:74]
	s_delay_alu instid0(VALU_DEP_4) | instskip(NEXT) | instid1(VALU_DEP_4)
	v_fma_f64 v[75:76], v[123:124], v[131:132], v[75:76]
	v_fma_f64 v[71:72], v[115:116], v[131:132], v[71:72]
	s_waitcnt vmcnt(10)
	s_delay_alu instid0(VALU_DEP_4) | instskip(NEXT) | instid1(VALU_DEP_4)
	v_fma_f64 v[12:13], v[12:13], v[41:42], v[69:70]
	v_fma_f64 v[69:70], v[117:118], v[41:42], v[73:74]
	s_delay_alu instid0(VALU_DEP_4) | instskip(NEXT) | instid1(VALU_DEP_4)
	v_fma_f64 v[33:34], v[33:34], v[41:42], v[75:76]
	v_fma_f64 v[16:17], v[16:17], v[41:42], v[71:72]
	;; [unrolled: 13-line block ×4, first 2 shown]
	s_delay_alu instid0(VALU_DEP_4) | instskip(NEXT) | instid1(VALU_DEP_4)
	v_fma_f64 v[16:17], v[55:56], v[67:68], v[12:13]
	v_fma_f64 v[18:19], v[59:60], v[67:68], v[14:15]
	s_delay_alu instid0(VALU_DEP_4) | instskip(NEXT) | instid1(VALU_DEP_4)
	v_fma_f64 v[14:15], v[47:48], v[67:68], v[28:29]
	v_fma_f64 v[12:13], v[135:136], v[67:68], v[30:31]
	s_and_not1_b32 exec_lo, exec_lo, s10
	s_cbranch_execnz .LBB48_23
; %bb.24:
	s_or_b32 exec_lo, exec_lo, s10
.LBB48_25:
	s_delay_alu instid0(SALU_CYCLE_1)
	s_or_b32 exec_lo, exec_lo, s7
.LBB48_26:
	s_delay_alu instid0(SALU_CYCLE_1)
	s_or_b32 exec_lo, exec_lo, s6
	s_cbranch_execz .LBB48_28
	s_branch .LBB48_39
.LBB48_27:
                                        ; implicit-def: $vgpr12_vgpr13
                                        ; implicit-def: $vgpr14_vgpr15
                                        ; implicit-def: $vgpr18_vgpr19
                                        ; implicit-def: $vgpr16_vgpr17
.LBB48_28:
	v_mov_b32_e32 v12, 0
	v_mov_b32_e32 v13, 0
	s_delay_alu instid0(VALU_DEP_1)
	v_dual_mov_b32 v15, v13 :: v_dual_mov_b32 v14, v12
	v_dual_mov_b32 v19, v13 :: v_dual_mov_b32 v18, v12
	;; [unrolled: 1-line block ×3, first 2 shown]
	s_and_saveexec_b32 s3, s2
	s_cbranch_execz .LBB48_38
; %bb.29:
	v_or_b32_e32 v12, 32, v32
	v_not_b32_e32 v15, v20
	v_not_b32_e32 v14, v21
	s_mov_b32 s7, 0
	s_mov_b32 s6, exec_lo
	v_sub_co_u32 v12, s2, v12, s12
	s_delay_alu instid0(VALU_DEP_1) | instskip(SKIP_1) | instid1(VALU_DEP_3)
	v_sub_co_ci_u32_e64 v13, null, 0, s15, s2
	v_sub_co_u32 v16, s2, s12, v32
	v_add_co_u32 v12, vcc_lo, v12, v20
	s_delay_alu instid0(VALU_DEP_3) | instskip(SKIP_1) | instid1(VALU_DEP_2)
	v_add_co_ci_u32_e32 v13, vcc_lo, v13, v21, vcc_lo
	v_sub_co_ci_u32_e64 v17, null, s15, 0, s2
	v_cmp_gt_i64_e32 vcc_lo, v[12:13], v[4:5]
	v_dual_cndmask_b32 v13, v5, v13 :: v_dual_cndmask_b32 v12, v4, v12
	v_add_co_u32 v15, vcc_lo, v16, v15
	s_delay_alu instid0(VALU_DEP_4) | instskip(SKIP_1) | instid1(VALU_DEP_3)
	v_add_co_ci_u32_e32 v14, vcc_lo, v17, v14, vcc_lo
	v_mov_b32_e32 v16, 0
	v_add_co_u32 v20, vcc_lo, v15, v12
	s_delay_alu instid0(VALU_DEP_3) | instskip(SKIP_1) | instid1(VALU_DEP_3)
	v_add_co_ci_u32_e32 v21, vcc_lo, v14, v13, vcc_lo
	v_mov_b32_e32 v17, 0
	v_lshrrev_b32_e32 v12, 5, v20
	s_delay_alu instid0(VALU_DEP_2) | instskip(NEXT) | instid1(VALU_DEP_2)
	v_dual_mov_b32 v14, v16 :: v_dual_mov_b32 v19, v17
	v_add_nc_u32_e32 v12, 1, v12
	v_dual_mov_b32 v18, v16 :: v_dual_mov_b32 v15, v17
	s_delay_alu instid0(VALU_DEP_2) | instskip(SKIP_1) | instid1(VALU_DEP_2)
	v_and_b32_e32 v22, 3, v12
	v_dual_mov_b32 v12, v16 :: v_dual_mov_b32 v13, v17
	v_cmpx_ne_u32_e32 0, v22
	s_cbranch_execz .LBB48_33
; %bb.30:
	v_lshlrev_b64 v[14:15], 3, v[0:1]
	v_dual_mov_b32 v23, 0 :: v_dual_mov_b32 v12, 0
	v_dual_mov_b32 v13, 0 :: v_dual_lshlrev_b32 v22, 4, v22
	s_delay_alu instid0(VALU_DEP_3) | instskip(NEXT) | instid1(VALU_DEP_4)
	v_add_co_u32 v24, vcc_lo, s8, v14
	v_add_co_ci_u32_e32 v25, vcc_lo, s9, v15, vcc_lo
	s_delay_alu instid0(VALU_DEP_3)
	v_dual_mov_b32 v15, v13 :: v_dual_mov_b32 v14, v12
	v_dual_mov_b32 v19, v13 :: v_dual_mov_b32 v18, v12
	;; [unrolled: 1-line block ×3, first 2 shown]
.LBB48_31:                              ; =>This Inner Loop Header: Depth=1
	global_load_b64 v[30:31], v[24:25], off
	global_load_b128 v[26:29], v[6:7], off offset:16
	v_add_co_u32 v24, s2, 0x100, v24
	s_delay_alu instid0(VALU_DEP_1) | instskip(SKIP_3) | instid1(VALU_DEP_1)
	v_add_co_ci_u32_e64 v25, s2, 0, v25, s2
	s_waitcnt vmcnt(1)
	v_sub_co_u32 v30, vcc_lo, v30, s12
	v_subrev_co_ci_u32_e32 v31, vcc_lo, s15, v31, vcc_lo
	v_lshlrev_b64 v[30:31], 5, v[30:31]
	s_waitcnt lgkmcnt(0)
	s_delay_alu instid0(VALU_DEP_1) | instskip(NEXT) | instid1(VALU_DEP_2)
	v_add_co_u32 v30, vcc_lo, s4, v30
	v_add_co_ci_u32_e32 v31, vcc_lo, s5, v31, vcc_lo
	global_load_b128 v[33:36], v[6:7], off
	s_clause 0x1
	global_load_b128 v[37:40], v[30:31], off
	global_load_b128 v[41:44], v[30:31], off offset:16
	s_clause 0x5
	global_load_b128 v[45:48], v[6:7], off offset:32
	global_load_b128 v[49:52], v[6:7], off offset:48
	;; [unrolled: 1-line block ×6, first 2 shown]
	v_add_co_u32 v6, vcc_lo, 0x1000, v6
	v_add_co_ci_u32_e32 v7, vcc_lo, 0, v7, vcc_lo
	v_add_co_u32 v22, vcc_lo, v22, -16
	v_add_co_ci_u32_e32 v23, vcc_lo, -1, v23, vcc_lo
	v_add_co_u32 v0, vcc_lo, v0, 32
	v_add_co_ci_u32_e32 v1, vcc_lo, 0, v1, vcc_lo
	s_delay_alu instid0(VALU_DEP_3)
	v_cmp_eq_u64_e32 vcc_lo, 0, v[22:23]
	s_or_b32 s7, vcc_lo, s7
	s_waitcnt vmcnt(7)
	v_fma_f64 v[16:17], v[33:34], v[37:38], v[16:17]
	v_fma_f64 v[18:19], v[35:36], v[37:38], v[18:19]
	;; [unrolled: 1-line block ×4, first 2 shown]
	s_waitcnt vmcnt(5)
	s_delay_alu instid0(VALU_DEP_4) | instskip(NEXT) | instid1(VALU_DEP_4)
	v_fma_f64 v[16:17], v[45:46], v[39:40], v[16:17]
	v_fma_f64 v[18:19], v[47:48], v[39:40], v[18:19]
	s_waitcnt vmcnt(4)
	s_delay_alu instid0(VALU_DEP_4) | instskip(NEXT) | instid1(VALU_DEP_4)
	v_fma_f64 v[14:15], v[49:50], v[39:40], v[14:15]
	v_fma_f64 v[12:13], v[51:52], v[39:40], v[12:13]
	s_waitcnt vmcnt(3)
	s_delay_alu instid0(VALU_DEP_4) | instskip(NEXT) | instid1(VALU_DEP_4)
	v_fma_f64 v[16:17], v[53:54], v[41:42], v[16:17]
	v_fma_f64 v[18:19], v[55:56], v[41:42], v[18:19]
	s_waitcnt vmcnt(2)
	s_delay_alu instid0(VALU_DEP_4) | instskip(NEXT) | instid1(VALU_DEP_4)
	v_fma_f64 v[14:15], v[57:58], v[41:42], v[14:15]
	v_fma_f64 v[12:13], v[59:60], v[41:42], v[12:13]
	s_waitcnt vmcnt(1)
	s_delay_alu instid0(VALU_DEP_4) | instskip(NEXT) | instid1(VALU_DEP_4)
	v_fma_f64 v[16:17], v[61:62], v[43:44], v[16:17]
	v_fma_f64 v[18:19], v[63:64], v[43:44], v[18:19]
	s_waitcnt vmcnt(0)
	s_delay_alu instid0(VALU_DEP_4) | instskip(NEXT) | instid1(VALU_DEP_4)
	v_fma_f64 v[14:15], v[65:66], v[43:44], v[14:15]
	v_fma_f64 v[12:13], v[67:68], v[43:44], v[12:13]
	s_and_not1_b32 exec_lo, exec_lo, s7
	s_cbranch_execnz .LBB48_31
; %bb.32:
	s_or_b32 exec_lo, exec_lo, s7
.LBB48_33:
	s_delay_alu instid0(SALU_CYCLE_1) | instskip(NEXT) | instid1(SALU_CYCLE_1)
	s_or_b32 exec_lo, exec_lo, s6
	s_mov_b32 s6, exec_lo
	v_cmpx_lt_u64_e32 0x5f, v[20:21]
	s_cbranch_execz .LBB48_37
; %bb.34:
	v_lshlrev_b64 v[20:21], 3, v[0:1]
	s_mov_b32 s7, 0
	s_delay_alu instid0(VALU_DEP_1) | instskip(NEXT) | instid1(VALU_DEP_2)
	v_add_co_u32 v20, vcc_lo, v20, s8
	v_add_co_ci_u32_e32 v21, vcc_lo, s9, v21, vcc_lo
	s_delay_alu instid0(VALU_DEP_2) | instskip(NEXT) | instid1(VALU_DEP_2)
	v_add_co_u32 v20, vcc_lo, 0x200, v20
	v_add_co_ci_u32_e32 v21, vcc_lo, 0, v21, vcc_lo
.LBB48_35:                              ; =>This Inner Loop Header: Depth=1
	s_clause 0x2
	global_load_b64 v[30:31], v[20:21], off offset:-512
	global_load_b64 v[73:74], v[20:21], off offset:-256
	global_load_b64 v[113:114], v[20:21], off
	s_clause 0x1
	global_load_b128 v[22:25], v[6:7], off offset:16
	global_load_b128 v[26:29], v[6:7], off
	global_load_b64 v[121:122], v[20:21], off offset:256
	s_waitcnt vmcnt(5)
	v_sub_co_u32 v30, vcc_lo, v30, s12
	v_subrev_co_ci_u32_e32 v31, vcc_lo, s15, v31, vcc_lo
	s_delay_alu instid0(VALU_DEP_1) | instskip(SKIP_1) | instid1(VALU_DEP_1)
	v_lshlrev_b64 v[30:31], 5, v[30:31]
	s_waitcnt lgkmcnt(0)
	v_add_co_u32 v30, vcc_lo, s4, v30
	s_delay_alu instid0(VALU_DEP_2)
	v_add_co_ci_u32_e32 v31, vcc_lo, s5, v31, vcc_lo
	global_load_b128 v[33:36], v[30:31], off
	s_clause 0x3
	global_load_b128 v[37:40], v[6:7], off offset:32
	global_load_b128 v[41:44], v[6:7], off offset:48
	;; [unrolled: 1-line block ×5, first 2 shown]
	s_clause 0x1
	global_load_b128 v[57:60], v[6:7], off offset:96
	global_load_b128 v[61:64], v[6:7], off offset:112
	v_add_co_u32 v30, vcc_lo, v6, 0x2000
	v_add_co_ci_u32_e32 v31, vcc_lo, 0, v7, vcc_lo
	v_add_co_u32 v101, vcc_lo, 0x1000, v6
	v_add_co_ci_u32_e32 v102, vcc_lo, 0, v7, vcc_lo
	s_waitcnt vmcnt(12)
	v_sub_co_u32 v73, vcc_lo, v73, s12
	v_subrev_co_ci_u32_e32 v74, vcc_lo, s15, v74, vcc_lo
	s_clause 0x1
	global_load_b128 v[65:68], v[30:31], off offset:-4096
	global_load_b128 v[69:72], v[101:102], off offset:32
	v_lshlrev_b64 v[73:74], 5, v[73:74]
	s_delay_alu instid0(VALU_DEP_1) | instskip(NEXT) | instid1(VALU_DEP_2)
	v_add_co_u32 v93, vcc_lo, s4, v73
	v_add_co_ci_u32_e32 v94, vcc_lo, s5, v74, vcc_lo
	global_load_b128 v[73:76], v[101:102], off offset:16
	global_load_b128 v[77:80], v[93:94], off
	s_clause 0x2
	global_load_b128 v[81:84], v[101:102], off offset:48
	global_load_b128 v[85:88], v[101:102], off offset:64
	;; [unrolled: 1-line block ×4, first 2 shown]
	s_clause 0x1
	global_load_b128 v[97:100], v[101:102], off offset:96
	global_load_b128 v[101:104], v[101:102], off offset:112
	v_add_co_u32 v123, vcc_lo, 0x2000, v6
	v_add_co_ci_u32_e32 v124, vcc_lo, 0, v7, vcc_lo
	s_clause 0x1
	global_load_b128 v[105:108], v[30:31], off
	global_load_b128 v[109:112], v[123:124], off offset:32
	s_waitcnt vmcnt(23)
	v_sub_co_u32 v30, vcc_lo, v113, s12
	v_subrev_co_ci_u32_e32 v31, vcc_lo, s15, v114, vcc_lo
	s_delay_alu instid0(VALU_DEP_1) | instskip(NEXT) | instid1(VALU_DEP_1)
	v_lshlrev_b64 v[30:31], 5, v[30:31]
	v_add_co_u32 v30, vcc_lo, s4, v30
	s_delay_alu instid0(VALU_DEP_2)
	v_add_co_ci_u32_e32 v31, vcc_lo, s5, v31, vcc_lo
	global_load_b128 v[113:116], v[123:124], off offset:16
	global_load_b128 v[117:120], v[30:31], off
	s_waitcnt vmcnt(21)
	v_fma_f64 v[16:17], v[26:27], v[33:34], v[16:17]
	v_fma_f64 v[18:19], v[28:29], v[33:34], v[18:19]
	;; [unrolled: 1-line block ×4, first 2 shown]
	global_load_b128 v[12:15], v[123:124], off offset:48
	s_waitcnt vmcnt(21)
	v_fma_f64 v[33:34], v[37:38], v[35:36], v[16:17]
	v_fma_f64 v[37:38], v[39:40], v[35:36], v[18:19]
	s_waitcnt vmcnt(20)
	v_fma_f64 v[39:40], v[41:42], v[35:36], v[22:23]
	v_fma_f64 v[35:36], v[43:44], v[35:36], v[24:25]
	s_clause 0x1
	global_load_b128 v[16:19], v[123:124], off offset:80
	global_load_b128 v[22:25], v[123:124], off offset:64
	;; [unrolled: 1-line block ×3, first 2 shown]
	s_waitcnt vmcnt(20)
	v_fma_f64 v[30:31], v[45:46], v[53:54], v[33:34]
	v_fma_f64 v[45:46], v[47:48], v[53:54], v[37:38]
	;; [unrolled: 1-line block ×4, first 2 shown]
	s_clause 0x1
	global_load_b128 v[33:36], v[123:124], off offset:96
	global_load_b128 v[37:40], v[123:124], off offset:112
	v_add_co_u32 v123, vcc_lo, 0x3000, v6
	v_add_co_ci_u32_e32 v124, vcc_lo, 0, v7, vcc_lo
	v_sub_co_u32 v51, vcc_lo, v121, s12
	v_subrev_co_ci_u32_e32 v52, vcc_lo, s15, v122, vcc_lo
	global_load_b128 v[41:44], v[123:124], off
	v_add_co_u32 v6, s2, 0x4000, v6
	s_delay_alu instid0(VALU_DEP_1)
	v_add_co_ci_u32_e64 v7, s2, 0, v7, s2
	s_waitcnt vmcnt(22)
	v_fma_f64 v[30:31], v[57:58], v[55:56], v[30:31]
	v_fma_f64 v[53:54], v[59:60], v[55:56], v[45:46]
	s_waitcnt vmcnt(21)
	v_fma_f64 v[57:58], v[61:62], v[55:56], v[47:48]
	v_fma_f64 v[55:56], v[63:64], v[55:56], v[49:50]
	v_lshlrev_b64 v[45:46], 5, v[51:52]
	s_delay_alu instid0(VALU_DEP_1) | instskip(NEXT) | instid1(VALU_DEP_2)
	v_add_co_u32 v121, vcc_lo, s4, v45
	v_add_co_ci_u32_e32 v122, vcc_lo, s5, v46, vcc_lo
	global_load_b128 v[45:48], v[123:124], off offset:16
	global_load_b128 v[49:52], v[121:122], off
	v_add_co_u32 v0, vcc_lo, 0x80, v0
	v_add_co_ci_u32_e32 v1, vcc_lo, 0, v1, vcc_lo
	v_add_co_u32 v20, vcc_lo, 0x400, v20
	v_add_co_ci_u32_e32 v21, vcc_lo, 0, v21, vcc_lo
	s_delay_alu instid0(VALU_DEP_3)
	v_cmp_ge_i64_e32 vcc_lo, v[0:1], v[4:5]
	s_or_b32 s7, vcc_lo, s7
	s_waitcnt vmcnt(19)
	v_fma_f64 v[30:31], v[65:66], v[77:78], v[30:31]
	v_fma_f64 v[61:62], v[67:68], v[77:78], v[53:54]
	;; [unrolled: 1-line block ×4, first 2 shown]
	s_clause 0x1
	global_load_b128 v[53:56], v[123:124], off offset:32
	global_load_b128 v[57:60], v[123:124], off offset:48
	v_fma_f64 v[30:31], v[69:70], v[79:80], v[30:31]
	v_fma_f64 v[73:74], v[71:72], v[79:80], v[61:62]
	s_waitcnt vmcnt(20)
	v_fma_f64 v[75:76], v[81:82], v[79:80], v[63:64]
	v_fma_f64 v[77:78], v[83:84], v[79:80], v[65:66]
	s_clause 0x1
	global_load_b128 v[61:64], v[123:124], off offset:64
	global_load_b128 v[65:68], v[123:124], off offset:80
	;; [unrolled: 1-line block ×3, first 2 shown]
	s_waitcnt vmcnt(20)
	v_fma_f64 v[30:31], v[85:86], v[93:94], v[30:31]
	v_fma_f64 v[81:82], v[87:88], v[93:94], v[73:74]
	;; [unrolled: 1-line block ×4, first 2 shown]
	s_clause 0x1
	global_load_b128 v[73:76], v[123:124], off offset:96
	global_load_b128 v[77:80], v[123:124], off offset:112
	s_waitcnt vmcnt(21)
	v_fma_f64 v[30:31], v[97:98], v[95:96], v[30:31]
	v_fma_f64 v[81:82], v[99:100], v[95:96], v[81:82]
	s_waitcnt vmcnt(20)
	v_fma_f64 v[83:84], v[101:102], v[95:96], v[83:84]
	v_fma_f64 v[85:86], v[103:104], v[95:96], v[85:86]
	s_waitcnt vmcnt(16)
	s_delay_alu instid0(VALU_DEP_4) | instskip(NEXT) | instid1(VALU_DEP_4)
	v_fma_f64 v[30:31], v[105:106], v[117:118], v[30:31]
	v_fma_f64 v[81:82], v[107:108], v[117:118], v[81:82]
	s_delay_alu instid0(VALU_DEP_4) | instskip(NEXT) | instid1(VALU_DEP_4)
	v_fma_f64 v[83:84], v[113:114], v[117:118], v[83:84]
	v_fma_f64 v[85:86], v[115:116], v[117:118], v[85:86]
	;; [unrolled: 3-line block ×3, first 2 shown]
	s_waitcnt vmcnt(15)
	s_delay_alu instid0(VALU_DEP_4) | instskip(NEXT) | instid1(VALU_DEP_4)
	v_fma_f64 v[12:13], v[12:13], v[119:120], v[83:84]
	v_fma_f64 v[14:15], v[14:15], v[119:120], v[85:86]
	s_waitcnt vmcnt(12)
	s_delay_alu instid0(VALU_DEP_4) | instskip(NEXT) | instid1(VALU_DEP_4)
	v_fma_f64 v[22:23], v[22:23], v[26:27], v[30:31]
	v_fma_f64 v[24:25], v[24:25], v[26:27], v[81:82]
	s_delay_alu instid0(VALU_DEP_4) | instskip(NEXT) | instid1(VALU_DEP_4)
	v_fma_f64 v[12:13], v[16:17], v[26:27], v[12:13]
	v_fma_f64 v[14:15], v[18:19], v[26:27], v[14:15]
	s_waitcnt vmcnt(11)
	s_delay_alu instid0(VALU_DEP_4) | instskip(NEXT) | instid1(VALU_DEP_4)
	v_fma_f64 v[16:17], v[33:34], v[28:29], v[22:23]
	v_fma_f64 v[18:19], v[35:36], v[28:29], v[24:25]
	s_waitcnt vmcnt(10)
	s_delay_alu instid0(VALU_DEP_4) | instskip(NEXT) | instid1(VALU_DEP_4)
	v_fma_f64 v[12:13], v[37:38], v[28:29], v[12:13]
	v_fma_f64 v[14:15], v[39:40], v[28:29], v[14:15]
	s_waitcnt vmcnt(7)
	s_delay_alu instid0(VALU_DEP_4) | instskip(NEXT) | instid1(VALU_DEP_4)
	v_fma_f64 v[16:17], v[41:42], v[49:50], v[16:17]
	v_fma_f64 v[18:19], v[43:44], v[49:50], v[18:19]
	s_delay_alu instid0(VALU_DEP_4) | instskip(NEXT) | instid1(VALU_DEP_4)
	v_fma_f64 v[12:13], v[45:46], v[49:50], v[12:13]
	v_fma_f64 v[14:15], v[47:48], v[49:50], v[14:15]
	s_waitcnt vmcnt(6)
	s_delay_alu instid0(VALU_DEP_4) | instskip(NEXT) | instid1(VALU_DEP_4)
	v_fma_f64 v[16:17], v[53:54], v[51:52], v[16:17]
	v_fma_f64 v[18:19], v[55:56], v[51:52], v[18:19]
	;; [unrolled: 15-line block ×3, first 2 shown]
	s_waitcnt vmcnt(0)
	s_delay_alu instid0(VALU_DEP_4) | instskip(NEXT) | instid1(VALU_DEP_4)
	v_fma_f64 v[14:15], v[77:78], v[71:72], v[12:13]
	v_fma_f64 v[12:13], v[79:80], v[71:72], v[22:23]
	s_and_not1_b32 exec_lo, exec_lo, s7
	s_cbranch_execnz .LBB48_35
; %bb.36:
	s_or_b32 exec_lo, exec_lo, s7
.LBB48_37:
	s_delay_alu instid0(SALU_CYCLE_1)
	s_or_b32 exec_lo, exec_lo, s6
.LBB48_38:
	s_delay_alu instid0(SALU_CYCLE_1)
	s_or_b32 exec_lo, exec_lo, s3
.LBB48_39:
	v_mbcnt_lo_u32_b32 v24, -1, 0
	s_delay_alu instid0(VALU_DEP_1) | instskip(NEXT) | instid1(VALU_DEP_1)
	v_xor_b32_e32 v0, 16, v24
	v_cmp_gt_i32_e32 vcc_lo, 32, v0
	v_cndmask_b32_e32 v0, v24, v0, vcc_lo
	s_delay_alu instid0(VALU_DEP_1)
	v_lshlrev_b32_e32 v21, 2, v0
	ds_bpermute_b32 v6, v21, v14
	ds_bpermute_b32 v7, v21, v15
	s_waitcnt lgkmcnt(0)
	v_add_f64 v[6:7], v[14:15], v[6:7]
	v_xor_b32_e32 v14, 8, v24
	s_delay_alu instid0(VALU_DEP_1)
	v_cmp_gt_i32_e32 vcc_lo, 32, v14
	v_cndmask_b32_e32 v14, v24, v14, vcc_lo
	ds_bpermute_b32 v0, v21, v16
	ds_bpermute_b32 v1, v21, v17
	;; [unrolled: 1-line block ×6, first 2 shown]
	s_waitcnt lgkmcnt(4)
	v_add_f64 v[0:1], v[16:17], v[0:1]
	s_waitcnt lgkmcnt(2)
	v_add_f64 v[4:5], v[18:19], v[4:5]
	;; [unrolled: 2-line block ×3, first 2 shown]
	v_lshlrev_b32_e32 v21, 2, v14
	ds_bpermute_b32 v18, v21, v6
	ds_bpermute_b32 v19, v21, v7
	s_waitcnt lgkmcnt(0)
	v_add_f64 v[6:7], v[6:7], v[18:19]
	ds_bpermute_b32 v14, v21, v0
	ds_bpermute_b32 v15, v21, v1
	;; [unrolled: 1-line block ×6, first 2 shown]
	s_waitcnt lgkmcnt(4)
	v_add_f64 v[0:1], v[0:1], v[14:15]
	v_xor_b32_e32 v14, 4, v24
	s_waitcnt lgkmcnt(2)
	v_add_f64 v[4:5], v[4:5], v[16:17]
	s_waitcnt lgkmcnt(0)
	v_add_f64 v[12:13], v[12:13], v[20:21]
	v_cmp_gt_i32_e32 vcc_lo, 32, v14
	v_cndmask_b32_e32 v14, v24, v14, vcc_lo
	s_delay_alu instid0(VALU_DEP_1)
	v_lshlrev_b32_e32 v21, 2, v14
	ds_bpermute_b32 v18, v21, v6
	ds_bpermute_b32 v19, v21, v7
	;; [unrolled: 1-line block ×8, first 2 shown]
	s_waitcnt lgkmcnt(4)
	v_add_f64 v[0:1], v[0:1], v[14:15]
	v_add_f64 v[14:15], v[6:7], v[18:19]
	s_waitcnt lgkmcnt(2)
	v_add_f64 v[4:5], v[4:5], v[16:17]
	v_xor_b32_e32 v6, 2, v24
	s_waitcnt lgkmcnt(0)
	v_add_f64 v[16:17], v[12:13], v[20:21]
	s_delay_alu instid0(VALU_DEP_2) | instskip(SKIP_1) | instid1(VALU_DEP_1)
	v_cmp_gt_i32_e32 vcc_lo, 32, v6
	v_cndmask_b32_e32 v6, v24, v6, vcc_lo
	v_lshlrev_b32_e32 v12, 2, v6
	ds_bpermute_b32 v6, v12, v0
	ds_bpermute_b32 v7, v12, v1
	;; [unrolled: 1-line block ×8, first 2 shown]
	s_waitcnt lgkmcnt(6)
	v_add_f64 v[12:13], v[0:1], v[6:7]
	s_waitcnt lgkmcnt(4)
	v_add_f64 v[6:7], v[4:5], v[18:19]
	;; [unrolled: 2-line block ×3, first 2 shown]
	v_xor_b32_e32 v14, 1, v24
	s_waitcnt lgkmcnt(0)
	v_add_f64 v[4:5], v[16:17], v[22:23]
	s_delay_alu instid0(VALU_DEP_2) | instskip(SKIP_2) | instid1(VALU_DEP_2)
	v_cmp_gt_i32_e32 vcc_lo, 32, v14
	v_cndmask_b32_e32 v14, v24, v14, vcc_lo
	v_cmp_eq_u32_e32 vcc_lo, 31, v32
	v_lshlrev_b32_e32 v15, 2, v14
	ds_bpermute_b32 v20, v15, v12
	ds_bpermute_b32 v21, v15, v13
	;; [unrolled: 1-line block ×8, first 2 shown]
	s_and_b32 exec_lo, exec_lo, vcc_lo
	s_cbranch_execz .LBB48_10
; %bb.40:
	s_waitcnt lgkmcnt(6)
	v_add_f64 v[12:13], v[12:13], v[20:21]
	s_waitcnt lgkmcnt(4)
	v_add_f64 v[6:7], v[6:7], v[18:19]
	;; [unrolled: 2-line block ×4, first 2 shown]
	s_load_b64 s[0:1], s[0:1], 0x58
	v_lshlrev_b64 v[10:11], 5, v[10:11]
	s_mov_b32 s2, exec_lo
	v_mul_f64 v[4:5], v[2:3], v[12:13]
	v_mul_f64 v[6:7], v[2:3], v[6:7]
	v_mul_f64 v[0:1], v[2:3], v[0:1]
	v_mul_f64 v[2:3], v[2:3], v[14:15]
	v_cmpx_eq_f64_e32 0, v[8:9]
	s_xor_b32 s2, exec_lo, s2
	s_cbranch_execz .LBB48_42
; %bb.41:
	s_waitcnt lgkmcnt(0)
	v_add_co_u32 v8, vcc_lo, s0, v10
	v_add_co_ci_u32_e32 v9, vcc_lo, s1, v11, vcc_lo
                                        ; implicit-def: $vgpr10_vgpr11
	s_clause 0x1
	global_store_b128 v[8:9], v[4:7], off
	global_store_b128 v[8:9], v[0:3], off offset:16
                                        ; implicit-def: $vgpr8_vgpr9
                                        ; implicit-def: $vgpr4_vgpr5
                                        ; implicit-def: $vgpr0_vgpr1
.LBB48_42:
	s_and_not1_saveexec_b32 s2, s2
	s_cbranch_execz .LBB48_10
; %bb.43:
	s_waitcnt lgkmcnt(0)
	v_add_co_u32 v18, vcc_lo, s0, v10
	v_add_co_ci_u32_e32 v19, vcc_lo, s1, v11, vcc_lo
	s_clause 0x1
	global_load_b128 v[10:13], v[18:19], off
	global_load_b128 v[14:17], v[18:19], off offset:16
	s_waitcnt vmcnt(1)
	v_fma_f64 v[4:5], v[8:9], v[10:11], v[4:5]
	v_fma_f64 v[6:7], v[8:9], v[12:13], v[6:7]
	s_waitcnt vmcnt(0)
	v_fma_f64 v[0:1], v[8:9], v[14:15], v[0:1]
	v_fma_f64 v[2:3], v[8:9], v[16:17], v[2:3]
	s_clause 0x1
	global_store_b128 v[18:19], v[4:7], off
	global_store_b128 v[18:19], v[0:3], off offset:16
	s_nop 0
	s_sendmsg sendmsg(MSG_DEALLOC_VGPRS)
	s_endpgm
	.section	.rodata,"a",@progbits
	.p2align	6, 0x0
	.amdhsa_kernel _ZN9rocsparseL18bsrxmvn_4x4_kernelILj128ELj32EdlldddEEvT3_20rocsparse_direction_NS_24const_host_device_scalarIT1_EES1_PKS1_PKT2_SA_S7_PKT4_PKT5_S5_PT6_21rocsparse_index_base_b
		.amdhsa_group_segment_fixed_size 0
		.amdhsa_private_segment_fixed_size 0
		.amdhsa_kernarg_size 104
		.amdhsa_user_sgpr_count 15
		.amdhsa_user_sgpr_dispatch_ptr 0
		.amdhsa_user_sgpr_queue_ptr 0
		.amdhsa_user_sgpr_kernarg_segment_ptr 1
		.amdhsa_user_sgpr_dispatch_id 0
		.amdhsa_user_sgpr_private_segment_size 0
		.amdhsa_wavefront_size32 1
		.amdhsa_uses_dynamic_stack 0
		.amdhsa_enable_private_segment 0
		.amdhsa_system_sgpr_workgroup_id_x 1
		.amdhsa_system_sgpr_workgroup_id_y 0
		.amdhsa_system_sgpr_workgroup_id_z 0
		.amdhsa_system_sgpr_workgroup_info 0
		.amdhsa_system_vgpr_workitem_id 0
		.amdhsa_next_free_vgpr 147
		.amdhsa_next_free_sgpr 16
		.amdhsa_reserve_vcc 1
		.amdhsa_float_round_mode_32 0
		.amdhsa_float_round_mode_16_64 0
		.amdhsa_float_denorm_mode_32 3
		.amdhsa_float_denorm_mode_16_64 3
		.amdhsa_dx10_clamp 1
		.amdhsa_ieee_mode 1
		.amdhsa_fp16_overflow 0
		.amdhsa_workgroup_processor_mode 1
		.amdhsa_memory_ordered 1
		.amdhsa_forward_progress 0
		.amdhsa_shared_vgpr_count 0
		.amdhsa_exception_fp_ieee_invalid_op 0
		.amdhsa_exception_fp_denorm_src 0
		.amdhsa_exception_fp_ieee_div_zero 0
		.amdhsa_exception_fp_ieee_overflow 0
		.amdhsa_exception_fp_ieee_underflow 0
		.amdhsa_exception_fp_ieee_inexact 0
		.amdhsa_exception_int_div_zero 0
	.end_amdhsa_kernel
	.section	.text._ZN9rocsparseL18bsrxmvn_4x4_kernelILj128ELj32EdlldddEEvT3_20rocsparse_direction_NS_24const_host_device_scalarIT1_EES1_PKS1_PKT2_SA_S7_PKT4_PKT5_S5_PT6_21rocsparse_index_base_b,"axG",@progbits,_ZN9rocsparseL18bsrxmvn_4x4_kernelILj128ELj32EdlldddEEvT3_20rocsparse_direction_NS_24const_host_device_scalarIT1_EES1_PKS1_PKT2_SA_S7_PKT4_PKT5_S5_PT6_21rocsparse_index_base_b,comdat
.Lfunc_end48:
	.size	_ZN9rocsparseL18bsrxmvn_4x4_kernelILj128ELj32EdlldddEEvT3_20rocsparse_direction_NS_24const_host_device_scalarIT1_EES1_PKS1_PKT2_SA_S7_PKT4_PKT5_S5_PT6_21rocsparse_index_base_b, .Lfunc_end48-_ZN9rocsparseL18bsrxmvn_4x4_kernelILj128ELj32EdlldddEEvT3_20rocsparse_direction_NS_24const_host_device_scalarIT1_EES1_PKS1_PKT2_SA_S7_PKT4_PKT5_S5_PT6_21rocsparse_index_base_b
                                        ; -- End function
	.section	.AMDGPU.csdata,"",@progbits
; Kernel info:
; codeLenInByte = 5760
; NumSgprs: 18
; NumVgprs: 147
; ScratchSize: 0
; MemoryBound: 1
; FloatMode: 240
; IeeeMode: 1
; LDSByteSize: 0 bytes/workgroup (compile time only)
; SGPRBlocks: 2
; VGPRBlocks: 18
; NumSGPRsForWavesPerEU: 18
; NumVGPRsForWavesPerEU: 147
; Occupancy: 9
; WaveLimiterHint : 1
; COMPUTE_PGM_RSRC2:SCRATCH_EN: 0
; COMPUTE_PGM_RSRC2:USER_SGPR: 15
; COMPUTE_PGM_RSRC2:TRAP_HANDLER: 0
; COMPUTE_PGM_RSRC2:TGID_X_EN: 1
; COMPUTE_PGM_RSRC2:TGID_Y_EN: 0
; COMPUTE_PGM_RSRC2:TGID_Z_EN: 0
; COMPUTE_PGM_RSRC2:TIDIG_COMP_CNT: 0
	.section	.text._ZN9rocsparseL18bsrxmvn_4x4_kernelILj128ELj64EdlldddEEvT3_20rocsparse_direction_NS_24const_host_device_scalarIT1_EES1_PKS1_PKT2_SA_S7_PKT4_PKT5_S5_PT6_21rocsparse_index_base_b,"axG",@progbits,_ZN9rocsparseL18bsrxmvn_4x4_kernelILj128ELj64EdlldddEEvT3_20rocsparse_direction_NS_24const_host_device_scalarIT1_EES1_PKS1_PKT2_SA_S7_PKT4_PKT5_S5_PT6_21rocsparse_index_base_b,comdat
	.globl	_ZN9rocsparseL18bsrxmvn_4x4_kernelILj128ELj64EdlldddEEvT3_20rocsparse_direction_NS_24const_host_device_scalarIT1_EES1_PKS1_PKT2_SA_S7_PKT4_PKT5_S5_PT6_21rocsparse_index_base_b ; -- Begin function _ZN9rocsparseL18bsrxmvn_4x4_kernelILj128ELj64EdlldddEEvT3_20rocsparse_direction_NS_24const_host_device_scalarIT1_EES1_PKS1_PKT2_SA_S7_PKT4_PKT5_S5_PT6_21rocsparse_index_base_b
	.p2align	8
	.type	_ZN9rocsparseL18bsrxmvn_4x4_kernelILj128ELj64EdlldddEEvT3_20rocsparse_direction_NS_24const_host_device_scalarIT1_EES1_PKS1_PKT2_SA_S7_PKT4_PKT5_S5_PT6_21rocsparse_index_base_b,@function
_ZN9rocsparseL18bsrxmvn_4x4_kernelILj128ELj64EdlldddEEvT3_20rocsparse_direction_NS_24const_host_device_scalarIT1_EES1_PKS1_PKT2_SA_S7_PKT4_PKT5_S5_PT6_21rocsparse_index_base_b: ; @_ZN9rocsparseL18bsrxmvn_4x4_kernelILj128ELj64EdlldddEEvT3_20rocsparse_direction_NS_24const_host_device_scalarIT1_EES1_PKS1_PKT2_SA_S7_PKT4_PKT5_S5_PT6_21rocsparse_index_base_b
; %bb.0:
	s_clause 0x2
	s_load_b64 s[12:13], s[0:1], 0x60
	s_load_b128 s[4:7], s[0:1], 0x10
	s_load_b64 s[2:3], s[0:1], 0x50
	s_waitcnt lgkmcnt(0)
	s_bitcmp1_b32 s13, 0
	v_dual_mov_b32 v2, s4 :: v_dual_mov_b32 v3, s5
	s_cselect_b32 s8, -1, 0
	s_delay_alu instid0(SALU_CYCLE_1)
	s_and_b32 vcc_lo, exec_lo, s8
	s_xor_b32 s8, s8, -1
	s_cbranch_vccnz .LBB49_2
; %bb.1:
	v_dual_mov_b32 v1, s4 :: v_dual_mov_b32 v2, s5
	flat_load_b64 v[2:3], v[1:2]
.LBB49_2:
	v_dual_mov_b32 v9, s3 :: v_dual_mov_b32 v8, s2
	s_and_not1_b32 vcc_lo, exec_lo, s8
	s_cbranch_vccnz .LBB49_4
; %bb.3:
	v_dual_mov_b32 v5, s3 :: v_dual_mov_b32 v4, s2
	flat_load_b64 v[8:9], v[4:5]
.LBB49_4:
	s_waitcnt vmcnt(0) lgkmcnt(0)
	v_cmp_neq_f64_e32 vcc_lo, 0, v[2:3]
	v_cmp_neq_f64_e64 s2, 1.0, v[8:9]
	s_delay_alu instid0(VALU_DEP_1) | instskip(NEXT) | instid1(SALU_CYCLE_1)
	s_or_b32 s2, vcc_lo, s2
	s_and_saveexec_b32 s3, s2
	s_cbranch_execz .LBB49_10
; %bb.5:
	s_load_b64 s[2:3], s[0:1], 0x20
	v_lshrrev_b32_e32 v1, 6, v0
	v_mov_b32_e32 v5, 0
	s_mov_b32 s4, 0
	s_delay_alu instid0(VALU_DEP_2)
	v_lshl_or_b32 v4, s15, 1, v1
	s_waitcnt lgkmcnt(0)
	s_cmp_lg_u64 s[2:3], 0
	s_cbranch_scc0 .LBB49_11
; %bb.6:
	s_delay_alu instid0(VALU_DEP_1) | instskip(SKIP_2) | instid1(SALU_CYCLE_1)
	v_cmp_gt_i64_e32 vcc_lo, s[6:7], v[4:5]
	s_mov_b32 s5, 0
                                        ; implicit-def: $vgpr10_vgpr11
	s_and_saveexec_b32 s6, vcc_lo
	s_xor_b32 s6, exec_lo, s6
                                        ; implicit-def: $sgpr14_sgpr15
	s_cbranch_execz .LBB49_8
; %bb.7:
	v_lshlrev_b64 v[6:7], 3, v[4:5]
	s_mov_b32 s4, exec_lo
	s_mov_b32 s15, 0
	s_delay_alu instid0(VALU_DEP_1) | instskip(NEXT) | instid1(VALU_DEP_2)
	v_add_co_u32 v6, vcc_lo, s2, v6
	v_add_co_ci_u32_e32 v7, vcc_lo, s3, v7, vcc_lo
	global_load_b64 v[6:7], v[6:7], off
	s_waitcnt vmcnt(0)
	v_sub_co_u32 v10, vcc_lo, v6, s12
	v_subrev_co_ci_u32_e32 v11, vcc_lo, 0, v7, vcc_lo
.LBB49_8:
	s_or_b32 exec_lo, exec_lo, s6
	s_delay_alu instid0(SALU_CYCLE_1)
	s_and_b32 vcc_lo, exec_lo, s5
	s_cbranch_vccnz .LBB49_12
.LBB49_9:
	s_and_b32 exec_lo, exec_lo, s4
	s_cbranch_execnz .LBB49_15
.LBB49_10:
	s_nop 0
	s_sendmsg sendmsg(MSG_DEALLOC_VGPRS)
	s_endpgm
.LBB49_11:
                                        ; implicit-def: $vgpr10_vgpr11
                                        ; implicit-def: $sgpr14_sgpr15
	s_cbranch_execz .LBB49_9
.LBB49_12:
	s_load_b64 s[2:3], s[0:1], 0x0
                                        ; implicit-def: $vgpr10_vgpr11
	s_waitcnt lgkmcnt(0)
	v_cmp_gt_i64_e32 vcc_lo, s[2:3], v[4:5]
	s_and_saveexec_b32 s2, vcc_lo
                                        ; implicit-def: $sgpr14_sgpr15
; %bb.13:
	v_dual_mov_b32 v11, v5 :: v_dual_mov_b32 v10, v4
	s_mov_b32 s15, 0
	s_or_b32 s4, s4, exec_lo
; %bb.14:
	s_or_b32 exec_lo, exec_lo, s2
	s_delay_alu instid0(SALU_CYCLE_1)
	s_and_b32 exec_lo, exec_lo, s4
	s_cbranch_execz .LBB49_10
.LBB49_15:
	s_load_b256 s[4:11], s[0:1], 0x28
	v_lshlrev_b64 v[4:5], 3, v[10:11]
	v_and_b32_e32 v32, 63, v0
	s_load_b32 s3, s[0:1], 0x8
	s_waitcnt lgkmcnt(0)
	s_delay_alu instid0(VALU_DEP_2) | instskip(NEXT) | instid1(VALU_DEP_3)
	v_add_co_u32 v6, vcc_lo, s4, v4
	v_add_co_ci_u32_e32 v7, vcc_lo, s5, v5, vcc_lo
	v_add_co_u32 v1, vcc_lo, s6, v4
	v_add_co_ci_u32_e32 v4, vcc_lo, s7, v5, vcc_lo
	s_delay_alu instid0(VALU_DEP_4)
	v_add_co_u32 v12, vcc_lo, v6, 8
	global_load_b64 v[20:21], v[6:7], off
	v_add_co_ci_u32_e32 v5, vcc_lo, 0, v7, vcc_lo
	s_cmp_eq_u64 s[6:7], 0
	s_load_b64 s[4:5], s[0:1], 0x48
	s_cselect_b32 vcc_lo, -1, 0
	s_cmp_eq_u32 s3, 1
	v_dual_cndmask_b32 v5, v4, v5 :: v_dual_cndmask_b32 v4, v1, v12
	global_load_b64 v[4:5], v[4:5], off
	s_waitcnt vmcnt(1)
	v_sub_co_u32 v0, vcc_lo, v20, s12
	v_subrev_co_ci_u32_e32 v1, vcc_lo, s15, v21, vcc_lo
	s_delay_alu instid0(VALU_DEP_2) | instskip(NEXT) | instid1(VALU_DEP_2)
	v_add_co_u32 v0, vcc_lo, v0, v32
	v_add_co_ci_u32_e32 v1, vcc_lo, 0, v1, vcc_lo
	s_delay_alu instid0(VALU_DEP_1) | instskip(SKIP_3) | instid1(VALU_DEP_3)
	v_lshlrev_b64 v[6:7], 7, v[0:1]
	s_waitcnt vmcnt(0)
	v_sub_co_u32 v4, vcc_lo, v4, s12
	v_subrev_co_ci_u32_e32 v5, vcc_lo, s15, v5, vcc_lo
	v_add_co_u32 v6, vcc_lo, s10, v6
	s_delay_alu instid0(VALU_DEP_2)
	v_cmp_lt_i64_e64 s2, v[0:1], v[4:5]
	v_add_co_ci_u32_e32 v7, vcc_lo, s11, v7, vcc_lo
	s_cbranch_scc1 .LBB49_27
; %bb.16:
	v_mov_b32_e32 v12, 0
	v_mov_b32_e32 v13, 0
	s_delay_alu instid0(VALU_DEP_1)
	v_dual_mov_b32 v15, v13 :: v_dual_mov_b32 v14, v12
	v_dual_mov_b32 v19, v13 :: v_dual_mov_b32 v18, v12
	v_dual_mov_b32 v17, v13 :: v_dual_mov_b32 v16, v12
	s_and_saveexec_b32 s6, s2
	s_cbranch_execz .LBB49_26
; %bb.17:
	v_or_b32_e32 v12, 64, v32
	v_not_b32_e32 v15, v20
	v_not_b32_e32 v14, v21
	s_mov_b32 s10, 0
	s_mov_b32 s7, exec_lo
	v_sub_co_u32 v12, s3, v12, s12
	s_delay_alu instid0(VALU_DEP_1) | instskip(SKIP_1) | instid1(VALU_DEP_3)
	v_sub_co_ci_u32_e64 v13, null, 0, s15, s3
	v_sub_co_u32 v16, s3, s12, v32
	v_add_co_u32 v12, vcc_lo, v12, v20
	s_delay_alu instid0(VALU_DEP_3) | instskip(SKIP_2) | instid1(VALU_DEP_3)
	v_add_co_ci_u32_e32 v13, vcc_lo, v13, v21, vcc_lo
	v_sub_co_ci_u32_e64 v17, null, s15, 0, s3
	v_mov_b32_e32 v23, v1
	v_cmp_gt_i64_e32 vcc_lo, v[12:13], v[4:5]
	v_dual_mov_b32 v25, v7 :: v_dual_mov_b32 v24, v6
	v_dual_cndmask_b32 v13, v5, v13 :: v_dual_cndmask_b32 v12, v4, v12
	v_add_co_u32 v15, vcc_lo, v16, v15
	v_add_co_ci_u32_e32 v14, vcc_lo, v17, v14, vcc_lo
	v_mov_b32_e32 v16, 0
	s_delay_alu instid0(VALU_DEP_3) | instskip(SKIP_1) | instid1(VALU_DEP_4)
	v_add_co_u32 v26, vcc_lo, v15, v12
	v_mov_b32_e32 v17, 0
	v_add_co_ci_u32_e32 v27, vcc_lo, v14, v13, vcc_lo
	s_delay_alu instid0(VALU_DEP_3) | instskip(SKIP_1) | instid1(VALU_DEP_4)
	v_lshrrev_b32_e32 v12, 6, v26
	v_mov_b32_e32 v14, v16
	v_dual_mov_b32 v22, v0 :: v_dual_mov_b32 v15, v17
	s_delay_alu instid0(VALU_DEP_3) | instskip(SKIP_1) | instid1(VALU_DEP_2)
	v_dual_mov_b32 v19, v17 :: v_dual_add_nc_u32 v12, 1, v12
	v_mov_b32_e32 v18, v16
	v_and_b32_e32 v28, 3, v12
	v_dual_mov_b32 v12, v16 :: v_dual_mov_b32 v13, v17
	s_delay_alu instid0(VALU_DEP_2)
	v_cmpx_ne_u32_e32 0, v28
	s_cbranch_execz .LBB49_21
; %bb.18:
	v_lshlrev_b64 v[14:15], 3, v[0:1]
	v_dual_mov_b32 v29, 0 :: v_dual_mov_b32 v12, 0
	v_dual_mov_b32 v13, 0 :: v_dual_lshlrev_b32 v28, 4, v28
	v_dual_mov_b32 v25, v7 :: v_dual_mov_b32 v24, v6
	s_delay_alu instid0(VALU_DEP_4)
	v_add_co_u32 v30, vcc_lo, s8, v14
	v_add_co_ci_u32_e32 v31, vcc_lo, s9, v15, vcc_lo
	v_dual_mov_b32 v23, v1 :: v_dual_mov_b32 v22, v0
	v_dual_mov_b32 v15, v13 :: v_dual_mov_b32 v14, v12
	;; [unrolled: 1-line block ×4, first 2 shown]
.LBB49_19:                              ; =>This Inner Loop Header: Depth=1
	global_load_b64 v[61:62], v[30:31], off
	s_clause 0x6
	global_load_b128 v[33:36], v[24:25], off offset:48
	global_load_b128 v[37:40], v[24:25], off offset:32
	;; [unrolled: 1-line block ×3, first 2 shown]
	global_load_b128 v[45:48], v[24:25], off
	global_load_b128 v[49:52], v[24:25], off offset:112
	global_load_b128 v[53:56], v[24:25], off offset:96
	;; [unrolled: 1-line block ×3, first 2 shown]
	v_add_co_u32 v30, s3, 0x200, v30
	s_delay_alu instid0(VALU_DEP_1) | instskip(SKIP_3) | instid1(VALU_DEP_1)
	v_add_co_ci_u32_e64 v31, s3, 0, v31, s3
	s_waitcnt vmcnt(7)
	v_sub_co_u32 v61, vcc_lo, v61, s12
	v_subrev_co_ci_u32_e32 v62, vcc_lo, s15, v62, vcc_lo
	v_lshlrev_b64 v[61:62], 5, v[61:62]
	s_waitcnt lgkmcnt(0)
	s_delay_alu instid0(VALU_DEP_1) | instskip(NEXT) | instid1(VALU_DEP_2)
	v_add_co_u32 v69, vcc_lo, s4, v61
	v_add_co_ci_u32_e32 v70, vcc_lo, s5, v62, vcc_lo
	global_load_b128 v[61:64], v[24:25], off offset:64
	s_clause 0x1
	global_load_b128 v[65:68], v[69:70], off
	global_load_b128 v[69:72], v[69:70], off offset:16
	v_add_co_u32 v24, vcc_lo, 0x2000, v24
	v_add_co_ci_u32_e32 v25, vcc_lo, 0, v25, vcc_lo
	v_add_co_u32 v28, vcc_lo, v28, -16
	v_add_co_ci_u32_e32 v29, vcc_lo, -1, v29, vcc_lo
	v_add_co_u32 v22, vcc_lo, v22, 64
	v_add_co_ci_u32_e32 v23, vcc_lo, 0, v23, vcc_lo
	s_delay_alu instid0(VALU_DEP_3)
	v_cmp_eq_u64_e32 vcc_lo, 0, v[28:29]
	s_or_b32 s10, vcc_lo, s10
	s_waitcnt vmcnt(1)
	v_fma_f64 v[16:17], v[45:46], v[65:66], v[16:17]
	v_fma_f64 v[18:19], v[37:38], v[65:66], v[18:19]
	;; [unrolled: 1-line block ×4, first 2 shown]
	s_delay_alu instid0(VALU_DEP_4) | instskip(NEXT) | instid1(VALU_DEP_4)
	v_fma_f64 v[16:17], v[47:48], v[67:68], v[16:17]
	v_fma_f64 v[18:19], v[39:40], v[67:68], v[18:19]
	s_delay_alu instid0(VALU_DEP_4) | instskip(NEXT) | instid1(VALU_DEP_4)
	v_fma_f64 v[14:15], v[63:64], v[67:68], v[14:15]
	v_fma_f64 v[12:13], v[55:56], v[67:68], v[12:13]
	s_waitcnt vmcnt(0)
	s_delay_alu instid0(VALU_DEP_4) | instskip(NEXT) | instid1(VALU_DEP_4)
	v_fma_f64 v[16:17], v[41:42], v[69:70], v[16:17]
	v_fma_f64 v[18:19], v[33:34], v[69:70], v[18:19]
	s_delay_alu instid0(VALU_DEP_4) | instskip(NEXT) | instid1(VALU_DEP_4)
	v_fma_f64 v[14:15], v[57:58], v[69:70], v[14:15]
	v_fma_f64 v[12:13], v[49:50], v[69:70], v[12:13]
	;; [unrolled: 3-line block ×4, first 2 shown]
	s_and_not1_b32 exec_lo, exec_lo, s10
	s_cbranch_execnz .LBB49_19
; %bb.20:
	s_or_b32 exec_lo, exec_lo, s10
.LBB49_21:
	s_delay_alu instid0(SALU_CYCLE_1) | instskip(NEXT) | instid1(SALU_CYCLE_1)
	s_or_b32 exec_lo, exec_lo, s7
	s_mov_b32 s7, exec_lo
	v_cmpx_lt_u64_e32 0xbf, v[26:27]
	s_cbranch_execz .LBB49_25
; %bb.22:
	v_lshlrev_b64 v[26:27], 3, v[22:23]
	s_mov_b32 s10, 0
	s_delay_alu instid0(VALU_DEP_1) | instskip(NEXT) | instid1(VALU_DEP_2)
	v_add_co_u32 v26, vcc_lo, v26, s8
	v_add_co_ci_u32_e32 v27, vcc_lo, s9, v27, vcc_lo
	s_delay_alu instid0(VALU_DEP_2) | instskip(NEXT) | instid1(VALU_DEP_2)
	v_add_co_u32 v26, vcc_lo, 0x400, v26
	v_add_co_ci_u32_e32 v27, vcc_lo, 0, v27, vcc_lo
.LBB49_23:                              ; =>This Inner Loop Header: Depth=1
	s_clause 0x2
	global_load_b64 v[61:62], v[26:27], off offset:-1024
	global_load_b64 v[93:94], v[26:27], off offset:-512
	global_load_b64 v[133:134], v[26:27], off
	s_clause 0x7
	global_load_b128 v[28:31], v[24:25], off offset:48
	global_load_b128 v[33:36], v[24:25], off offset:32
	;; [unrolled: 1-line block ×3, first 2 shown]
	global_load_b128 v[41:44], v[24:25], off
	global_load_b128 v[45:48], v[24:25], off offset:112
	global_load_b128 v[49:52], v[24:25], off offset:96
	;; [unrolled: 1-line block ×4, first 2 shown]
	global_load_b64 v[141:142], v[26:27], off offset:512
	s_waitcnt vmcnt(11)
	v_sub_co_u32 v61, vcc_lo, v61, s12
	v_subrev_co_ci_u32_e32 v62, vcc_lo, s15, v62, vcc_lo
	s_delay_alu instid0(VALU_DEP_1) | instskip(SKIP_1) | instid1(VALU_DEP_1)
	v_lshlrev_b64 v[61:62], 5, v[61:62]
	s_waitcnt lgkmcnt(0)
	v_add_co_u32 v65, vcc_lo, s4, v61
	s_delay_alu instid0(VALU_DEP_2)
	v_add_co_ci_u32_e32 v66, vcc_lo, s5, v62, vcc_lo
	v_add_co_u32 v101, vcc_lo, 0x2000, v24
	v_add_co_ci_u32_e32 v102, vcc_lo, 0, v25, vcc_lo
	s_clause 0x1
	global_load_b128 v[61:64], v[65:66], off
	global_load_b128 v[65:68], v[65:66], off offset:16
	s_waitcnt vmcnt(12)
	v_sub_co_u32 v93, vcc_lo, v93, s12
	v_subrev_co_ci_u32_e32 v94, vcc_lo, s15, v94, vcc_lo
	s_clause 0x5
	global_load_b128 v[69:72], v[101:102], off offset:48
	global_load_b128 v[73:76], v[101:102], off offset:32
	;; [unrolled: 1-line block ×6, first 2 shown]
	v_lshlrev_b64 v[93:94], 5, v[93:94]
	s_delay_alu instid0(VALU_DEP_1) | instskip(NEXT) | instid1(VALU_DEP_2)
	v_add_co_u32 v105, vcc_lo, s4, v93
	v_add_co_ci_u32_e32 v106, vcc_lo, s5, v94, vcc_lo
	global_load_b128 v[93:96], v[101:102], off
	global_load_b128 v[97:100], v[105:106], off
	global_load_b128 v[101:104], v[101:102], off offset:16
	global_load_b128 v[105:108], v[105:106], off offset:16
	v_add_co_u32 v143, vcc_lo, 0x4000, v24
	v_add_co_ci_u32_e32 v144, vcc_lo, 0, v25, vcc_lo
	s_waitcnt vmcnt(21)
	v_sub_co_u32 v133, vcc_lo, v133, s12
	v_subrev_co_ci_u32_e32 v134, vcc_lo, s15, v134, vcc_lo
	s_clause 0x5
	global_load_b128 v[109:112], v[143:144], off offset:48
	global_load_b128 v[113:116], v[143:144], off offset:32
	;; [unrolled: 1-line block ×6, first 2 shown]
	v_lshlrev_b64 v[133:134], 5, v[133:134]
	s_delay_alu instid0(VALU_DEP_1) | instskip(NEXT) | instid1(VALU_DEP_2)
	v_add_co_u32 v145, vcc_lo, s4, v133
	v_add_co_ci_u32_e32 v146, vcc_lo, s5, v134, vcc_lo
	global_load_b128 v[133:136], v[143:144], off
	global_load_b128 v[137:140], v[145:146], off
	s_waitcnt vmcnt(19)
	v_fma_f64 v[16:17], v[41:42], v[61:62], v[16:17]
	v_fma_f64 v[18:19], v[33:34], v[61:62], v[18:19]
	;; [unrolled: 1-line block ×4, first 2 shown]
	s_delay_alu instid0(VALU_DEP_4) | instskip(NEXT) | instid1(VALU_DEP_4)
	v_fma_f64 v[33:34], v[43:44], v[63:64], v[16:17]
	v_fma_f64 v[35:36], v[35:36], v[63:64], v[18:19]
	s_delay_alu instid0(VALU_DEP_4) | instskip(NEXT) | instid1(VALU_DEP_4)
	v_fma_f64 v[41:42], v[59:60], v[63:64], v[14:15]
	v_fma_f64 v[43:44], v[51:52], v[63:64], v[12:13]
	global_load_b128 v[12:15], v[143:144], off offset:16
	global_load_b128 v[16:19], v[145:146], off offset:16
	s_waitcnt vmcnt(20)
	v_fma_f64 v[37:38], v[37:38], v[65:66], v[33:34]
	v_fma_f64 v[28:29], v[28:29], v[65:66], v[35:36]
	;; [unrolled: 1-line block ×4, first 2 shown]
	v_add_co_u32 v65, vcc_lo, 0x6000, v24
	v_add_co_ci_u32_e32 v66, vcc_lo, 0, v25, vcc_lo
	s_clause 0x4
	global_load_b128 v[33:36], v[65:66], off
	global_load_b128 v[41:44], v[65:66], off offset:48
	global_load_b128 v[49:52], v[65:66], off offset:32
	;; [unrolled: 1-line block ×4, first 2 shown]
	v_add_co_u32 v24, s3, 0x8000, v24
	s_delay_alu instid0(VALU_DEP_1)
	v_add_co_ci_u32_e64 v25, s3, 0, v25, s3
	v_fma_f64 v[143:144], v[39:40], v[67:68], v[37:38]
	v_fma_f64 v[145:146], v[30:31], v[67:68], v[28:29]
	v_fma_f64 v[53:54], v[55:56], v[67:68], v[53:54]
	v_fma_f64 v[45:46], v[47:48], v[67:68], v[45:46]
	v_sub_co_u32 v37, vcc_lo, v141, s12
	v_subrev_co_ci_u32_e32 v38, vcc_lo, s15, v142, vcc_lo
	s_delay_alu instid0(VALU_DEP_1) | instskip(NEXT) | instid1(VALU_DEP_1)
	v_lshlrev_b64 v[28:29], 5, v[37:38]
	v_add_co_u32 v67, vcc_lo, s4, v28
	s_delay_alu instid0(VALU_DEP_2)
	v_add_co_ci_u32_e32 v68, vcc_lo, s5, v29, vcc_lo
	global_load_b128 v[28:31], v[65:66], off offset:64
	global_load_b128 v[37:40], v[67:68], off
	v_add_co_u32 v22, vcc_lo, 0x100, v22
	v_add_co_ci_u32_e32 v23, vcc_lo, 0, v23, vcc_lo
	v_add_co_u32 v26, vcc_lo, 0x800, v26
	v_add_co_ci_u32_e32 v27, vcc_lo, 0, v27, vcc_lo
	s_delay_alu instid0(VALU_DEP_3)
	v_cmp_ge_i64_e32 vcc_lo, v[22:23], v[4:5]
	s_or_b32 s10, vcc_lo, s10
	s_waitcnt vmcnt(19)
	v_fma_f64 v[47:48], v[93:94], v[97:98], v[143:144]
	v_fma_f64 v[55:56], v[73:74], v[97:98], v[145:146]
	;; [unrolled: 1-line block ×4, first 2 shown]
	s_delay_alu instid0(VALU_DEP_4) | instskip(NEXT) | instid1(VALU_DEP_4)
	v_fma_f64 v[73:74], v[95:96], v[99:100], v[47:48]
	v_fma_f64 v[75:76], v[75:76], v[99:100], v[55:56]
	s_delay_alu instid0(VALU_DEP_4) | instskip(NEXT) | instid1(VALU_DEP_4)
	v_fma_f64 v[81:82], v[91:92], v[99:100], v[53:54]
	v_fma_f64 v[83:84], v[83:84], v[99:100], v[45:46]
	s_clause 0x1
	global_load_b128 v[45:48], v[65:66], off offset:80
	global_load_b128 v[53:56], v[65:66], off offset:16
	;; [unrolled: 1-line block ×3, first 2 shown]
	s_waitcnt vmcnt(20)
	v_fma_f64 v[73:74], v[101:102], v[105:106], v[73:74]
	v_fma_f64 v[69:70], v[69:70], v[105:106], v[75:76]
	;; [unrolled: 1-line block ×4, first 2 shown]
	s_delay_alu instid0(VALU_DEP_4) | instskip(NEXT) | instid1(VALU_DEP_4)
	v_fma_f64 v[73:74], v[103:104], v[107:108], v[73:74]
	v_fma_f64 v[69:70], v[71:72], v[107:108], v[69:70]
	s_delay_alu instid0(VALU_DEP_4) | instskip(NEXT) | instid1(VALU_DEP_4)
	v_fma_f64 v[71:72], v[87:88], v[107:108], v[75:76]
	v_fma_f64 v[75:76], v[79:80], v[107:108], v[77:78]
	s_waitcnt vmcnt(12)
	s_delay_alu instid0(VALU_DEP_4) | instskip(NEXT) | instid1(VALU_DEP_4)
	v_fma_f64 v[73:74], v[133:134], v[137:138], v[73:74]
	v_fma_f64 v[69:70], v[113:114], v[137:138], v[69:70]
	s_delay_alu instid0(VALU_DEP_4) | instskip(NEXT) | instid1(VALU_DEP_4)
	v_fma_f64 v[71:72], v[129:130], v[137:138], v[71:72]
	v_fma_f64 v[75:76], v[121:122], v[137:138], v[75:76]
	s_delay_alu instid0(VALU_DEP_4) | instskip(NEXT) | instid1(VALU_DEP_4)
	v_fma_f64 v[73:74], v[135:136], v[139:140], v[73:74]
	v_fma_f64 v[69:70], v[115:116], v[139:140], v[69:70]
	s_delay_alu instid0(VALU_DEP_4) | instskip(NEXT) | instid1(VALU_DEP_4)
	v_fma_f64 v[71:72], v[131:132], v[139:140], v[71:72]
	v_fma_f64 v[75:76], v[123:124], v[139:140], v[75:76]
	s_waitcnt vmcnt(10)
	s_delay_alu instid0(VALU_DEP_4) | instskip(NEXT) | instid1(VALU_DEP_4)
	v_fma_f64 v[12:13], v[12:13], v[16:17], v[73:74]
	v_fma_f64 v[69:70], v[109:110], v[16:17], v[69:70]
	s_delay_alu instid0(VALU_DEP_4) | instskip(NEXT) | instid1(VALU_DEP_4)
	v_fma_f64 v[71:72], v[125:126], v[16:17], v[71:72]
	v_fma_f64 v[16:17], v[117:118], v[16:17], v[75:76]
	s_delay_alu instid0(VALU_DEP_4) | instskip(NEXT) | instid1(VALU_DEP_4)
	v_fma_f64 v[12:13], v[14:15], v[18:19], v[12:13]
	v_fma_f64 v[14:15], v[111:112], v[18:19], v[69:70]
	s_delay_alu instid0(VALU_DEP_4) | instskip(NEXT) | instid1(VALU_DEP_4)
	v_fma_f64 v[69:70], v[127:128], v[18:19], v[71:72]
	v_fma_f64 v[16:17], v[119:120], v[18:19], v[16:17]
	s_waitcnt vmcnt(3)
	s_delay_alu instid0(VALU_DEP_4) | instskip(NEXT) | instid1(VALU_DEP_4)
	v_fma_f64 v[12:13], v[33:34], v[37:38], v[12:13]
	v_fma_f64 v[14:15], v[49:50], v[37:38], v[14:15]
	s_delay_alu instid0(VALU_DEP_4) | instskip(NEXT) | instid1(VALU_DEP_4)
	v_fma_f64 v[18:19], v[28:29], v[37:38], v[69:70]
	v_fma_f64 v[16:17], v[61:62], v[37:38], v[16:17]
	s_delay_alu instid0(VALU_DEP_4) | instskip(NEXT) | instid1(VALU_DEP_4)
	v_fma_f64 v[12:13], v[35:36], v[39:40], v[12:13]
	v_fma_f64 v[14:15], v[51:52], v[39:40], v[14:15]
	s_delay_alu instid0(VALU_DEP_4) | instskip(NEXT) | instid1(VALU_DEP_4)
	v_fma_f64 v[18:19], v[30:31], v[39:40], v[18:19]
	v_fma_f64 v[16:17], v[63:64], v[39:40], v[16:17]
	s_waitcnt vmcnt(0)
	s_delay_alu instid0(VALU_DEP_4) | instskip(NEXT) | instid1(VALU_DEP_4)
	v_fma_f64 v[12:13], v[53:54], v[65:66], v[12:13]
	v_fma_f64 v[14:15], v[41:42], v[65:66], v[14:15]
	s_delay_alu instid0(VALU_DEP_4) | instskip(NEXT) | instid1(VALU_DEP_4)
	v_fma_f64 v[28:29], v[45:46], v[65:66], v[18:19]
	v_fma_f64 v[30:31], v[57:58], v[65:66], v[16:17]
	s_delay_alu instid0(VALU_DEP_4) | instskip(NEXT) | instid1(VALU_DEP_4)
	v_fma_f64 v[16:17], v[55:56], v[67:68], v[12:13]
	v_fma_f64 v[18:19], v[43:44], v[67:68], v[14:15]
	s_delay_alu instid0(VALU_DEP_4) | instskip(NEXT) | instid1(VALU_DEP_4)
	v_fma_f64 v[14:15], v[47:48], v[67:68], v[28:29]
	v_fma_f64 v[12:13], v[59:60], v[67:68], v[30:31]
	s_and_not1_b32 exec_lo, exec_lo, s10
	s_cbranch_execnz .LBB49_23
; %bb.24:
	s_or_b32 exec_lo, exec_lo, s10
.LBB49_25:
	s_delay_alu instid0(SALU_CYCLE_1)
	s_or_b32 exec_lo, exec_lo, s7
.LBB49_26:
	s_delay_alu instid0(SALU_CYCLE_1)
	s_or_b32 exec_lo, exec_lo, s6
	s_cbranch_execz .LBB49_28
	s_branch .LBB49_39
.LBB49_27:
                                        ; implicit-def: $vgpr12_vgpr13
                                        ; implicit-def: $vgpr14_vgpr15
                                        ; implicit-def: $vgpr18_vgpr19
                                        ; implicit-def: $vgpr16_vgpr17
.LBB49_28:
	v_mov_b32_e32 v12, 0
	v_mov_b32_e32 v13, 0
	s_delay_alu instid0(VALU_DEP_1)
	v_dual_mov_b32 v15, v13 :: v_dual_mov_b32 v14, v12
	v_dual_mov_b32 v19, v13 :: v_dual_mov_b32 v18, v12
	;; [unrolled: 1-line block ×3, first 2 shown]
	s_and_saveexec_b32 s3, s2
	s_cbranch_execz .LBB49_38
; %bb.29:
	v_or_b32_e32 v12, 64, v32
	v_not_b32_e32 v15, v20
	v_not_b32_e32 v14, v21
	s_mov_b32 s7, 0
	s_mov_b32 s6, exec_lo
	v_sub_co_u32 v12, s2, v12, s12
	s_delay_alu instid0(VALU_DEP_1) | instskip(SKIP_1) | instid1(VALU_DEP_3)
	v_sub_co_ci_u32_e64 v13, null, 0, s15, s2
	v_sub_co_u32 v16, s2, s12, v32
	v_add_co_u32 v12, vcc_lo, v12, v20
	s_delay_alu instid0(VALU_DEP_3) | instskip(SKIP_1) | instid1(VALU_DEP_2)
	v_add_co_ci_u32_e32 v13, vcc_lo, v13, v21, vcc_lo
	v_sub_co_ci_u32_e64 v17, null, s15, 0, s2
	v_cmp_gt_i64_e32 vcc_lo, v[12:13], v[4:5]
	v_dual_cndmask_b32 v13, v5, v13 :: v_dual_cndmask_b32 v12, v4, v12
	v_add_co_u32 v15, vcc_lo, v16, v15
	s_delay_alu instid0(VALU_DEP_4) | instskip(SKIP_1) | instid1(VALU_DEP_3)
	v_add_co_ci_u32_e32 v14, vcc_lo, v17, v14, vcc_lo
	v_mov_b32_e32 v16, 0
	v_add_co_u32 v20, vcc_lo, v15, v12
	s_delay_alu instid0(VALU_DEP_3) | instskip(SKIP_1) | instid1(VALU_DEP_3)
	v_add_co_ci_u32_e32 v21, vcc_lo, v14, v13, vcc_lo
	v_mov_b32_e32 v17, 0
	v_lshrrev_b32_e32 v12, 6, v20
	s_delay_alu instid0(VALU_DEP_2) | instskip(NEXT) | instid1(VALU_DEP_2)
	v_dual_mov_b32 v14, v16 :: v_dual_mov_b32 v19, v17
	v_add_nc_u32_e32 v12, 1, v12
	v_dual_mov_b32 v18, v16 :: v_dual_mov_b32 v15, v17
	s_delay_alu instid0(VALU_DEP_2) | instskip(SKIP_1) | instid1(VALU_DEP_2)
	v_and_b32_e32 v22, 3, v12
	v_dual_mov_b32 v12, v16 :: v_dual_mov_b32 v13, v17
	v_cmpx_ne_u32_e32 0, v22
	s_cbranch_execz .LBB49_33
; %bb.30:
	v_lshlrev_b64 v[14:15], 3, v[0:1]
	v_dual_mov_b32 v23, 0 :: v_dual_mov_b32 v12, 0
	v_dual_mov_b32 v13, 0 :: v_dual_lshlrev_b32 v22, 4, v22
	s_delay_alu instid0(VALU_DEP_3) | instskip(NEXT) | instid1(VALU_DEP_4)
	v_add_co_u32 v24, vcc_lo, s8, v14
	v_add_co_ci_u32_e32 v25, vcc_lo, s9, v15, vcc_lo
	s_delay_alu instid0(VALU_DEP_3)
	v_dual_mov_b32 v15, v13 :: v_dual_mov_b32 v14, v12
	v_dual_mov_b32 v19, v13 :: v_dual_mov_b32 v18, v12
	;; [unrolled: 1-line block ×3, first 2 shown]
.LBB49_31:                              ; =>This Inner Loop Header: Depth=1
	global_load_b64 v[30:31], v[24:25], off
	global_load_b128 v[26:29], v[6:7], off offset:16
	v_add_co_u32 v24, s2, 0x200, v24
	s_delay_alu instid0(VALU_DEP_1) | instskip(SKIP_3) | instid1(VALU_DEP_1)
	v_add_co_ci_u32_e64 v25, s2, 0, v25, s2
	s_waitcnt vmcnt(1)
	v_sub_co_u32 v30, vcc_lo, v30, s12
	v_subrev_co_ci_u32_e32 v31, vcc_lo, s15, v31, vcc_lo
	v_lshlrev_b64 v[30:31], 5, v[30:31]
	s_waitcnt lgkmcnt(0)
	s_delay_alu instid0(VALU_DEP_1) | instskip(NEXT) | instid1(VALU_DEP_2)
	v_add_co_u32 v30, vcc_lo, s4, v30
	v_add_co_ci_u32_e32 v31, vcc_lo, s5, v31, vcc_lo
	global_load_b128 v[33:36], v[6:7], off
	s_clause 0x1
	global_load_b128 v[37:40], v[30:31], off
	global_load_b128 v[41:44], v[30:31], off offset:16
	s_clause 0x5
	global_load_b128 v[45:48], v[6:7], off offset:32
	global_load_b128 v[49:52], v[6:7], off offset:48
	global_load_b128 v[53:56], v[6:7], off offset:64
	global_load_b128 v[57:60], v[6:7], off offset:80
	global_load_b128 v[61:64], v[6:7], off offset:96
	global_load_b128 v[65:68], v[6:7], off offset:112
	v_add_co_u32 v6, vcc_lo, 0x2000, v6
	v_add_co_ci_u32_e32 v7, vcc_lo, 0, v7, vcc_lo
	v_add_co_u32 v22, vcc_lo, v22, -16
	v_add_co_ci_u32_e32 v23, vcc_lo, -1, v23, vcc_lo
	v_add_co_u32 v0, vcc_lo, v0, 64
	v_add_co_ci_u32_e32 v1, vcc_lo, 0, v1, vcc_lo
	s_delay_alu instid0(VALU_DEP_3)
	v_cmp_eq_u64_e32 vcc_lo, 0, v[22:23]
	s_or_b32 s7, vcc_lo, s7
	s_waitcnt vmcnt(7)
	v_fma_f64 v[16:17], v[33:34], v[37:38], v[16:17]
	v_fma_f64 v[18:19], v[35:36], v[37:38], v[18:19]
	;; [unrolled: 1-line block ×4, first 2 shown]
	s_waitcnt vmcnt(5)
	s_delay_alu instid0(VALU_DEP_4) | instskip(NEXT) | instid1(VALU_DEP_4)
	v_fma_f64 v[16:17], v[45:46], v[39:40], v[16:17]
	v_fma_f64 v[18:19], v[47:48], v[39:40], v[18:19]
	s_waitcnt vmcnt(4)
	s_delay_alu instid0(VALU_DEP_4) | instskip(NEXT) | instid1(VALU_DEP_4)
	v_fma_f64 v[14:15], v[49:50], v[39:40], v[14:15]
	v_fma_f64 v[12:13], v[51:52], v[39:40], v[12:13]
	;; [unrolled: 4-line block ×6, first 2 shown]
	s_and_not1_b32 exec_lo, exec_lo, s7
	s_cbranch_execnz .LBB49_31
; %bb.32:
	s_or_b32 exec_lo, exec_lo, s7
.LBB49_33:
	s_delay_alu instid0(SALU_CYCLE_1) | instskip(NEXT) | instid1(SALU_CYCLE_1)
	s_or_b32 exec_lo, exec_lo, s6
	s_mov_b32 s6, exec_lo
	v_cmpx_lt_u64_e32 0xbf, v[20:21]
	s_cbranch_execz .LBB49_37
; %bb.34:
	v_lshlrev_b64 v[20:21], 3, v[0:1]
	s_mov_b32 s7, 0
	s_delay_alu instid0(VALU_DEP_1) | instskip(NEXT) | instid1(VALU_DEP_2)
	v_add_co_u32 v20, vcc_lo, v20, s8
	v_add_co_ci_u32_e32 v21, vcc_lo, s9, v21, vcc_lo
	s_delay_alu instid0(VALU_DEP_2) | instskip(NEXT) | instid1(VALU_DEP_2)
	v_add_co_u32 v20, vcc_lo, 0x400, v20
	v_add_co_ci_u32_e32 v21, vcc_lo, 0, v21, vcc_lo
.LBB49_35:                              ; =>This Inner Loop Header: Depth=1
	s_clause 0x2
	global_load_b64 v[30:31], v[20:21], off offset:-1024
	global_load_b64 v[69:70], v[20:21], off offset:-512
	global_load_b64 v[109:110], v[20:21], off
	s_clause 0x1
	global_load_b128 v[22:25], v[6:7], off offset:16
	global_load_b128 v[26:29], v[6:7], off
	global_load_b64 v[117:118], v[20:21], off offset:512
	s_waitcnt vmcnt(5)
	v_sub_co_u32 v30, vcc_lo, v30, s12
	v_subrev_co_ci_u32_e32 v31, vcc_lo, s15, v31, vcc_lo
	s_delay_alu instid0(VALU_DEP_1) | instskip(SKIP_1) | instid1(VALU_DEP_1)
	v_lshlrev_b64 v[30:31], 5, v[30:31]
	s_waitcnt lgkmcnt(0)
	v_add_co_u32 v30, vcc_lo, s4, v30
	s_delay_alu instid0(VALU_DEP_2)
	v_add_co_ci_u32_e32 v31, vcc_lo, s5, v31, vcc_lo
	global_load_b128 v[33:36], v[30:31], off
	s_clause 0x3
	global_load_b128 v[37:40], v[6:7], off offset:32
	global_load_b128 v[41:44], v[6:7], off offset:48
	;; [unrolled: 1-line block ×5, first 2 shown]
	s_clause 0x1
	global_load_b128 v[57:60], v[6:7], off offset:96
	global_load_b128 v[61:64], v[6:7], off offset:112
	v_add_co_u32 v30, vcc_lo, 0x2000, v6
	v_add_co_ci_u32_e32 v31, vcc_lo, 0, v7, vcc_lo
	s_waitcnt vmcnt(12)
	v_sub_co_u32 v69, vcc_lo, v69, s12
	v_subrev_co_ci_u32_e32 v70, vcc_lo, s15, v70, vcc_lo
	global_load_b128 v[65:68], v[30:31], off
	v_lshlrev_b64 v[69:70], 5, v[69:70]
	s_delay_alu instid0(VALU_DEP_1) | instskip(NEXT) | instid1(VALU_DEP_2)
	v_add_co_u32 v93, vcc_lo, s4, v69
	v_add_co_ci_u32_e32 v94, vcc_lo, s5, v70, vcc_lo
	global_load_b128 v[69:72], v[30:31], off offset:16
	global_load_b128 v[73:76], v[93:94], off
	s_clause 0x3
	global_load_b128 v[77:80], v[30:31], off offset:32
	global_load_b128 v[81:84], v[30:31], off offset:48
	;; [unrolled: 1-line block ×5, first 2 shown]
	s_clause 0x1
	global_load_b128 v[97:100], v[30:31], off offset:96
	global_load_b128 v[101:104], v[30:31], off offset:112
	v_add_co_u32 v30, vcc_lo, 0x4000, v6
	v_add_co_ci_u32_e32 v31, vcc_lo, 0, v7, vcc_lo
	s_waitcnt vmcnt(21)
	v_sub_co_u32 v109, vcc_lo, v109, s12
	v_subrev_co_ci_u32_e32 v110, vcc_lo, s15, v110, vcc_lo
	global_load_b128 v[105:108], v[30:31], off
	v_lshlrev_b64 v[109:110], 5, v[109:110]
	s_delay_alu instid0(VALU_DEP_1) | instskip(NEXT) | instid1(VALU_DEP_2)
	v_add_co_u32 v119, vcc_lo, s4, v109
	v_add_co_ci_u32_e32 v120, vcc_lo, s5, v110, vcc_lo
	global_load_b128 v[109:112], v[30:31], off offset:16
	global_load_b128 v[113:116], v[119:120], off
	s_waitcnt vmcnt(20)
	v_fma_f64 v[26:27], v[26:27], v[33:34], v[16:17]
	v_fma_f64 v[28:29], v[28:29], v[33:34], v[18:19]
	;; [unrolled: 1-line block ×4, first 2 shown]
	s_clause 0x1
	global_load_b128 v[12:15], v[30:31], off offset:32
	global_load_b128 v[16:19], v[30:31], off offset:48
	s_waitcnt vmcnt(21)
	v_fma_f64 v[37:38], v[37:38], v[35:36], v[26:27]
	v_fma_f64 v[39:40], v[39:40], v[35:36], v[28:29]
	s_waitcnt vmcnt(20)
	v_fma_f64 v[41:42], v[41:42], v[35:36], v[22:23]
	v_fma_f64 v[43:44], v[43:44], v[35:36], v[24:25]
	s_clause 0x1
	global_load_b128 v[22:25], v[30:31], off offset:80
	global_load_b128 v[26:29], v[30:31], off offset:64
	;; [unrolled: 1-line block ×3, first 2 shown]
	s_waitcnt vmcnt(20)
	v_fma_f64 v[119:120], v[45:46], v[53:54], v[37:38]
	v_fma_f64 v[121:122], v[47:48], v[53:54], v[39:40]
	;; [unrolled: 1-line block ×4, first 2 shown]
	s_clause 0x1
	global_load_b128 v[37:40], v[30:31], off offset:96
	global_load_b128 v[41:44], v[30:31], off offset:112
	v_add_co_u32 v30, vcc_lo, 0x6000, v6
	v_add_co_ci_u32_e32 v31, vcc_lo, 0, v7, vcc_lo
	v_sub_co_u32 v53, vcc_lo, v117, s12
	v_subrev_co_ci_u32_e32 v54, vcc_lo, s15, v118, vcc_lo
	global_load_b128 v[45:48], v[30:31], off
	v_add_co_u32 v6, s2, 0x8000, v6
	s_delay_alu instid0(VALU_DEP_1)
	v_add_co_ci_u32_e64 v7, s2, 0, v7, s2
	s_waitcnt vmcnt(22)
	v_fma_f64 v[57:58], v[57:58], v[55:56], v[119:120]
	v_fma_f64 v[59:60], v[59:60], v[55:56], v[121:122]
	s_waitcnt vmcnt(21)
	v_fma_f64 v[61:62], v[61:62], v[55:56], v[49:50]
	v_fma_f64 v[63:64], v[63:64], v[55:56], v[51:52]
	v_lshlrev_b64 v[49:50], 5, v[53:54]
	s_delay_alu instid0(VALU_DEP_1) | instskip(NEXT) | instid1(VALU_DEP_2)
	v_add_co_u32 v117, vcc_lo, s4, v49
	v_add_co_ci_u32_e32 v118, vcc_lo, s5, v50, vcc_lo
	global_load_b128 v[49:52], v[30:31], off offset:16
	global_load_b128 v[53:56], v[117:118], off
	v_add_co_u32 v0, vcc_lo, 0x100, v0
	v_add_co_ci_u32_e32 v1, vcc_lo, 0, v1, vcc_lo
	v_add_co_u32 v20, vcc_lo, 0x800, v20
	v_add_co_ci_u32_e32 v21, vcc_lo, 0, v21, vcc_lo
	s_delay_alu instid0(VALU_DEP_3)
	v_cmp_ge_i64_e32 vcc_lo, v[0:1], v[4:5]
	s_or_b32 s7, vcc_lo, s7
	s_waitcnt vmcnt(20)
	v_fma_f64 v[65:66], v[65:66], v[73:74], v[57:58]
	v_fma_f64 v[67:68], v[67:68], v[73:74], v[59:60]
	;; [unrolled: 1-line block ×4, first 2 shown]
	s_clause 0x1
	global_load_b128 v[57:60], v[30:31], off offset:32
	global_load_b128 v[61:64], v[30:31], off offset:48
	s_waitcnt vmcnt(21)
	v_fma_f64 v[77:78], v[77:78], v[75:76], v[65:66]
	v_fma_f64 v[79:80], v[79:80], v[75:76], v[67:68]
	s_waitcnt vmcnt(20)
	v_fma_f64 v[81:82], v[81:82], v[75:76], v[69:70]
	v_fma_f64 v[83:84], v[83:84], v[75:76], v[71:72]
	s_clause 0x1
	global_load_b128 v[65:68], v[30:31], off offset:64
	global_load_b128 v[69:72], v[30:31], off offset:80
	;; [unrolled: 1-line block ×3, first 2 shown]
	s_waitcnt vmcnt(20)
	v_fma_f64 v[85:86], v[85:86], v[93:94], v[77:78]
	v_fma_f64 v[87:88], v[87:88], v[93:94], v[79:80]
	;; [unrolled: 1-line block ×4, first 2 shown]
	s_clause 0x1
	global_load_b128 v[77:80], v[30:31], off offset:96
	global_load_b128 v[81:84], v[30:31], off offset:112
	s_waitcnt vmcnt(21)
	v_fma_f64 v[30:31], v[97:98], v[95:96], v[85:86]
	v_fma_f64 v[85:86], v[99:100], v[95:96], v[87:88]
	s_waitcnt vmcnt(20)
	v_fma_f64 v[87:88], v[101:102], v[95:96], v[89:90]
	v_fma_f64 v[89:90], v[103:104], v[95:96], v[91:92]
	s_waitcnt vmcnt(17)
	s_delay_alu instid0(VALU_DEP_4) | instskip(NEXT) | instid1(VALU_DEP_4)
	v_fma_f64 v[30:31], v[105:106], v[113:114], v[30:31]
	v_fma_f64 v[85:86], v[107:108], v[113:114], v[85:86]
	s_delay_alu instid0(VALU_DEP_4) | instskip(NEXT) | instid1(VALU_DEP_4)
	v_fma_f64 v[87:88], v[109:110], v[113:114], v[87:88]
	v_fma_f64 v[89:90], v[111:112], v[113:114], v[89:90]
	s_waitcnt vmcnt(16)
	s_delay_alu instid0(VALU_DEP_4) | instskip(NEXT) | instid1(VALU_DEP_4)
	v_fma_f64 v[12:13], v[12:13], v[115:116], v[30:31]
	v_fma_f64 v[14:15], v[14:15], v[115:116], v[85:86]
	s_waitcnt vmcnt(15)
	s_delay_alu instid0(VALU_DEP_4) | instskip(NEXT) | instid1(VALU_DEP_4)
	v_fma_f64 v[16:17], v[16:17], v[115:116], v[87:88]
	v_fma_f64 v[18:19], v[18:19], v[115:116], v[89:90]
	s_waitcnt vmcnt(12)
	s_delay_alu instid0(VALU_DEP_4) | instskip(NEXT) | instid1(VALU_DEP_4)
	v_fma_f64 v[12:13], v[26:27], v[33:34], v[12:13]
	v_fma_f64 v[14:15], v[28:29], v[33:34], v[14:15]
	s_delay_alu instid0(VALU_DEP_4) | instskip(NEXT) | instid1(VALU_DEP_4)
	v_fma_f64 v[16:17], v[22:23], v[33:34], v[16:17]
	v_fma_f64 v[18:19], v[24:25], v[33:34], v[18:19]
	s_waitcnt vmcnt(11)
	s_delay_alu instid0(VALU_DEP_4) | instskip(NEXT) | instid1(VALU_DEP_4)
	v_fma_f64 v[12:13], v[37:38], v[35:36], v[12:13]
	v_fma_f64 v[14:15], v[39:40], v[35:36], v[14:15]
	s_waitcnt vmcnt(10)
	s_delay_alu instid0(VALU_DEP_4) | instskip(NEXT) | instid1(VALU_DEP_4)
	;; [unrolled: 15-line block ×4, first 2 shown]
	v_fma_f64 v[14:15], v[81:82], v[75:76], v[22:23]
	v_fma_f64 v[12:13], v[83:84], v[75:76], v[24:25]
	s_and_not1_b32 exec_lo, exec_lo, s7
	s_cbranch_execnz .LBB49_35
; %bb.36:
	s_or_b32 exec_lo, exec_lo, s7
.LBB49_37:
	s_delay_alu instid0(SALU_CYCLE_1)
	s_or_b32 exec_lo, exec_lo, s6
.LBB49_38:
	s_delay_alu instid0(SALU_CYCLE_1)
	s_or_b32 exec_lo, exec_lo, s3
.LBB49_39:
	v_mbcnt_lo_u32_b32 v24, -1, 0
	s_delay_alu instid0(VALU_DEP_1) | instskip(NEXT) | instid1(VALU_DEP_1)
	v_or_b32_e32 v0, 32, v24
	v_cmp_gt_i32_e32 vcc_lo, 32, v0
	v_cndmask_b32_e32 v0, v24, v0, vcc_lo
	s_delay_alu instid0(VALU_DEP_1)
	v_lshlrev_b32_e32 v21, 2, v0
	ds_bpermute_b32 v6, v21, v14
	ds_bpermute_b32 v7, v21, v15
	s_waitcnt lgkmcnt(0)
	v_add_f64 v[6:7], v[14:15], v[6:7]
	v_xor_b32_e32 v14, 16, v24
	s_delay_alu instid0(VALU_DEP_1)
	v_cmp_gt_i32_e32 vcc_lo, 32, v14
	v_cndmask_b32_e32 v14, v24, v14, vcc_lo
	ds_bpermute_b32 v0, v21, v16
	ds_bpermute_b32 v1, v21, v17
	;; [unrolled: 1-line block ×6, first 2 shown]
	s_waitcnt lgkmcnt(4)
	v_add_f64 v[0:1], v[16:17], v[0:1]
	s_waitcnt lgkmcnt(2)
	v_add_f64 v[4:5], v[18:19], v[4:5]
	;; [unrolled: 2-line block ×3, first 2 shown]
	v_lshlrev_b32_e32 v21, 2, v14
	ds_bpermute_b32 v18, v21, v6
	ds_bpermute_b32 v19, v21, v7
	s_waitcnt lgkmcnt(0)
	v_add_f64 v[6:7], v[6:7], v[18:19]
	ds_bpermute_b32 v14, v21, v0
	ds_bpermute_b32 v15, v21, v1
	;; [unrolled: 1-line block ×6, first 2 shown]
	s_waitcnt lgkmcnt(4)
	v_add_f64 v[0:1], v[0:1], v[14:15]
	v_xor_b32_e32 v14, 8, v24
	s_waitcnt lgkmcnt(2)
	v_add_f64 v[4:5], v[4:5], v[16:17]
	s_waitcnt lgkmcnt(0)
	v_add_f64 v[12:13], v[12:13], v[20:21]
	v_cmp_gt_i32_e32 vcc_lo, 32, v14
	v_cndmask_b32_e32 v14, v24, v14, vcc_lo
	s_delay_alu instid0(VALU_DEP_1)
	v_lshlrev_b32_e32 v21, 2, v14
	ds_bpermute_b32 v18, v21, v6
	ds_bpermute_b32 v19, v21, v7
	;; [unrolled: 1-line block ×8, first 2 shown]
	s_waitcnt lgkmcnt(6)
	v_add_f64 v[6:7], v[6:7], v[18:19]
	s_waitcnt lgkmcnt(4)
	v_add_f64 v[0:1], v[0:1], v[14:15]
	v_xor_b32_e32 v14, 4, v24
	s_waitcnt lgkmcnt(2)
	v_add_f64 v[4:5], v[4:5], v[16:17]
	s_waitcnt lgkmcnt(0)
	v_add_f64 v[12:13], v[12:13], v[20:21]
	v_cmp_gt_i32_e32 vcc_lo, 32, v14
	v_cndmask_b32_e32 v14, v24, v14, vcc_lo
	s_delay_alu instid0(VALU_DEP_1)
	v_lshlrev_b32_e32 v21, 2, v14
	ds_bpermute_b32 v18, v21, v6
	ds_bpermute_b32 v19, v21, v7
	;; [unrolled: 1-line block ×8, first 2 shown]
	s_waitcnt lgkmcnt(4)
	v_add_f64 v[0:1], v[0:1], v[14:15]
	v_add_f64 v[14:15], v[6:7], v[18:19]
	s_waitcnt lgkmcnt(2)
	v_add_f64 v[4:5], v[4:5], v[16:17]
	v_xor_b32_e32 v6, 2, v24
	s_waitcnt lgkmcnt(0)
	v_add_f64 v[16:17], v[12:13], v[20:21]
	s_delay_alu instid0(VALU_DEP_2) | instskip(SKIP_1) | instid1(VALU_DEP_1)
	v_cmp_gt_i32_e32 vcc_lo, 32, v6
	v_cndmask_b32_e32 v6, v24, v6, vcc_lo
	v_lshlrev_b32_e32 v12, 2, v6
	ds_bpermute_b32 v6, v12, v0
	ds_bpermute_b32 v7, v12, v1
	;; [unrolled: 1-line block ×8, first 2 shown]
	s_waitcnt lgkmcnt(6)
	v_add_f64 v[12:13], v[0:1], v[6:7]
	s_waitcnt lgkmcnt(4)
	v_add_f64 v[6:7], v[4:5], v[18:19]
	;; [unrolled: 2-line block ×3, first 2 shown]
	v_xor_b32_e32 v14, 1, v24
	s_waitcnt lgkmcnt(0)
	v_add_f64 v[4:5], v[16:17], v[22:23]
	s_delay_alu instid0(VALU_DEP_2) | instskip(SKIP_2) | instid1(VALU_DEP_2)
	v_cmp_gt_i32_e32 vcc_lo, 32, v14
	v_cndmask_b32_e32 v14, v24, v14, vcc_lo
	v_cmp_eq_u32_e32 vcc_lo, 63, v32
	v_lshlrev_b32_e32 v15, 2, v14
	ds_bpermute_b32 v20, v15, v12
	ds_bpermute_b32 v21, v15, v13
	;; [unrolled: 1-line block ×8, first 2 shown]
	s_and_b32 exec_lo, exec_lo, vcc_lo
	s_cbranch_execz .LBB49_10
; %bb.40:
	s_waitcnt lgkmcnt(6)
	v_add_f64 v[12:13], v[12:13], v[20:21]
	s_waitcnt lgkmcnt(4)
	v_add_f64 v[6:7], v[6:7], v[18:19]
	;; [unrolled: 2-line block ×4, first 2 shown]
	s_load_b64 s[0:1], s[0:1], 0x58
	v_lshlrev_b64 v[10:11], 5, v[10:11]
	s_mov_b32 s2, exec_lo
	v_mul_f64 v[4:5], v[2:3], v[12:13]
	v_mul_f64 v[6:7], v[2:3], v[6:7]
	;; [unrolled: 1-line block ×4, first 2 shown]
	v_cmpx_eq_f64_e32 0, v[8:9]
	s_xor_b32 s2, exec_lo, s2
	s_cbranch_execz .LBB49_42
; %bb.41:
	s_waitcnt lgkmcnt(0)
	v_add_co_u32 v8, vcc_lo, s0, v10
	v_add_co_ci_u32_e32 v9, vcc_lo, s1, v11, vcc_lo
                                        ; implicit-def: $vgpr10_vgpr11
	s_clause 0x1
	global_store_b128 v[8:9], v[4:7], off
	global_store_b128 v[8:9], v[0:3], off offset:16
                                        ; implicit-def: $vgpr8_vgpr9
                                        ; implicit-def: $vgpr4_vgpr5
                                        ; implicit-def: $vgpr0_vgpr1
.LBB49_42:
	s_and_not1_saveexec_b32 s2, s2
	s_cbranch_execz .LBB49_10
; %bb.43:
	s_waitcnt lgkmcnt(0)
	v_add_co_u32 v18, vcc_lo, s0, v10
	v_add_co_ci_u32_e32 v19, vcc_lo, s1, v11, vcc_lo
	s_clause 0x1
	global_load_b128 v[10:13], v[18:19], off
	global_load_b128 v[14:17], v[18:19], off offset:16
	s_waitcnt vmcnt(1)
	v_fma_f64 v[4:5], v[8:9], v[10:11], v[4:5]
	v_fma_f64 v[6:7], v[8:9], v[12:13], v[6:7]
	s_waitcnt vmcnt(0)
	v_fma_f64 v[0:1], v[8:9], v[14:15], v[0:1]
	v_fma_f64 v[2:3], v[8:9], v[16:17], v[2:3]
	s_clause 0x1
	global_store_b128 v[18:19], v[4:7], off
	global_store_b128 v[18:19], v[0:3], off offset:16
	s_nop 0
	s_sendmsg sendmsg(MSG_DEALLOC_VGPRS)
	s_endpgm
	.section	.rodata,"a",@progbits
	.p2align	6, 0x0
	.amdhsa_kernel _ZN9rocsparseL18bsrxmvn_4x4_kernelILj128ELj64EdlldddEEvT3_20rocsparse_direction_NS_24const_host_device_scalarIT1_EES1_PKS1_PKT2_SA_S7_PKT4_PKT5_S5_PT6_21rocsparse_index_base_b
		.amdhsa_group_segment_fixed_size 0
		.amdhsa_private_segment_fixed_size 0
		.amdhsa_kernarg_size 104
		.amdhsa_user_sgpr_count 15
		.amdhsa_user_sgpr_dispatch_ptr 0
		.amdhsa_user_sgpr_queue_ptr 0
		.amdhsa_user_sgpr_kernarg_segment_ptr 1
		.amdhsa_user_sgpr_dispatch_id 0
		.amdhsa_user_sgpr_private_segment_size 0
		.amdhsa_wavefront_size32 1
		.amdhsa_uses_dynamic_stack 0
		.amdhsa_enable_private_segment 0
		.amdhsa_system_sgpr_workgroup_id_x 1
		.amdhsa_system_sgpr_workgroup_id_y 0
		.amdhsa_system_sgpr_workgroup_id_z 0
		.amdhsa_system_sgpr_workgroup_info 0
		.amdhsa_system_vgpr_workitem_id 0
		.amdhsa_next_free_vgpr 147
		.amdhsa_next_free_sgpr 16
		.amdhsa_reserve_vcc 1
		.amdhsa_float_round_mode_32 0
		.amdhsa_float_round_mode_16_64 0
		.amdhsa_float_denorm_mode_32 3
		.amdhsa_float_denorm_mode_16_64 3
		.amdhsa_dx10_clamp 1
		.amdhsa_ieee_mode 1
		.amdhsa_fp16_overflow 0
		.amdhsa_workgroup_processor_mode 1
		.amdhsa_memory_ordered 1
		.amdhsa_forward_progress 0
		.amdhsa_shared_vgpr_count 0
		.amdhsa_exception_fp_ieee_invalid_op 0
		.amdhsa_exception_fp_denorm_src 0
		.amdhsa_exception_fp_ieee_div_zero 0
		.amdhsa_exception_fp_ieee_overflow 0
		.amdhsa_exception_fp_ieee_underflow 0
		.amdhsa_exception_fp_ieee_inexact 0
		.amdhsa_exception_int_div_zero 0
	.end_amdhsa_kernel
	.section	.text._ZN9rocsparseL18bsrxmvn_4x4_kernelILj128ELj64EdlldddEEvT3_20rocsparse_direction_NS_24const_host_device_scalarIT1_EES1_PKS1_PKT2_SA_S7_PKT4_PKT5_S5_PT6_21rocsparse_index_base_b,"axG",@progbits,_ZN9rocsparseL18bsrxmvn_4x4_kernelILj128ELj64EdlldddEEvT3_20rocsparse_direction_NS_24const_host_device_scalarIT1_EES1_PKS1_PKT2_SA_S7_PKT4_PKT5_S5_PT6_21rocsparse_index_base_b,comdat
.Lfunc_end49:
	.size	_ZN9rocsparseL18bsrxmvn_4x4_kernelILj128ELj64EdlldddEEvT3_20rocsparse_direction_NS_24const_host_device_scalarIT1_EES1_PKS1_PKT2_SA_S7_PKT4_PKT5_S5_PT6_21rocsparse_index_base_b, .Lfunc_end49-_ZN9rocsparseL18bsrxmvn_4x4_kernelILj128ELj64EdlldddEEvT3_20rocsparse_direction_NS_24const_host_device_scalarIT1_EES1_PKS1_PKT2_SA_S7_PKT4_PKT5_S5_PT6_21rocsparse_index_base_b
                                        ; -- End function
	.section	.AMDGPU.csdata,"",@progbits
; Kernel info:
; codeLenInByte = 5852
; NumSgprs: 18
; NumVgprs: 147
; ScratchSize: 0
; MemoryBound: 1
; FloatMode: 240
; IeeeMode: 1
; LDSByteSize: 0 bytes/workgroup (compile time only)
; SGPRBlocks: 2
; VGPRBlocks: 18
; NumSGPRsForWavesPerEU: 18
; NumVGPRsForWavesPerEU: 147
; Occupancy: 9
; WaveLimiterHint : 1
; COMPUTE_PGM_RSRC2:SCRATCH_EN: 0
; COMPUTE_PGM_RSRC2:USER_SGPR: 15
; COMPUTE_PGM_RSRC2:TRAP_HANDLER: 0
; COMPUTE_PGM_RSRC2:TGID_X_EN: 1
; COMPUTE_PGM_RSRC2:TGID_Y_EN: 0
; COMPUTE_PGM_RSRC2:TGID_Z_EN: 0
; COMPUTE_PGM_RSRC2:TIDIG_COMP_CNT: 0
	.section	.text._ZN9rocsparseL18bsrxmvn_4x4_kernelILj128ELj4E21rocsparse_complex_numIfEllS2_S2_S2_EEvT3_20rocsparse_direction_NS_24const_host_device_scalarIT1_EES3_PKS3_PKT2_SC_S9_PKT4_PKT5_S7_PT6_21rocsparse_index_base_b,"axG",@progbits,_ZN9rocsparseL18bsrxmvn_4x4_kernelILj128ELj4E21rocsparse_complex_numIfEllS2_S2_S2_EEvT3_20rocsparse_direction_NS_24const_host_device_scalarIT1_EES3_PKS3_PKT2_SC_S9_PKT4_PKT5_S7_PT6_21rocsparse_index_base_b,comdat
	.globl	_ZN9rocsparseL18bsrxmvn_4x4_kernelILj128ELj4E21rocsparse_complex_numIfEllS2_S2_S2_EEvT3_20rocsparse_direction_NS_24const_host_device_scalarIT1_EES3_PKS3_PKT2_SC_S9_PKT4_PKT5_S7_PT6_21rocsparse_index_base_b ; -- Begin function _ZN9rocsparseL18bsrxmvn_4x4_kernelILj128ELj4E21rocsparse_complex_numIfEllS2_S2_S2_EEvT3_20rocsparse_direction_NS_24const_host_device_scalarIT1_EES3_PKS3_PKT2_SC_S9_PKT4_PKT5_S7_PT6_21rocsparse_index_base_b
	.p2align	8
	.type	_ZN9rocsparseL18bsrxmvn_4x4_kernelILj128ELj4E21rocsparse_complex_numIfEllS2_S2_S2_EEvT3_20rocsparse_direction_NS_24const_host_device_scalarIT1_EES3_PKS3_PKT2_SC_S9_PKT4_PKT5_S7_PT6_21rocsparse_index_base_b,@function
_ZN9rocsparseL18bsrxmvn_4x4_kernelILj128ELj4E21rocsparse_complex_numIfEllS2_S2_S2_EEvT3_20rocsparse_direction_NS_24const_host_device_scalarIT1_EES3_PKS3_PKT2_SC_S9_PKT4_PKT5_S7_PT6_21rocsparse_index_base_b: ; @_ZN9rocsparseL18bsrxmvn_4x4_kernelILj128ELj4E21rocsparse_complex_numIfEllS2_S2_S2_EEvT3_20rocsparse_direction_NS_24const_host_device_scalarIT1_EES3_PKS3_PKT2_SC_S9_PKT4_PKT5_S7_PT6_21rocsparse_index_base_b
; %bb.0:
	s_clause 0x2
	s_load_b64 s[12:13], s[0:1], 0x60
	s_load_b128 s[4:7], s[0:1], 0x10
	s_load_b64 s[2:3], s[0:1], 0x50
	s_waitcnt lgkmcnt(0)
	s_bitcmp1_b32 s13, 0
	v_mov_b32_e32 v78, s4
	s_cselect_b32 s8, -1, 0
	s_delay_alu instid0(SALU_CYCLE_1)
	s_and_b32 vcc_lo, exec_lo, s8
	s_xor_b32 s8, s8, -1
	s_cbranch_vccz .LBB50_14
; %bb.1:
	v_cndmask_b32_e64 v1, 0, 1, s8
	v_mov_b32_e32 v79, s5
	s_and_not1_b32 vcc_lo, exec_lo, s8
	s_cbranch_vccz .LBB50_15
.LBB50_2:
	s_delay_alu instid0(VALU_DEP_2)
	v_cmp_ne_u32_e32 vcc_lo, 1, v1
	v_mov_b32_e32 v76, s2
	s_cbranch_vccz .LBB50_16
.LBB50_3:
	v_cmp_ne_u32_e32 vcc_lo, 1, v1
	v_mov_b32_e32 v77, s3
	s_cbranch_vccnz .LBB50_5
.LBB50_4:
	v_dual_mov_b32 v1, s2 :: v_dual_mov_b32 v2, s3
	flat_load_b32 v77, v[1:2] offset:4
.LBB50_5:
	s_waitcnt vmcnt(0) lgkmcnt(0)
	v_cmp_eq_f32_e32 vcc_lo, 0, v78
	v_cmp_eq_f32_e64 s2, 0, v79
	s_delay_alu instid0(VALU_DEP_1)
	s_and_b32 s4, vcc_lo, s2
	s_mov_b32 s2, -1
	s_and_saveexec_b32 s3, s4
; %bb.6:
	v_cmp_neq_f32_e32 vcc_lo, 1.0, v76
	v_cmp_neq_f32_e64 s2, 0, v77
	s_delay_alu instid0(VALU_DEP_1) | instskip(NEXT) | instid1(SALU_CYCLE_1)
	s_or_b32 s2, vcc_lo, s2
	s_or_not1_b32 s2, s2, exec_lo
; %bb.7:
	s_or_b32 exec_lo, exec_lo, s3
	s_and_saveexec_b32 s3, s2
	s_cbranch_execz .LBB50_13
; %bb.8:
	s_load_b64 s[4:5], s[0:1], 0x20
	v_lshrrev_b32_e32 v1, 2, v0
	v_mov_b32_e32 v2, 0
	s_mov_b32 s8, 0
	s_delay_alu instid0(VALU_DEP_2)
	v_lshl_or_b32 v1, s15, 5, v1
	s_waitcnt lgkmcnt(0)
	s_cmp_lg_u64 s[4:5], 0
	s_cbranch_scc0 .LBB50_17
; %bb.9:
	s_delay_alu instid0(VALU_DEP_1) | instskip(SKIP_2) | instid1(SALU_CYCLE_1)
	v_cmp_gt_i64_e32 vcc_lo, s[6:7], v[1:2]
	s_mov_b32 s6, 0
                                        ; implicit-def: $vgpr64_vgpr65
	s_and_saveexec_b32 s2, vcc_lo
	s_xor_b32 s7, exec_lo, s2
                                        ; implicit-def: $sgpr2_sgpr3
	s_cbranch_execz .LBB50_11
; %bb.10:
	v_lshlrev_b64 v[3:4], 3, v[1:2]
	s_mov_b32 s8, exec_lo
	s_mov_b32 s3, 0
	s_delay_alu instid0(VALU_DEP_1) | instskip(NEXT) | instid1(VALU_DEP_2)
	v_add_co_u32 v3, vcc_lo, s4, v3
	v_add_co_ci_u32_e32 v4, vcc_lo, s5, v4, vcc_lo
	global_load_b64 v[3:4], v[3:4], off
	s_waitcnt vmcnt(0)
	v_sub_co_u32 v64, vcc_lo, v3, s12
	v_subrev_co_ci_u32_e32 v65, vcc_lo, 0, v4, vcc_lo
.LBB50_11:
	s_or_b32 exec_lo, exec_lo, s7
	s_delay_alu instid0(SALU_CYCLE_1)
	s_and_b32 vcc_lo, exec_lo, s6
	s_cbranch_vccnz .LBB50_18
.LBB50_12:
	s_and_b32 exec_lo, exec_lo, s8
	s_cbranch_execnz .LBB50_21
.LBB50_13:
	s_nop 0
	s_sendmsg sendmsg(MSG_DEALLOC_VGPRS)
	s_endpgm
.LBB50_14:
	v_dual_mov_b32 v1, s4 :: v_dual_mov_b32 v2, s5
	flat_load_b32 v78, v[1:2]
	v_cndmask_b32_e64 v1, 0, 1, s8
	v_mov_b32_e32 v79, s5
	s_and_not1_b32 vcc_lo, exec_lo, s8
	s_cbranch_vccnz .LBB50_2
.LBB50_15:
	v_dual_mov_b32 v2, s4 :: v_dual_mov_b32 v3, s5
	flat_load_b32 v79, v[2:3] offset:4
	v_cmp_ne_u32_e32 vcc_lo, 1, v1
	v_mov_b32_e32 v76, s2
	s_cbranch_vccnz .LBB50_3
.LBB50_16:
	v_dual_mov_b32 v2, s2 :: v_dual_mov_b32 v3, s3
	flat_load_b32 v76, v[2:3]
	v_cmp_ne_u32_e32 vcc_lo, 1, v1
	v_mov_b32_e32 v77, s3
	s_cbranch_vccz .LBB50_4
	s_branch .LBB50_5
.LBB50_17:
                                        ; implicit-def: $vgpr64_vgpr65
                                        ; implicit-def: $sgpr2_sgpr3
	s_cbranch_execz .LBB50_12
.LBB50_18:
	s_load_b64 s[2:3], s[0:1], 0x0
	s_mov_b32 s4, exec_lo
                                        ; implicit-def: $vgpr64_vgpr65
	s_waitcnt lgkmcnt(0)
	v_cmpx_gt_i64_e64 s[2:3], v[1:2]
                                        ; implicit-def: $sgpr2_sgpr3
; %bb.19:
	v_dual_mov_b32 v65, v2 :: v_dual_mov_b32 v64, v1
	s_mov_b32 s3, 0
	s_or_b32 s8, s8, exec_lo
; %bb.20:
	s_or_b32 exec_lo, exec_lo, s4
	s_delay_alu instid0(SALU_CYCLE_1)
	s_and_b32 exec_lo, exec_lo, s8
	s_cbranch_execz .LBB50_13
.LBB50_21:
	s_load_b256 s[4:11], s[0:1], 0x28
	v_lshlrev_b64 v[1:2], 3, v[64:65]
	v_dual_mov_b32 v81, 0 :: v_dual_and_b32 v80, 3, v0
	s_waitcnt lgkmcnt(0)
	s_delay_alu instid0(VALU_DEP_2) | instskip(NEXT) | instid1(VALU_DEP_3)
	v_add_co_u32 v3, vcc_lo, s4, v1
	v_add_co_ci_u32_e32 v4, vcc_lo, s5, v2, vcc_lo
	v_add_co_u32 v1, vcc_lo, s6, v1
	v_add_co_ci_u32_e32 v2, vcc_lo, s7, v2, vcc_lo
	s_delay_alu instid0(VALU_DEP_4)
	v_add_co_u32 v5, vcc_lo, v3, 8
	global_load_b64 v[28:29], v[3:4], off
	v_add_co_ci_u32_e32 v6, vcc_lo, 0, v4, vcc_lo
	s_cmp_eq_u64 s[6:7], 0
	s_clause 0x1
	s_load_b32 s6, s[0:1], 0x8
	s_load_b64 s[4:5], s[0:1], 0x48
	s_cselect_b32 vcc_lo, -1, 0
	v_dual_cndmask_b32 v2, v2, v6 :: v_dual_cndmask_b32 v1, v1, v5
	global_load_b64 v[1:2], v[1:2], off
	s_waitcnt lgkmcnt(0)
	s_cmp_eq_u32 s6, 1
	s_waitcnt vmcnt(1)
	v_sub_co_u32 v0, vcc_lo, v28, s12
	v_subrev_co_ci_u32_e32 v3, vcc_lo, s3, v29, vcc_lo
	s_delay_alu instid0(VALU_DEP_2) | instskip(NEXT) | instid1(VALU_DEP_2)
	v_add_co_u32 v66, vcc_lo, v0, v80
	v_add_co_ci_u32_e32 v67, vcc_lo, 0, v3, vcc_lo
	s_waitcnt vmcnt(0)
	v_sub_co_u32 v68, vcc_lo, v1, s12
	s_delay_alu instid0(VALU_DEP_2) | instskip(SKIP_1) | instid1(VALU_DEP_2)
	v_lshlrev_b64 v[0:1], 7, v[66:67]
	v_subrev_co_ci_u32_e32 v69, vcc_lo, s3, v2, vcc_lo
	v_add_co_u32 v70, vcc_lo, s10, v0
	s_delay_alu instid0(VALU_DEP_2) | instskip(NEXT) | instid1(VALU_DEP_4)
	v_cmp_lt_i64_e64 s2, v[66:67], v[68:69]
	v_add_co_ci_u32_e32 v71, vcc_lo, s11, v1, vcc_lo
	s_cbranch_scc1 .LBB50_33
; %bb.22:
	v_dual_mov_b32 v87, 0 :: v_dual_mov_b32 v86, 0
	v_dual_mov_b32 v85, 0 :: v_dual_mov_b32 v84, 0
	;; [unrolled: 1-line block ×3, first 2 shown]
	v_mov_b32_e32 v82, 0
	s_mov_b32 s6, 0
	s_and_saveexec_b32 s7, s2
	s_cbranch_execz .LBB50_32
; %bb.23:
	v_or_b32_e32 v0, 4, v80
	v_not_b32_e32 v3, v28
	v_not_b32_e32 v2, v29
	v_mov_b32_e32 v30, v70
	v_mov_b32_e32 v32, v66
	v_sub_co_u32 v0, s10, v0, s12
	s_delay_alu instid0(VALU_DEP_1) | instskip(SKIP_1) | instid1(VALU_DEP_3)
	v_sub_co_ci_u32_e64 v1, null, 0, s3, s10
	v_sub_co_u32 v4, s10, s12, v80
	v_add_co_u32 v0, vcc_lo, v0, v28
	s_delay_alu instid0(VALU_DEP_3) | instskip(SKIP_2) | instid1(VALU_DEP_3)
	v_add_co_ci_u32_e32 v1, vcc_lo, v1, v29, vcc_lo
	v_sub_co_ci_u32_e64 v5, null, s3, 0, s10
	v_dual_mov_b32 v82, 0 :: v_dual_mov_b32 v83, 0
	v_cmp_gt_i64_e32 vcc_lo, v[0:1], v[68:69]
	v_dual_mov_b32 v88, 0 :: v_dual_mov_b32 v87, 0
	v_dual_mov_b32 v84, 0 :: v_dual_mov_b32 v81, 0
	;; [unrolled: 1-line block ×3, first 2 shown]
	v_dual_cndmask_b32 v1, v69, v1 :: v_dual_cndmask_b32 v0, v68, v0
	v_add_co_u32 v3, vcc_lo, v4, v3
	v_add_co_ci_u32_e32 v2, vcc_lo, v5, v2, vcc_lo
	s_mov_b32 s10, exec_lo
	s_delay_alu instid0(VALU_DEP_2) | instskip(NEXT) | instid1(VALU_DEP_2)
	v_add_co_u32 v0, vcc_lo, v3, v0
	v_add_co_ci_u32_e32 v1, vcc_lo, v2, v1, vcc_lo
	v_mov_b32_e32 v85, 0
	s_delay_alu instid0(VALU_DEP_3) | instskip(NEXT) | instid1(VALU_DEP_1)
	v_lshrrev_b32_e32 v2, 2, v0
	v_dual_mov_b32 v33, v67 :: v_dual_add_nc_u32 v2, 1, v2
	s_delay_alu instid0(VALU_DEP_1) | instskip(NEXT) | instid1(VALU_DEP_1)
	v_and_b32_e32 v2, 3, v2
	v_cmpx_ne_u32_e32 0, v2
	s_cbranch_execz .LBB50_27
; %bb.24:
	v_lshlrev_b64 v[4:5], 3, v[66:67]
	v_dual_mov_b32 v3, 0 :: v_dual_lshlrev_b32 v2, 3, v2
	v_dual_mov_b32 v32, v66 :: v_dual_mov_b32 v33, v67
	v_dual_mov_b32 v30, v70 :: v_dual_mov_b32 v31, v71
	s_delay_alu instid0(VALU_DEP_4)
	v_add_co_u32 v4, vcc_lo, s8, v4
	v_add_co_ci_u32_e32 v5, vcc_lo, s9, v5, vcc_lo
	v_mov_b32_e32 v81, v3
	v_mov_b32_e32 v87, v3
	;; [unrolled: 1-line block ×8, first 2 shown]
	s_mov_b32 s11, 0
.LBB50_25:                              ; =>This Inner Loop Header: Depth=1
	global_load_b64 v[26:27], v[4:5], off
	s_clause 0x7
	global_load_b128 v[6:9], v[30:31], off offset:48
	global_load_b128 v[10:13], v[30:31], off offset:32
	;; [unrolled: 1-line block ×3, first 2 shown]
	global_load_b128 v[18:21], v[30:31], off
	global_load_b128 v[22:25], v[30:31], off offset:112
	global_load_b128 v[34:37], v[30:31], off offset:96
	;; [unrolled: 1-line block ×4, first 2 shown]
	s_waitcnt vmcnt(8)
	v_sub_co_u32 v26, vcc_lo, v26, s12
	v_subrev_co_ci_u32_e32 v27, vcc_lo, s3, v27, vcc_lo
	s_delay_alu instid0(VALU_DEP_1) | instskip(NEXT) | instid1(VALU_DEP_1)
	v_lshlrev_b64 v[26:27], 5, v[26:27]
	v_add_co_u32 v26, vcc_lo, s4, v26
	s_delay_alu instid0(VALU_DEP_2)
	v_add_co_ci_u32_e32 v27, vcc_lo, s5, v27, vcc_lo
	v_add_co_u32 v30, vcc_lo, 0x200, v30
	v_add_co_ci_u32_e32 v31, vcc_lo, 0, v31, vcc_lo
	s_clause 0x1
	global_load_b128 v[46:49], v[26:27], off
	global_load_b128 v[50:53], v[26:27], off offset:16
	v_add_co_u32 v32, vcc_lo, v32, 4
	v_add_co_ci_u32_e32 v33, vcc_lo, 0, v33, vcc_lo
	v_add_co_u32 v2, vcc_lo, v2, -8
	v_add_co_ci_u32_e32 v3, vcc_lo, -1, v3, vcc_lo
	v_add_co_u32 v4, vcc_lo, v4, 32
	v_add_co_ci_u32_e32 v5, vcc_lo, 0, v5, vcc_lo
	s_delay_alu instid0(VALU_DEP_3)
	v_cmp_eq_u64_e32 vcc_lo, 0, v[2:3]
	s_or_b32 s11, vcc_lo, s11
	s_waitcnt vmcnt(1)
	v_fmac_f32_e32 v82, v11, v46
	v_fmac_f32_e32 v81, v19, v46
	;; [unrolled: 1-line block ×4, first 2 shown]
	s_delay_alu instid0(VALU_DEP_4) | instskip(SKIP_3) | instid1(VALU_DEP_4)
	v_fmac_f32_e32 v82, v10, v47
	v_fmac_f32_e32 v87, v18, v46
	;; [unrolled: 1-line block ×4, first 2 shown]
	v_dual_fmac_f32 v83, v34, v47 :: v_dual_fmac_f32 v82, v13, v48
	s_delay_alu instid0(VALU_DEP_4) | instskip(NEXT) | instid1(VALU_DEP_4)
	v_fma_f32 v19, -v19, v47, v87
	v_dual_fmac_f32 v81, v21, v48 :: v_dual_fmac_f32 v88, v10, v46
	s_delay_alu instid0(VALU_DEP_4) | instskip(SKIP_1) | instid1(VALU_DEP_4)
	v_fma_f32 v10, -v43, v47, v86
	v_fmac_f32_e32 v85, v34, v46
	v_dual_fmac_f32 v84, v42, v47 :: v_dual_fmac_f32 v19, v20, v48
	s_delay_alu instid0(VALU_DEP_4) | instskip(NEXT) | instid1(VALU_DEP_4)
	v_fma_f32 v11, -v11, v47, v88
	v_fmac_f32_e32 v10, v44, v48
	s_delay_alu instid0(VALU_DEP_4) | instskip(NEXT) | instid1(VALU_DEP_4)
	v_fma_f32 v18, -v35, v47, v85
	v_dual_fmac_f32 v84, v45, v48 :: v_dual_fmac_f32 v81, v20, v49
	v_dual_fmac_f32 v83, v37, v48 :: v_dual_fmac_f32 v82, v12, v49
	v_fmac_f32_e32 v11, v12, v48
	v_fma_f32 v19, -v21, v49, v19
	v_fmac_f32_e32 v18, v36, v48
	v_fma_f32 v10, -v45, v49, v10
	s_waitcnt vmcnt(0)
	v_dual_fmac_f32 v84, v44, v49 :: v_dual_fmac_f32 v81, v15, v50
	v_fmac_f32_e32 v83, v36, v49
	v_fmac_f32_e32 v19, v14, v50
	;; [unrolled: 1-line block ×3, first 2 shown]
	v_fma_f32 v12, -v37, v49, v18
	v_fmac_f32_e32 v82, v7, v50
	v_fma_f32 v11, -v13, v49, v11
	v_dual_fmac_f32 v84, v39, v50 :: v_dual_fmac_f32 v81, v14, v51
	s_delay_alu instid0(VALU_DEP_3) | instskip(NEXT) | instid1(VALU_DEP_3)
	v_dual_fmac_f32 v83, v23, v50 :: v_dual_fmac_f32 v82, v6, v51
	v_fmac_f32_e32 v11, v6, v50
	v_fma_f32 v13, -v15, v51, v19
	v_fmac_f32_e32 v12, v22, v50
	v_fma_f32 v6, -v39, v51, v10
	v_dual_fmac_f32 v84, v38, v51 :: v_dual_fmac_f32 v81, v17, v52
	v_fmac_f32_e32 v83, v22, v51
	v_fmac_f32_e32 v13, v16, v52
	s_delay_alu instid0(VALU_DEP_4) | instskip(SKIP_4) | instid1(VALU_DEP_4)
	v_fmac_f32_e32 v6, v40, v52
	v_fma_f32 v10, -v23, v51, v12
	v_fmac_f32_e32 v82, v9, v52
	v_fma_f32 v7, -v7, v51, v11
	v_dual_fmac_f32 v84, v41, v52 :: v_dual_fmac_f32 v81, v16, v53
	v_fmac_f32_e32 v10, v24, v52
	s_delay_alu instid0(VALU_DEP_4) | instskip(NEXT) | instid1(VALU_DEP_4)
	v_dual_fmac_f32 v83, v25, v52 :: v_dual_fmac_f32 v82, v8, v53
	v_fmac_f32_e32 v7, v8, v52
	v_fma_f32 v87, -v17, v53, v13
	v_fma_f32 v86, -v41, v53, v6
	v_fmac_f32_e32 v84, v40, v53
	v_fma_f32 v85, -v25, v53, v10
	v_fma_f32 v88, -v9, v53, v7
	v_fmac_f32_e32 v83, v24, v53
	s_and_not1_b32 exec_lo, exec_lo, s11
	s_cbranch_execnz .LBB50_25
; %bb.26:
	s_or_b32 exec_lo, exec_lo, s11
.LBB50_27:
	s_delay_alu instid0(SALU_CYCLE_1) | instskip(NEXT) | instid1(SALU_CYCLE_1)
	s_or_b32 exec_lo, exec_lo, s10
	s_mov_b32 s10, exec_lo
	v_cmpx_lt_u64_e32 11, v[0:1]
	s_cbranch_execz .LBB50_31
; %bb.28:
	v_lshlrev_b64 v[0:1], 3, v[32:33]
	s_mov_b32 s11, 0
	s_delay_alu instid0(VALU_DEP_1) | instskip(NEXT) | instid1(VALU_DEP_2)
	v_add_co_u32 v0, vcc_lo, v0, s8
	v_add_co_ci_u32_e32 v1, vcc_lo, s9, v1, vcc_lo
	s_delay_alu instid0(VALU_DEP_2) | instskip(NEXT) | instid1(VALU_DEP_2)
	v_add_co_u32 v34, vcc_lo, v0, 64
	v_add_co_ci_u32_e32 v35, vcc_lo, 0, v1, vcc_lo
.LBB50_29:                              ; =>This Inner Loop Header: Depth=1
	s_clause 0x3
	global_load_b64 v[36:37], v[34:35], off offset:-64
	global_load_b64 v[62:63], v[34:35], off offset:-32
	global_load_b64 v[157:158], v[34:35], off
	global_load_b64 v[159:160], v[34:35], off offset:32
	s_clause 0x1e
	global_load_b128 v[38:41], v[30:31], off offset:48
	global_load_b128 v[42:45], v[30:31], off offset:32
	;; [unrolled: 1-line block ×3, first 2 shown]
	global_load_b128 v[50:53], v[30:31], off
	global_load_b128 v[54:57], v[30:31], off offset:112
	global_load_b128 v[58:61], v[30:31], off offset:96
	;; [unrolled: 1-line block ×27, first 2 shown]
	s_waitcnt vmcnt(34)
	v_sub_co_u32 v36, vcc_lo, v36, s12
	v_subrev_co_ci_u32_e32 v37, vcc_lo, s3, v37, vcc_lo
	s_waitcnt vmcnt(33)
	v_sub_co_u32 v62, vcc_lo, v62, s12
	v_subrev_co_ci_u32_e32 v63, vcc_lo, s3, v63, vcc_lo
	s_waitcnt vmcnt(32)
	v_sub_co_u32 v157, vcc_lo, v157, s12
	v_lshlrev_b64 v[36:37], 5, v[36:37]
	v_subrev_co_ci_u32_e32 v158, vcc_lo, s3, v158, vcc_lo
	s_waitcnt vmcnt(31)
	v_sub_co_u32 v159, vcc_lo, v159, s12
	v_lshlrev_b64 v[62:63], 5, v[62:63]
	v_subrev_co_ci_u32_e32 v160, vcc_lo, s3, v160, vcc_lo
	v_lshlrev_b64 v[157:158], 5, v[157:158]
	v_add_co_u32 v36, vcc_lo, s4, v36
	v_add_co_ci_u32_e32 v37, vcc_lo, s5, v37, vcc_lo
	s_delay_alu instid0(VALU_DEP_4)
	v_lshlrev_b64 v[159:160], 5, v[159:160]
	v_add_co_u32 v62, vcc_lo, s4, v62
	v_add_co_ci_u32_e32 v63, vcc_lo, s5, v63, vcc_lo
	v_add_co_u32 v177, vcc_lo, s4, v157
	v_add_co_ci_u32_e32 v178, vcc_lo, s5, v158, vcc_lo
	;; [unrolled: 2-line block ×3, first 2 shown]
	s_clause 0x4
	global_load_b128 v[157:160], v[36:37], off
	global_load_b128 v[161:164], v[36:37], off offset:16
	global_load_b128 v[165:168], v[62:63], off
	global_load_b128 v[169:172], v[62:63], off offset:16
	global_load_b128 v[173:176], v[177:178], off
	v_add_co_u32 v32, vcc_lo, v32, 16
	v_add_co_ci_u32_e32 v33, vcc_lo, 0, v33, vcc_lo
	s_waitcnt vmcnt(4)
	v_fmac_f32_e32 v87, v50, v157
	v_fmac_f32_e32 v82, v43, v157
	;; [unrolled: 1-line block ×5, first 2 shown]
	v_fma_f32 v36, -v51, v158, v87
	v_fmac_f32_e32 v82, v42, v158
	v_fmac_f32_e32 v81, v50, v158
	v_fma_f32 v37, -v43, v158, v88
	v_fma_f32 v62, -v90, v158, v86
	v_fmac_f32_e32 v36, v52, v159
	v_fmac_f32_e32 v82, v45, v159
	;; [unrolled: 1-line block ×5, first 2 shown]
	v_fma_f32 v36, -v53, v160, v36
	v_fmac_f32_e32 v82, v44, v160
	v_fmac_f32_e32 v81, v52, v160
	global_load_b128 v[50:53], v[177:178], off offset:16
	v_fma_f32 v37, -v45, v160, v37
	global_load_b128 v[42:45], v[179:180], off
	s_waitcnt vmcnt(5)
	v_fmac_f32_e32 v82, v39, v161
	v_fmac_f32_e32 v83, v59, v157
	v_fma_f32 v59, -v59, v158, v85
	v_fmac_f32_e32 v84, v90, v157
	v_fmac_f32_e32 v36, v46, v161
	;; [unrolled: 1-line block ×3, first 2 shown]
	v_dual_fmac_f32 v62, v91, v159 :: v_dual_fmac_f32 v83, v58, v158
	v_fmac_f32_e32 v59, v60, v159
	v_fmac_f32_e32 v81, v47, v161
	;; [unrolled: 1-line block ×3, first 2 shown]
	s_delay_alu instid0(VALU_DEP_4)
	v_fma_f32 v62, -v92, v160, v62
	v_fmac_f32_e32 v83, v61, v159
	v_fmac_f32_e32 v84, v89, v158
	global_load_b128 v[87:90], v[30:31], off offset:1616
	global_load_b128 v[177:180], v[179:180], off offset:16
	v_fma_f32 v37, -v39, v162, v37
	v_fma_f32 v58, -v61, v160, v59
	v_fmac_f32_e32 v83, v60, v160
	v_dual_fmac_f32 v84, v92, v159 :: v_dual_fmac_f32 v81, v46, v162
	s_delay_alu instid0(VALU_DEP_3) | instskip(SKIP_1) | instid1(VALU_DEP_3)
	v_dual_fmac_f32 v37, v40, v163 :: v_dual_fmac_f32 v58, v54, v161
	v_fma_f32 v36, -v47, v162, v36
	v_dual_fmac_f32 v84, v91, v160 :: v_dual_fmac_f32 v81, v49, v163
	v_fmac_f32_e32 v82, v41, v163
	s_delay_alu instid0(VALU_DEP_4) | instskip(SKIP_1) | instid1(VALU_DEP_4)
	v_fma_f32 v39, -v55, v162, v58
	v_fma_f32 v37, -v41, v164, v37
	v_fmac_f32_e32 v84, v73, v161
	v_fmac_f32_e32 v83, v55, v161
	;; [unrolled: 1-line block ×6, first 2 shown]
	v_dual_fmac_f32 v62, v72, v161 :: v_dual_fmac_f32 v83, v54, v162
	s_waitcnt vmcnt(6)
	v_fmac_f32_e32 v81, v106, v165
	v_fma_f32 v36, -v49, v164, v36
	v_dual_fmac_f32 v84, v75, v163 :: v_dual_fmac_f32 v37, v97, v165
	v_fma_f32 v38, -v73, v162, v62
	v_fmac_f32_e32 v83, v57, v163
	s_delay_alu instid0(VALU_DEP_3) | instskip(SKIP_1) | instid1(VALU_DEP_3)
	v_dual_fmac_f32 v39, v56, v163 :: v_dual_fmac_f32 v84, v74, v164
	v_dual_fmac_f32 v82, v98, v165 :: v_dual_fmac_f32 v81, v105, v166
	;; [unrolled: 1-line block ×3, first 2 shown]
	s_delay_alu instid0(VALU_DEP_3) | instskip(NEXT) | instid1(VALU_DEP_3)
	v_fma_f32 v39, -v57, v164, v39
	v_dual_fmac_f32 v36, v105, v165 :: v_dual_fmac_f32 v81, v108, v167
	s_delay_alu instid0(VALU_DEP_3) | instskip(NEXT) | instid1(VALU_DEP_4)
	v_fma_f32 v38, -v75, v164, v38
	v_dual_fmac_f32 v83, v114, v165 :: v_dual_fmac_f32 v82, v97, v166
	v_fmac_f32_e32 v84, v122, v165
	s_delay_alu instid0(VALU_DEP_4)
	v_fma_f32 v36, -v106, v166, v36
	v_fmac_f32_e32 v39, v113, v165
	v_fma_f32 v37, -v98, v166, v37
	v_fmac_f32_e32 v38, v121, v165
	v_dual_fmac_f32 v83, v113, v166 :: v_dual_fmac_f32 v82, v100, v167
	v_fmac_f32_e32 v81, v107, v168
	v_fmac_f32_e32 v36, v107, v167
	v_fma_f32 v39, -v114, v166, v39
	v_dual_fmac_f32 v84, v121, v166 :: v_dual_fmac_f32 v37, v99, v167
	v_fma_f32 v38, -v122, v166, v38
	v_dual_fmac_f32 v83, v116, v167 :: v_dual_fmac_f32 v82, v99, v168
	s_delay_alu instid0(VALU_DEP_4) | instskip(NEXT) | instid1(VALU_DEP_4)
	v_fmac_f32_e32 v39, v115, v167
	v_fmac_f32_e32 v84, v124, v167
	s_waitcnt vmcnt(5)
	v_dual_fmac_f32 v38, v123, v167 :: v_dual_fmac_f32 v81, v102, v169
	v_fma_f32 v36, -v108, v168, v36
	v_fma_f32 v37, -v100, v168, v37
	v_dual_fmac_f32 v83, v115, v168 :: v_dual_fmac_f32 v82, v94, v169
	s_delay_alu instid0(VALU_DEP_4) | instskip(SKIP_1) | instid1(VALU_DEP_4)
	v_fmac_f32_e32 v81, v101, v170
	v_fma_f32 v38, -v124, v168, v38
	v_dual_fmac_f32 v84, v123, v168 :: v_dual_fmac_f32 v37, v93, v169
	v_fma_f32 v39, -v116, v168, v39
	s_delay_alu instid0(VALU_DEP_4) | instskip(SKIP_1) | instid1(VALU_DEP_4)
	v_dual_fmac_f32 v36, v101, v169 :: v_dual_fmac_f32 v81, v104, v171
	v_dual_fmac_f32 v83, v110, v169 :: v_dual_fmac_f32 v82, v93, v170
	v_fmac_f32_e32 v84, v118, v169
	s_delay_alu instid0(VALU_DEP_3)
	v_fma_f32 v36, -v102, v170, v36
	v_fmac_f32_e32 v39, v109, v169
	v_fma_f32 v37, -v94, v170, v37
	v_fmac_f32_e32 v38, v117, v169
	v_dual_fmac_f32 v83, v109, v170 :: v_dual_fmac_f32 v82, v96, v171
	v_fmac_f32_e32 v81, v103, v172
	v_fmac_f32_e32 v36, v103, v171
	v_fma_f32 v39, -v110, v170, v39
	v_dual_fmac_f32 v84, v117, v170 :: v_dual_fmac_f32 v37, v95, v171
	v_fma_f32 v38, -v118, v170, v38
	v_dual_fmac_f32 v83, v112, v171 :: v_dual_fmac_f32 v82, v95, v172
	s_delay_alu instid0(VALU_DEP_4) | instskip(NEXT) | instid1(VALU_DEP_4)
	v_fmac_f32_e32 v39, v111, v171
	v_fmac_f32_e32 v84, v120, v171
	s_waitcnt vmcnt(4)
	v_dual_fmac_f32 v38, v119, v171 :: v_dual_fmac_f32 v81, v130, v173
	v_fma_f32 v36, -v104, v172, v36
	v_fma_f32 v37, -v96, v172, v37
	v_dual_fmac_f32 v83, v111, v172 :: v_dual_fmac_f32 v82, v126, v173
	s_delay_alu instid0(VALU_DEP_4) | instskip(SKIP_1) | instid1(VALU_DEP_4)
	v_fmac_f32_e32 v81, v129, v174
	v_fma_f32 v38, -v120, v172, v38
	v_dual_fmac_f32 v84, v119, v172 :: v_dual_fmac_f32 v37, v125, v173
	v_fma_f32 v39, -v112, v172, v39
	s_delay_alu instid0(VALU_DEP_4) | instskip(SKIP_1) | instid1(VALU_DEP_4)
	v_dual_fmac_f32 v36, v129, v173 :: v_dual_fmac_f32 v81, v132, v175
	v_dual_fmac_f32 v83, v134, v173 :: v_dual_fmac_f32 v82, v125, v174
	v_fmac_f32_e32 v84, v138, v173
	s_delay_alu instid0(VALU_DEP_3)
	v_fma_f32 v36, -v130, v174, v36
	v_fmac_f32_e32 v39, v133, v173
	v_fma_f32 v37, -v126, v174, v37
	v_fmac_f32_e32 v38, v137, v173
	v_dual_fmac_f32 v83, v133, v174 :: v_dual_fmac_f32 v82, v128, v175
	v_fmac_f32_e32 v81, v131, v176
	v_fmac_f32_e32 v36, v131, v175
	v_fma_f32 v39, -v134, v174, v39
	v_dual_fmac_f32 v84, v137, v174 :: v_dual_fmac_f32 v37, v127, v175
	v_fma_f32 v38, -v138, v174, v38
	v_dual_fmac_f32 v83, v136, v175 :: v_dual_fmac_f32 v82, v127, v176
	s_delay_alu instid0(VALU_DEP_4) | instskip(NEXT) | instid1(VALU_DEP_4)
	v_fmac_f32_e32 v39, v135, v175
	v_fmac_f32_e32 v84, v140, v175
	s_delay_alu instid0(VALU_DEP_4)
	v_fmac_f32_e32 v38, v139, v175
	v_fma_f32 v36, -v132, v176, v36
	v_fmac_f32_e32 v83, v135, v176
	v_fma_f32 v37, -v128, v176, v37
	;; [unrolled: 2-line block ×3, first 2 shown]
	v_add_co_u32 v30, vcc_lo, 0x800, v30
	v_add_co_ci_u32_e32 v31, vcc_lo, 0, v31, vcc_lo
	v_add_co_u32 v34, vcc_lo, 0x80, v34
	v_add_co_ci_u32_e32 v35, vcc_lo, 0, v35, vcc_lo
	v_cmp_ge_i64_e32 vcc_lo, v[32:33], v[68:69]
	s_or_b32 s11, vcc_lo, s11
	s_waitcnt vmcnt(3)
	v_fmac_f32_e32 v37, v8, v50
	v_fmac_f32_e32 v81, v17, v50
	;; [unrolled: 1-line block ×4, first 2 shown]
	v_fma_f32 v38, -v140, v176, v38
	v_fma_f32 v9, -v9, v51, v37
	v_fmac_f32_e32 v81, v16, v51
	v_dual_fmac_f32 v83, v13, v50 :: v_dual_fmac_f32 v82, v8, v51
	v_fmac_f32_e32 v84, v21, v50
	v_fmac_f32_e32 v39, v12, v50
	v_fma_f32 v17, -v17, v51, v36
	s_delay_alu instid0(VALU_DEP_4) | instskip(SKIP_2) | instid1(VALU_DEP_4)
	v_dual_fmac_f32 v83, v12, v51 :: v_dual_fmac_f32 v82, v11, v52
	v_dual_fmac_f32 v38, v20, v50 :: v_dual_fmac_f32 v81, v19, v52
	;; [unrolled: 1-line block ×3, first 2 shown]
	v_fmac_f32_e32 v17, v18, v52
	s_delay_alu instid0(VALU_DEP_4) | instskip(NEXT) | instid1(VALU_DEP_4)
	v_dual_fmac_f32 v83, v15, v52 :: v_dual_fmac_f32 v82, v10, v53
	v_fma_f32 v8, -v21, v51, v38
	v_fma_f32 v13, -v13, v51, v39
	v_dual_fmac_f32 v84, v23, v52 :: v_dual_fmac_f32 v81, v18, v53
	v_fma_f32 v12, -v19, v53, v17
	s_waitcnt vmcnt(2)
	v_dual_fmac_f32 v83, v14, v53 :: v_dual_fmac_f32 v82, v25, v42
	v_fmac_f32_e32 v13, v14, v52
	v_fma_f32 v9, -v11, v53, v9
	v_fmac_f32_e32 v12, v141, v42
	v_fmac_f32_e32 v8, v22, v52
	v_dual_fmac_f32 v81, v142, v42 :: v_dual_fmac_f32 v82, v24, v43
	v_fmac_f32_e32 v84, v22, v53
	v_fma_f32 v10, -v15, v53, v13
	v_fmac_f32_e32 v9, v24, v42
	s_delay_alu instid0(VALU_DEP_4)
	v_fmac_f32_e32 v81, v141, v43
	v_fma_f32 v8, -v23, v53, v8
	v_fmac_f32_e32 v83, v150, v42
	v_fmac_f32_e32 v84, v154, v42
	v_fma_f32 v11, -v142, v43, v12
	v_dual_fmac_f32 v10, v149, v42 :: v_dual_fmac_f32 v81, v144, v44
	v_fmac_f32_e32 v8, v153, v42
	v_fma_f32 v9, -v25, v43, v9
	s_delay_alu instid0(VALU_DEP_4)
	v_fmac_f32_e32 v11, v143, v44
	v_fmac_f32_e32 v83, v149, v43
	;; [unrolled: 1-line block ×3, first 2 shown]
	v_fma_f32 v8, -v154, v43, v8
	v_fma_f32 v10, -v150, v43, v10
	;; [unrolled: 1-line block ×3, first 2 shown]
	v_fmac_f32_e32 v82, v27, v44
	v_dual_fmac_f32 v84, v156, v44 :: v_dual_fmac_f32 v81, v143, v45
	v_fmac_f32_e32 v9, v26, v44
	s_waitcnt vmcnt(0)
	v_dual_fmac_f32 v8, v155, v44 :: v_dual_fmac_f32 v11, v4, v177
	v_dual_fmac_f32 v83, v152, v44 :: v_dual_fmac_f32 v82, v26, v45
	v_fmac_f32_e32 v84, v155, v45
	v_fma_f32 v9, -v27, v45, v9
	v_dual_fmac_f32 v10, v151, v44 :: v_dual_fmac_f32 v81, v5, v177
	v_fma_f32 v8, -v156, v45, v8
	v_fmac_f32_e32 v82, v1, v177
	s_delay_alu instid0(VALU_DEP_4) | instskip(NEXT) | instid1(VALU_DEP_4)
	v_fmac_f32_e32 v9, v0, v177
	v_fma_f32 v10, -v152, v45, v10
	v_fmac_f32_e32 v81, v4, v178
	s_delay_alu instid0(VALU_DEP_4) | instskip(SKIP_2) | instid1(VALU_DEP_4)
	v_dual_fmac_f32 v83, v151, v45 :: v_dual_fmac_f32 v82, v0, v178
	v_fma_f32 v5, -v5, v178, v11
	v_fmac_f32_e32 v84, v88, v177
	v_dual_fmac_f32 v10, v145, v177 :: v_dual_fmac_f32 v81, v7, v179
	v_fma_f32 v1, -v1, v178, v9
	s_delay_alu instid0(VALU_DEP_4) | instskip(NEXT) | instid1(VALU_DEP_4)
	v_fmac_f32_e32 v5, v6, v179
	v_dual_fmac_f32 v83, v146, v177 :: v_dual_fmac_f32 v84, v87, v178
	v_fmac_f32_e32 v8, v87, v177
	v_fma_f32 v4, -v146, v178, v10
	v_dual_fmac_f32 v82, v3, v179 :: v_dual_fmac_f32 v81, v6, v180
	s_delay_alu instid0(VALU_DEP_4) | instskip(NEXT) | instid1(VALU_DEP_4)
	v_fmac_f32_e32 v83, v145, v178
	v_fma_f32 v0, -v88, v178, v8
	v_fmac_f32_e32 v84, v90, v179
	v_fmac_f32_e32 v1, v2, v179
	;; [unrolled: 1-line block ×3, first 2 shown]
	v_dual_fmac_f32 v83, v148, v179 :: v_dual_fmac_f32 v82, v2, v180
	v_fmac_f32_e32 v0, v89, v179
	v_fma_f32 v87, -v7, v180, v5
	v_fmac_f32_e32 v84, v89, v180
	s_delay_alu instid0(VALU_DEP_4)
	v_fmac_f32_e32 v83, v147, v180
	v_fma_f32 v88, -v3, v180, v1
	v_fma_f32 v86, -v90, v180, v0
	v_fma_f32 v85, -v148, v180, v4
	s_and_not1_b32 exec_lo, exec_lo, s11
	s_cbranch_execnz .LBB50_29
; %bb.30:
	s_or_b32 exec_lo, exec_lo, s11
.LBB50_31:
	s_delay_alu instid0(SALU_CYCLE_1)
	s_or_b32 exec_lo, exec_lo, s10
.LBB50_32:
	s_delay_alu instid0(SALU_CYCLE_1) | instskip(NEXT) | instid1(SALU_CYCLE_1)
	s_or_b32 exec_lo, exec_lo, s7
	s_and_not1_b32 vcc_lo, exec_lo, s6
	s_cbranch_vccz .LBB50_34
	s_branch .LBB50_45
.LBB50_33:
                                        ; implicit-def: $vgpr81
                                        ; implicit-def: $vgpr87
                                        ; implicit-def: $vgpr85
                                        ; implicit-def: $vgpr83
                                        ; implicit-def: $vgpr86
                                        ; implicit-def: $vgpr84
                                        ; implicit-def: $vgpr88
                                        ; implicit-def: $vgpr82
.LBB50_34:
	v_dual_mov_b32 v81, 0 :: v_dual_mov_b32 v86, 0
	v_dual_mov_b32 v87, 0 :: v_dual_mov_b32 v84, 0
	;; [unrolled: 1-line block ×4, first 2 shown]
	s_and_saveexec_b32 s6, s2
	s_cbranch_execz .LBB50_44
; %bb.35:
	v_or_b32_e32 v0, 4, v80
	v_not_b32_e32 v3, v28
	v_not_b32_e32 v2, v29
	v_dual_mov_b32 v82, 0 :: v_dual_mov_b32 v85, 0
	s_delay_alu instid0(VALU_DEP_4) | instskip(NEXT) | instid1(VALU_DEP_1)
	v_sub_co_u32 v0, s2, v0, s12
	v_sub_co_ci_u32_e64 v1, null, 0, s3, s2
	v_sub_co_u32 v4, s2, s12, v80
	s_delay_alu instid0(VALU_DEP_3) | instskip(NEXT) | instid1(VALU_DEP_3)
	v_add_co_u32 v0, vcc_lo, v0, v28
	v_add_co_ci_u32_e32 v1, vcc_lo, v1, v29, vcc_lo
	v_sub_co_ci_u32_e64 v5, null, s3, 0, s2
	v_dual_mov_b32 v88, 0 :: v_dual_mov_b32 v87, 0
	s_delay_alu instid0(VALU_DEP_3)
	v_cmp_gt_i64_e32 vcc_lo, v[0:1], v[68:69]
	v_dual_mov_b32 v84, 0 :: v_dual_mov_b32 v81, 0
	v_mov_b32_e32 v86, 0
	s_mov_b32 s2, exec_lo
	v_mov_b32_e32 v83, 0
	v_dual_cndmask_b32 v1, v69, v1 :: v_dual_cndmask_b32 v0, v68, v0
	v_add_co_u32 v3, vcc_lo, v4, v3
	v_add_co_ci_u32_e32 v2, vcc_lo, v5, v2, vcc_lo
	s_delay_alu instid0(VALU_DEP_2) | instskip(NEXT) | instid1(VALU_DEP_2)
	v_add_co_u32 v0, vcc_lo, v3, v0
	v_add_co_ci_u32_e32 v1, vcc_lo, v2, v1, vcc_lo
	s_delay_alu instid0(VALU_DEP_2) | instskip(NEXT) | instid1(VALU_DEP_1)
	v_lshrrev_b32_e32 v2, 2, v0
	v_add_nc_u32_e32 v2, 1, v2
	s_delay_alu instid0(VALU_DEP_1) | instskip(NEXT) | instid1(VALU_DEP_1)
	v_and_b32_e32 v2, 3, v2
	v_cmpx_ne_u32_e32 0, v2
	s_cbranch_execz .LBB50_39
; %bb.36:
	v_lshlrev_b64 v[4:5], 3, v[66:67]
	v_dual_mov_b32 v3, 0 :: v_dual_lshlrev_b32 v2, 3, v2
	s_mov_b32 s7, 0
	s_delay_alu instid0(VALU_DEP_1) | instskip(NEXT) | instid1(VALU_DEP_3)
	v_mov_b32_e32 v81, v3
	v_add_co_u32 v4, vcc_lo, s8, v4
	s_delay_alu instid0(VALU_DEP_4)
	v_add_co_ci_u32_e32 v5, vcc_lo, s9, v5, vcc_lo
	v_mov_b32_e32 v87, v3
	v_mov_b32_e32 v85, v3
	;; [unrolled: 1-line block ×7, first 2 shown]
.LBB50_37:                              ; =>This Inner Loop Header: Depth=1
	global_load_b64 v[18:19], v[4:5], off
	s_clause 0x2
	global_load_b128 v[6:9], v[70:71], off offset:32
	global_load_b128 v[10:13], v[70:71], off offset:16
	global_load_b128 v[14:17], v[70:71], off
	s_waitcnt vmcnt(3)
	v_sub_co_u32 v18, vcc_lo, v18, s12
	v_subrev_co_ci_u32_e32 v19, vcc_lo, s3, v19, vcc_lo
	s_delay_alu instid0(VALU_DEP_1) | instskip(NEXT) | instid1(VALU_DEP_1)
	v_lshlrev_b64 v[18:19], 5, v[18:19]
	v_add_co_u32 v22, vcc_lo, s4, v18
	s_delay_alu instid0(VALU_DEP_2)
	v_add_co_ci_u32_e32 v23, vcc_lo, s5, v19, vcc_lo
	s_clause 0x1
	global_load_b128 v[18:21], v[22:23], off
	global_load_b128 v[22:25], v[22:23], off offset:16
	s_clause 0x4
	global_load_b128 v[26:29], v[70:71], off offset:48
	global_load_b128 v[30:33], v[70:71], off offset:64
	;; [unrolled: 1-line block ×5, first 2 shown]
	v_add_co_u32 v70, vcc_lo, 0x200, v70
	v_add_co_ci_u32_e32 v71, vcc_lo, 0, v71, vcc_lo
	v_add_co_u32 v66, vcc_lo, v66, 4
	v_add_co_ci_u32_e32 v67, vcc_lo, 0, v67, vcc_lo
	v_add_co_u32 v2, vcc_lo, v2, -8
	v_add_co_ci_u32_e32 v3, vcc_lo, -1, v3, vcc_lo
	v_add_co_u32 v4, vcc_lo, v4, 32
	v_add_co_ci_u32_e32 v5, vcc_lo, 0, v5, vcc_lo
	s_delay_alu instid0(VALU_DEP_3)
	v_cmp_eq_u64_e32 vcc_lo, 0, v[2:3]
	s_or_b32 s7, vcc_lo, s7
	s_waitcnt vmcnt(6)
	v_fmac_f32_e32 v83, v13, v18
	v_fmac_f32_e32 v82, v17, v18
	;; [unrolled: 1-line block ×4, first 2 shown]
	s_delay_alu instid0(VALU_DEP_4) | instskip(NEXT) | instid1(VALU_DEP_4)
	v_fmac_f32_e32 v83, v12, v19
	v_dual_fmac_f32 v87, v14, v18 :: v_dual_fmac_f32 v82, v16, v19
	v_fmac_f32_e32 v85, v12, v18
	s_delay_alu instid0(VALU_DEP_2) | instskip(NEXT) | instid1(VALU_DEP_3)
	v_fma_f32 v15, -v15, v19, v87
	v_fmac_f32_e32 v82, v9, v20
	s_delay_alu instid0(VALU_DEP_2)
	v_fmac_f32_e32 v15, v6, v20
	v_fmac_f32_e32 v84, v10, v19
	v_dual_fmac_f32 v88, v16, v18 :: v_dual_fmac_f32 v81, v14, v19
	v_fmac_f32_e32 v86, v10, v18
	v_fma_f32 v10, -v13, v19, v85
	v_fmac_f32_e32 v82, v8, v21
	s_delay_alu instid0(VALU_DEP_4)
	v_fma_f32 v14, -v17, v19, v88
	v_fmac_f32_e32 v81, v7, v20
	v_fma_f32 v11, -v11, v19, v86
	s_waitcnt vmcnt(4)
	v_fmac_f32_e32 v84, v27, v20
	v_fma_f32 v7, -v7, v21, v15
	v_dual_fmac_f32 v14, v8, v20 :: v_dual_fmac_f32 v81, v6, v21
	v_fmac_f32_e32 v11, v26, v20
	s_delay_alu instid0(VALU_DEP_4) | instskip(NEXT) | instid1(VALU_DEP_3)
	v_dual_fmac_f32 v83, v29, v20 :: v_dual_fmac_f32 v84, v26, v21
	v_fma_f32 v6, -v9, v21, v14
	s_waitcnt vmcnt(3)
	v_fmac_f32_e32 v82, v33, v22
	v_dual_fmac_f32 v10, v28, v20 :: v_dual_fmac_f32 v7, v30, v22
	v_fmac_f32_e32 v83, v28, v21
	s_delay_alu instid0(VALU_DEP_3) | instskip(SKIP_3) | instid1(VALU_DEP_4)
	v_dual_fmac_f32 v81, v31, v22 :: v_dual_fmac_f32 v82, v32, v23
	v_fmac_f32_e32 v6, v32, v22
	v_fma_f32 v8, -v27, v21, v11
	v_fma_f32 v9, -v29, v21, v10
	v_fmac_f32_e32 v81, v30, v23
	v_fma_f32 v7, -v31, v23, v7
	v_fma_f32 v6, -v33, v23, v6
	s_waitcnt vmcnt(2)
	v_fmac_f32_e32 v84, v35, v22
	v_fmac_f32_e32 v83, v37, v22
	s_waitcnt vmcnt(1)
	v_fmac_f32_e32 v82, v41, v24
	v_fmac_f32_e32 v7, v38, v24
	v_dual_fmac_f32 v9, v36, v22 :: v_dual_fmac_f32 v84, v34, v23
	v_fmac_f32_e32 v6, v40, v24
	v_dual_fmac_f32 v8, v34, v22 :: v_dual_fmac_f32 v83, v36, v23
	s_delay_alu instid0(VALU_DEP_3) | instskip(SKIP_1) | instid1(VALU_DEP_3)
	v_fma_f32 v9, -v37, v23, v9
	v_dual_fmac_f32 v81, v39, v24 :: v_dual_fmac_f32 v82, v40, v25
	v_fma_f32 v8, -v35, v23, v8
	s_waitcnt vmcnt(0)
	v_fmac_f32_e32 v84, v43, v24
	v_fmac_f32_e32 v9, v44, v24
	;; [unrolled: 1-line block ×3, first 2 shown]
	v_fma_f32 v87, -v39, v25, v7
	v_fmac_f32_e32 v8, v42, v24
	v_fmac_f32_e32 v81, v38, v25
	v_fma_f32 v88, -v41, v25, v6
	v_fmac_f32_e32 v83, v44, v25
	v_fmac_f32_e32 v84, v42, v25
	v_fma_f32 v86, -v43, v25, v8
	v_fma_f32 v85, -v45, v25, v9
	s_and_not1_b32 exec_lo, exec_lo, s7
	s_cbranch_execnz .LBB50_37
; %bb.38:
	s_or_b32 exec_lo, exec_lo, s7
.LBB50_39:
	s_delay_alu instid0(SALU_CYCLE_1) | instskip(NEXT) | instid1(SALU_CYCLE_1)
	s_or_b32 exec_lo, exec_lo, s2
	s_mov_b32 s2, exec_lo
	v_cmpx_lt_u64_e32 11, v[0:1]
	s_cbranch_execz .LBB50_43
; %bb.40:
	v_lshlrev_b64 v[0:1], 3, v[66:67]
	s_mov_b32 s7, 0
	s_delay_alu instid0(VALU_DEP_1) | instskip(NEXT) | instid1(VALU_DEP_2)
	v_add_co_u32 v0, vcc_lo, v0, s8
	v_add_co_ci_u32_e32 v1, vcc_lo, s9, v1, vcc_lo
	s_delay_alu instid0(VALU_DEP_2) | instskip(NEXT) | instid1(VALU_DEP_2)
	v_add_co_u32 v72, vcc_lo, v0, 64
	v_add_co_ci_u32_e32 v73, vcc_lo, 0, v1, vcc_lo
.LBB50_41:                              ; =>This Inner Loop Header: Depth=1
	global_load_b64 v[74:75], v[72:73], off offset:-64
	s_clause 0xf
	global_load_b128 v[8:11], v[70:71], off offset:48
	global_load_b128 v[52:55], v[70:71], off offset:32
	;; [unrolled: 1-line block ×3, first 2 shown]
	global_load_b128 v[60:63], v[70:71], off
	global_load_b128 v[28:31], v[70:71], off offset:112
	global_load_b128 v[36:39], v[70:71], off offset:96
	;; [unrolled: 1-line block ×12, first 2 shown]
	s_clause 0x2
	global_load_b64 v[141:142], v[72:73], off offset:-32
	global_load_b64 v[143:144], v[72:73], off
	global_load_b64 v[145:146], v[72:73], off offset:32
	s_clause 0xa
	global_load_b128 v[89:92], v[70:71], off offset:1072
	global_load_b128 v[93:96], v[70:71], off offset:1056
	;; [unrolled: 1-line block ×11, first 2 shown]
	s_waitcnt vmcnt(30)
	v_sub_co_u32 v74, vcc_lo, v74, s12
	v_subrev_co_ci_u32_e32 v75, vcc_lo, s3, v75, vcc_lo
	s_delay_alu instid0(VALU_DEP_1) | instskip(NEXT) | instid1(VALU_DEP_1)
	v_lshlrev_b64 v[74:75], 5, v[74:75]
	v_add_co_u32 v74, vcc_lo, s4, v74
	s_delay_alu instid0(VALU_DEP_2)
	v_add_co_ci_u32_e32 v75, vcc_lo, s5, v75, vcc_lo
	s_clause 0x1
	global_load_b128 v[133:136], v[74:75], off
	global_load_b128 v[137:140], v[74:75], off offset:16
	s_waitcnt vmcnt(1)
	v_fmac_f32_e32 v83, v59, v133
	v_fmac_f32_e32 v84, v57, v133
	;; [unrolled: 1-line block ×4, first 2 shown]
	s_delay_alu instid0(VALU_DEP_4) | instskip(NEXT) | instid1(VALU_DEP_4)
	v_fmac_f32_e32 v83, v58, v134
	v_fmac_f32_e32 v84, v56, v134
	s_delay_alu instid0(VALU_DEP_4) | instskip(NEXT) | instid1(VALU_DEP_4)
	v_dual_fmac_f32 v87, v60, v133 :: v_dual_fmac_f32 v82, v62, v134
	v_dual_fmac_f32 v88, v62, v133 :: v_dual_fmac_f32 v81, v60, v134
	v_fmac_f32_e32 v86, v56, v133
	s_delay_alu instid0(VALU_DEP_3) | instskip(SKIP_1) | instid1(VALU_DEP_4)
	v_fma_f32 v74, -v61, v134, v87
	v_fmac_f32_e32 v85, v58, v133
	v_fma_f32 v75, -v63, v134, v88
	v_fmac_f32_e32 v81, v53, v135
	;; [unrolled: 2-line block ×4, first 2 shown]
	v_dual_fmac_f32 v82, v55, v135 :: v_dual_fmac_f32 v81, v52, v136
	s_delay_alu instid0(VALU_DEP_4) | instskip(SKIP_1) | instid1(VALU_DEP_4)
	v_fma_f32 v148, -v53, v136, v74
	v_sub_co_u32 v74, vcc_lo, v141, s12
	v_fma_f32 v149, -v55, v136, v75
	v_subrev_co_ci_u32_e32 v75, vcc_lo, s3, v142, vcc_lo
	v_sub_co_u32 v85, vcc_lo, v143, s12
	v_subrev_co_ci_u32_e32 v86, vcc_lo, s3, v144, vcc_lo
	v_sub_co_u32 v87, vcc_lo, v145, s12
	s_delay_alu instid0(VALU_DEP_4) | instskip(SKIP_1) | instid1(VALU_DEP_4)
	v_lshlrev_b64 v[74:75], 5, v[74:75]
	v_subrev_co_ci_u32_e32 v88, vcc_lo, s3, v146, vcc_lo
	v_lshlrev_b64 v[85:86], 5, v[85:86]
	s_waitcnt vmcnt(0)
	v_dual_fmac_f32 v83, v11, v135 :: v_dual_fmac_f32 v148, v48, v137
	s_delay_alu instid0(VALU_DEP_3)
	v_lshlrev_b64 v[87:88], 5, v[87:88]
	v_add_co_u32 v74, vcc_lo, s4, v74
	v_add_co_ci_u32_e32 v75, vcc_lo, s5, v75, vcc_lo
	v_fmac_f32_e32 v82, v54, v136
	v_add_co_u32 v141, vcc_lo, s4, v85
	v_fmac_f32_e32 v133, v8, v135
	v_dual_fmac_f32 v84, v9, v135 :: v_dual_fmac_f32 v83, v10, v136
	v_fmac_f32_e32 v147, v10, v135
	v_add_co_ci_u32_e32 v142, vcc_lo, s5, v86, vcc_lo
	s_delay_alu instid0(VALU_DEP_3)
	v_fmac_f32_e32 v84, v8, v136
	v_add_co_u32 v143, vcc_lo, s4, v87
	s_clause 0x2
	global_load_b128 v[60:63], v[70:71], off offset:1536
	global_load_b128 v[56:59], v[70:71], off offset:1600
	;; [unrolled: 1-line block ×3, first 2 shown]
	v_add_co_ci_u32_e32 v144, vcc_lo, s5, v88, vcc_lo
	v_fma_f32 v146, -v11, v136, v147
	v_fmac_f32_e32 v82, v51, v137
	v_fma_f32 v145, -v9, v136, v133
	s_clause 0x2
	global_load_b128 v[8:11], v[74:75], off
	global_load_b128 v[85:88], v[74:75], off offset:16
	global_load_b128 v[133:136], v[141:142], off
	v_fmac_f32_e32 v81, v49, v137
	v_fmac_f32_e32 v84, v45, v137
	v_fmac_f32_e32 v82, v50, v138
	v_fmac_f32_e32 v149, v50, v137
	v_fma_f32 v74, -v49, v138, v148
	v_fmac_f32_e32 v81, v48, v138
	v_fmac_f32_e32 v84, v44, v138
	v_dual_fmac_f32 v145, v44, v137 :: v_dual_fmac_f32 v82, v39, v139
	v_fma_f32 v75, -v51, v138, v149
	global_load_b128 v[48:51], v[141:142], off offset:16
	v_dual_fmac_f32 v146, v46, v137 :: v_dual_fmac_f32 v81, v37, v139
	v_dual_fmac_f32 v83, v47, v137 :: v_dual_fmac_f32 v74, v36, v139
	v_fma_f32 v137, -v45, v138, v145
	s_delay_alu instid0(VALU_DEP_3) | instskip(SKIP_1) | instid1(VALU_DEP_4)
	v_fma_f32 v145, -v47, v138, v146
	v_fmac_f32_e32 v82, v38, v140
	v_dual_fmac_f32 v83, v46, v138 :: v_dual_fmac_f32 v84, v29, v139
	global_load_b128 v[44:47], v[143:144], off
	v_fmac_f32_e32 v75, v38, v139
	v_fma_f32 v74, -v37, v140, v74
	v_fmac_f32_e32 v137, v28, v139
	v_dual_fmac_f32 v84, v28, v140 :: v_dual_fmac_f32 v145, v30, v139
	s_delay_alu instid0(VALU_DEP_4) | instskip(SKIP_1) | instid1(VALU_DEP_4)
	v_fma_f32 v75, -v39, v140, v75
	v_fmac_f32_e32 v83, v31, v139
	v_fma_f32 v137, -v29, v140, v137
	s_waitcnt vmcnt(4)
	v_fmac_f32_e32 v84, v13, v8
	v_fmac_f32_e32 v82, v19, v8
	;; [unrolled: 1-line block ×3, first 2 shown]
	global_load_b128 v[36:39], v[70:71], off offset:1632
	global_load_b128 v[141:144], v[143:144], off offset:16
	v_dual_fmac_f32 v83, v30, v140 :: v_dual_fmac_f32 v84, v12, v9
	v_fmac_f32_e32 v74, v16, v8
	v_fma_f32 v138, -v31, v140, v145
	global_load_b128 v[28:31], v[70:71], off offset:1648
	v_fmac_f32_e32 v137, v12, v8
	v_dual_fmac_f32 v83, v15, v8 :: v_dual_fmac_f32 v84, v1, v10
	v_fmac_f32_e32 v138, v14, v8
	v_dual_fmac_f32 v82, v18, v9 :: v_dual_fmac_f32 v81, v17, v8
	v_fmac_f32_e32 v75, v18, v8
	v_fma_f32 v8, -v17, v9, v74
	v_dual_fmac_f32 v83, v14, v9 :: v_dual_fmac_f32 v84, v0, v11
	s_delay_alu instid0(VALU_DEP_4) | instskip(SKIP_1) | instid1(VALU_DEP_4)
	v_fmac_f32_e32 v82, v7, v10
	v_add_co_u32 v70, vcc_lo, 0x800, v70
	v_fmac_f32_e32 v8, v4, v10
	v_fmac_f32_e32 v81, v16, v9
	v_fma_f32 v16, -v19, v9, v75
	v_fmac_f32_e32 v82, v6, v11
	s_waitcnt vmcnt(6)
	v_fmac_f32_e32 v84, v33, v85
	v_add_co_ci_u32_e32 v71, vcc_lo, 0, v71, vcc_lo
	v_fmac_f32_e32 v81, v5, v10
	v_fma_f32 v12, -v15, v9, v138
	v_fmac_f32_e32 v16, v6, v10
	v_fma_f32 v13, -v13, v9, v137
	v_fma_f32 v5, -v5, v11, v8
	s_delay_alu instid0(VALU_DEP_4) | instskip(NEXT) | instid1(VALU_DEP_4)
	v_dual_fmac_f32 v81, v4, v11 :: v_dual_fmac_f32 v12, v2, v10
	v_fma_f32 v4, -v7, v11, v16
	s_delay_alu instid0(VALU_DEP_4)
	v_fmac_f32_e32 v13, v0, v10
	v_fmac_f32_e32 v83, v3, v10
	;; [unrolled: 1-line block ×5, first 2 shown]
	v_fma_f32 v1, -v1, v11, v13
	v_fmac_f32_e32 v83, v2, v11
	v_fma_f32 v0, -v3, v11, v12
	v_dual_fmac_f32 v81, v41, v85 :: v_dual_fmac_f32 v84, v32, v86
	s_delay_alu instid0(VALU_DEP_4) | instskip(SKIP_2) | instid1(VALU_DEP_4)
	v_dual_fmac_f32 v82, v42, v86 :: v_dual_fmac_f32 v1, v32, v85
	v_fma_f32 v2, -v41, v86, v5
	v_fmac_f32_e32 v83, v35, v85
	v_dual_fmac_f32 v81, v40, v86 :: v_dual_fmac_f32 v0, v34, v85
	s_delay_alu instid0(VALU_DEP_4) | instskip(SKIP_2) | instid1(VALU_DEP_4)
	v_fmac_f32_e32 v82, v27, v87
	v_fma_f32 v1, -v33, v86, v1
	v_fmac_f32_e32 v2, v24, v87
	v_fmac_f32_e32 v81, v25, v87
	v_dual_fmac_f32 v83, v34, v86 :: v_dual_fmac_f32 v84, v21, v87
	v_fma_f32 v3, -v43, v86, v4
	v_fma_f32 v0, -v35, v86, v0
	v_dual_fmac_f32 v1, v20, v87 :: v_dual_fmac_f32 v82, v26, v88
	v_fma_f32 v2, -v25, v88, v2
	v_fmac_f32_e32 v83, v23, v87
	v_dual_fmac_f32 v3, v26, v87 :: v_dual_fmac_f32 v84, v20, v88
	v_dual_fmac_f32 v0, v22, v87 :: v_dual_fmac_f32 v81, v24, v88
	s_waitcnt vmcnt(5)
	s_delay_alu instid0(VALU_DEP_3) | instskip(SKIP_4) | instid1(VALU_DEP_4)
	v_dual_fmac_f32 v2, v101, v133 :: v_dual_fmac_f32 v83, v22, v88
	v_fmac_f32_e32 v82, v104, v133
	v_fma_f32 v3, -v27, v88, v3
	v_fma_f32 v1, -v21, v88, v1
	;; [unrolled: 1-line block ×3, first 2 shown]
	v_dual_fmac_f32 v81, v102, v133 :: v_dual_fmac_f32 v82, v103, v134
	v_fmac_f32_e32 v84, v98, v133
	s_delay_alu instid0(VALU_DEP_4)
	v_fmac_f32_e32 v1, v97, v133
	v_fma_f32 v2, -v102, v134, v2
	v_fmac_f32_e32 v83, v100, v133
	v_fmac_f32_e32 v81, v101, v134
	v_dual_fmac_f32 v3, v103, v133 :: v_dual_fmac_f32 v84, v97, v134
	v_fmac_f32_e32 v0, v99, v133
	v_fmac_f32_e32 v2, v93, v135
	s_delay_alu instid0(VALU_DEP_4) | instskip(NEXT) | instid1(VALU_DEP_4)
	v_fmac_f32_e32 v81, v94, v135
	v_fma_f32 v3, -v104, v134, v3
	v_dual_fmac_f32 v83, v99, v134 :: v_dual_fmac_f32 v84, v90, v135
	v_fma_f32 v0, -v100, v134, v0
	v_fmac_f32_e32 v82, v96, v135
	v_fma_f32 v1, -v98, v134, v1
	s_delay_alu instid0(VALU_DEP_4) | instskip(NEXT) | instid1(VALU_DEP_4)
	v_dual_fmac_f32 v3, v95, v135 :: v_dual_fmac_f32 v84, v89, v136
	v_dual_fmac_f32 v0, v91, v135 :: v_dual_fmac_f32 v81, v93, v136
	s_delay_alu instid0(VALU_DEP_3) | instskip(SKIP_3) | instid1(VALU_DEP_4)
	v_dual_fmac_f32 v1, v89, v135 :: v_dual_fmac_f32 v82, v95, v136
	v_fma_f32 v2, -v94, v136, v2
	v_fmac_f32_e32 v83, v92, v135
	v_fma_f32 v3, -v96, v136, v3
	v_fma_f32 v1, -v90, v136, v1
	;; [unrolled: 1-line block ×3, first 2 shown]
	s_waitcnt vmcnt(4)
	v_fmac_f32_e32 v2, v117, v48
	v_fmac_f32_e32 v82, v120, v48
	;; [unrolled: 1-line block ×5, first 2 shown]
	v_fma_f32 v2, -v118, v49, v2
	v_fmac_f32_e32 v3, v119, v48
	v_dual_fmac_f32 v82, v119, v49 :: v_dual_fmac_f32 v1, v113, v48
	v_dual_fmac_f32 v81, v117, v49 :: v_dual_fmac_f32 v0, v115, v48
	;; [unrolled: 1-line block ×3, first 2 shown]
	v_fmac_f32_e32 v2, v109, v50
	v_fma_f32 v3, -v120, v49, v3
	s_delay_alu instid0(VALU_DEP_4) | instskip(NEXT) | instid1(VALU_DEP_4)
	v_fmac_f32_e32 v81, v110, v50
	v_fmac_f32_e32 v84, v106, v50
	v_fma_f32 v0, -v116, v49, v0
	v_dual_fmac_f32 v83, v115, v49 :: v_dual_fmac_f32 v82, v112, v50
	v_fma_f32 v1, -v114, v49, v1
	s_delay_alu instid0(VALU_DEP_4) | instskip(NEXT) | instid1(VALU_DEP_4)
	v_dual_fmac_f32 v3, v111, v50 :: v_dual_fmac_f32 v84, v105, v51
	v_dual_fmac_f32 v0, v107, v50 :: v_dual_fmac_f32 v81, v109, v51
	s_delay_alu instid0(VALU_DEP_3) | instskip(SKIP_3) | instid1(VALU_DEP_4)
	v_dual_fmac_f32 v1, v105, v50 :: v_dual_fmac_f32 v82, v111, v51
	v_fmac_f32_e32 v83, v108, v50
	v_fma_f32 v2, -v110, v51, v2
	v_fma_f32 v3, -v112, v51, v3
	;; [unrolled: 1-line block ×3, first 2 shown]
	s_waitcnt vmcnt(3)
	v_fmac_f32_e32 v82, v63, v44
	v_fma_f32 v0, -v108, v51, v0
	v_dual_fmac_f32 v83, v107, v51 :: v_dual_fmac_f32 v2, v60, v44
	s_delay_alu instid0(VALU_DEP_3) | instskip(SKIP_2) | instid1(VALU_DEP_4)
	v_dual_fmac_f32 v81, v61, v44 :: v_dual_fmac_f32 v82, v62, v45
	v_fmac_f32_e32 v1, v129, v44
	v_fmac_f32_e32 v84, v130, v44
	v_fma_f32 v2, -v61, v45, v2
	s_delay_alu instid0(VALU_DEP_4) | instskip(SKIP_2) | instid1(VALU_DEP_4)
	v_fmac_f32_e32 v81, v60, v45
	v_fmac_f32_e32 v3, v62, v44
	;; [unrolled: 1-line block ×3, first 2 shown]
	v_dual_fmac_f32 v83, v132, v44 :: v_dual_fmac_f32 v2, v125, v46
	v_fmac_f32_e32 v84, v129, v45
	s_delay_alu instid0(VALU_DEP_4) | instskip(SKIP_2) | instid1(VALU_DEP_4)
	v_fma_f32 v3, -v63, v45, v3
	v_fmac_f32_e32 v81, v126, v46
	v_fma_f32 v0, -v132, v45, v0
	v_dual_fmac_f32 v83, v131, v45 :: v_dual_fmac_f32 v84, v122, v46
	v_fmac_f32_e32 v82, v128, v46
	v_fma_f32 v1, -v130, v45, v1
	v_fmac_f32_e32 v3, v127, v46
	v_dual_fmac_f32 v0, v123, v46 :: v_dual_fmac_f32 v81, v125, v47
	v_fma_f32 v2, -v126, v47, v2
	s_delay_alu instid0(VALU_DEP_4) | instskip(SKIP_2) | instid1(VALU_DEP_3)
	v_dual_fmac_f32 v1, v121, v46 :: v_dual_fmac_f32 v82, v127, v47
	v_dual_fmac_f32 v83, v124, v46 :: v_dual_fmac_f32 v84, v121, v47
	v_fma_f32 v3, -v128, v47, v3
	v_fma_f32 v1, -v122, v47, v1
	;; [unrolled: 1-line block ×3, first 2 shown]
	v_add_co_u32 v66, vcc_lo, v66, 16
	v_add_co_ci_u32_e32 v67, vcc_lo, 0, v67, vcc_lo
	v_add_co_u32 v72, vcc_lo, 0x80, v72
	v_add_co_ci_u32_e32 v73, vcc_lo, 0, v73, vcc_lo
	s_delay_alu instid0(VALU_DEP_3) | instskip(SKIP_4) | instid1(VALU_DEP_2)
	v_cmp_ge_i64_e32 vcc_lo, v[66:67], v[68:69]
	s_or_b32 s7, vcc_lo, s7
	s_waitcnt vmcnt(1)
	v_fmac_f32_e32 v82, v59, v141
	v_dual_fmac_f32 v83, v123, v47 :: v_dual_fmac_f32 v2, v56, v141
	v_dual_fmac_f32 v81, v57, v141 :: v_dual_fmac_f32 v82, v58, v142
	v_fmac_f32_e32 v1, v52, v141
	s_delay_alu instid0(VALU_DEP_2) | instskip(SKIP_3) | instid1(VALU_DEP_4)
	v_dual_fmac_f32 v84, v53, v141 :: v_dual_fmac_f32 v81, v56, v142
	v_fmac_f32_e32 v3, v58, v141
	v_fmac_f32_e32 v0, v54, v141
	v_fma_f32 v2, -v57, v142, v2
	v_dual_fmac_f32 v83, v55, v141 :: v_dual_fmac_f32 v84, v52, v142
	s_delay_alu instid0(VALU_DEP_4) | instskip(SKIP_1) | instid1(VALU_DEP_4)
	v_fma_f32 v3, -v59, v142, v3
	v_fmac_f32_e32 v81, v37, v143
	v_fmac_f32_e32 v2, v36, v143
	v_fma_f32 v0, -v55, v142, v0
	s_waitcnt vmcnt(0)
	v_dual_fmac_f32 v83, v54, v142 :: v_dual_fmac_f32 v84, v29, v143
	v_fmac_f32_e32 v82, v39, v143
	v_fma_f32 v1, -v53, v142, v1
	v_fmac_f32_e32 v3, v38, v143
	v_dual_fmac_f32 v0, v30, v143 :: v_dual_fmac_f32 v81, v36, v144
	v_fmac_f32_e32 v83, v31, v143
	s_delay_alu instid0(VALU_DEP_4) | instskip(SKIP_3) | instid1(VALU_DEP_4)
	v_dual_fmac_f32 v1, v28, v143 :: v_dual_fmac_f32 v82, v38, v144
	v_fma_f32 v87, -v37, v144, v2
	v_fmac_f32_e32 v84, v28, v144
	v_fma_f32 v88, -v39, v144, v3
	v_fma_f32 v86, -v29, v144, v1
	;; [unrolled: 1-line block ×3, first 2 shown]
	v_fmac_f32_e32 v83, v30, v144
	s_and_not1_b32 exec_lo, exec_lo, s7
	s_cbranch_execnz .LBB50_41
; %bb.42:
	s_or_b32 exec_lo, exec_lo, s7
.LBB50_43:
	s_delay_alu instid0(SALU_CYCLE_1)
	s_or_b32 exec_lo, exec_lo, s2
.LBB50_44:
	s_delay_alu instid0(SALU_CYCLE_1)
	s_or_b32 exec_lo, exec_lo, s6
.LBB50_45:
	v_mbcnt_lo_u32_b32 v0, -1, 0
	s_delay_alu instid0(VALU_DEP_1) | instskip(NEXT) | instid1(VALU_DEP_1)
	v_xor_b32_e32 v1, 2, v0
	v_cmp_gt_i32_e32 vcc_lo, 32, v1
	v_cndmask_b32_e32 v1, v0, v1, vcc_lo
	s_delay_alu instid0(VALU_DEP_1)
	v_lshlrev_b32_e32 v1, 2, v1
	ds_bpermute_b32 v2, v1, v87
	ds_bpermute_b32 v3, v1, v81
	;; [unrolled: 1-line block ×8, first 2 shown]
	v_xor_b32_e32 v1, 1, v0
	s_delay_alu instid0(VALU_DEP_1) | instskip(SKIP_4) | instid1(VALU_DEP_3)
	v_cmp_gt_i32_e32 vcc_lo, 32, v1
	v_cndmask_b32_e32 v0, v0, v1, vcc_lo
	v_cmp_eq_u32_e32 vcc_lo, 3, v80
	s_waitcnt lgkmcnt(6)
	v_add_f32_e32 v1, v81, v3
	v_dual_add_f32 v0, v87, v2 :: v_dual_lshlrev_b32 v15, 2, v0
	s_waitcnt lgkmcnt(5)
	v_add_f32_e32 v2, v88, v4
	s_waitcnt lgkmcnt(3)
	v_add_f32_e32 v4, v86, v6
	s_waitcnt lgkmcnt(1)
	v_dual_add_f32 v3, v82, v5 :: v_dual_add_f32 v6, v85, v8
	v_add_f32_e32 v5, v84, v7
	s_waitcnt lgkmcnt(0)
	v_add_f32_e32 v7, v83, v9
	ds_bpermute_b32 v8, v15, v0
	ds_bpermute_b32 v9, v15, v1
	;; [unrolled: 1-line block ×8, first 2 shown]
	s_and_b32 exec_lo, exec_lo, vcc_lo
	s_cbranch_execz .LBB50_13
; %bb.46:
	s_load_b64 s[2:3], s[0:1], 0x58
	s_waitcnt lgkmcnt(0)
	v_add_f32_e32 v8, v0, v8
	v_add_f32_e32 v0, v1, v9
	v_dual_add_f32 v10, v2, v10 :: v_dual_add_f32 v1, v3, v11
	v_add_f32_e32 v3, v7, v15
	v_dual_add_f32 v11, v4, v12 :: v_dual_add_f32 v2, v5, v13
	s_delay_alu instid0(VALU_DEP_4)
	v_mul_f32_e32 v5, v0, v78
	v_mul_f32_e64 v4, v0, -v79
	v_add_f32_e32 v12, v6, v14
	v_mul_f32_e64 v6, v1, -v79
	v_mul_f32_e32 v7, v1, v78
	v_mul_f32_e64 v0, v2, -v79
	v_fmac_f32_e32 v4, v78, v8
	v_mul_f32_e32 v1, v2, v78
	v_mul_f32_e64 v2, v3, -v79
	s_delay_alu instid0(VALU_DEP_4)
	v_dual_mul_f32 v3, v3, v78 :: v_dual_fmac_f32 v0, v78, v11
	v_cmp_eq_f32_e32 vcc_lo, 0, v76
	v_cmp_eq_f32_e64 s0, 0, v77
	v_fmac_f32_e32 v5, v79, v8
	v_lshlrev_b64 v[8:9], 5, v[64:65]
	v_dual_fmac_f32 v6, v78, v10 :: v_dual_fmac_f32 v1, v79, v11
	v_dual_fmac_f32 v7, v79, v10 :: v_dual_fmac_f32 v2, v78, v12
	v_fmac_f32_e32 v3, v79, v12
	s_and_b32 s0, vcc_lo, s0
	s_delay_alu instid0(SALU_CYCLE_1) | instskip(NEXT) | instid1(SALU_CYCLE_1)
	s_and_saveexec_b32 s1, s0
	s_xor_b32 s0, exec_lo, s1
; %bb.47:
	v_add_co_u32 v8, vcc_lo, s2, v8
	v_add_co_ci_u32_e32 v9, vcc_lo, s3, v9, vcc_lo
                                        ; implicit-def: $vgpr76
                                        ; implicit-def: $vgpr77
	s_clause 0x1
	global_store_b128 v[8:9], v[4:7], off
	global_store_b128 v[8:9], v[0:3], off offset:16
                                        ; implicit-def: $vgpr4
                                        ; implicit-def: $vgpr8_vgpr9
                                        ; implicit-def: $vgpr0
; %bb.48:
	s_and_not1_saveexec_b32 s0, s0
	s_cbranch_execz .LBB50_13
; %bb.49:
	v_add_co_u32 v16, vcc_lo, s2, v8
	v_add_co_ci_u32_e32 v17, vcc_lo, s3, v9, vcc_lo
	s_clause 0x1
	global_load_b128 v[8:11], v[16:17], off
	global_load_b128 v[12:15], v[16:17], off offset:16
	s_waitcnt vmcnt(1)
	v_dual_fmac_f32 v4, v76, v8 :: v_dual_fmac_f32 v7, v77, v10
	v_dual_fmac_f32 v5, v77, v8 :: v_dual_fmac_f32 v6, v76, v10
	s_waitcnt vmcnt(0)
	v_dual_fmac_f32 v0, v76, v12 :: v_dual_fmac_f32 v3, v77, v14
	v_dual_fmac_f32 v1, v77, v12 :: v_dual_fmac_f32 v2, v76, v14
	v_fma_f32 v4, -v77, v9, v4
	v_fmac_f32_e32 v5, v76, v9
	v_fma_f32 v6, -v77, v11, v6
	v_fmac_f32_e32 v7, v76, v11
	;; [unrolled: 2-line block ×4, first 2 shown]
	s_clause 0x1
	global_store_b128 v[16:17], v[4:7], off
	global_store_b128 v[16:17], v[0:3], off offset:16
	s_nop 0
	s_sendmsg sendmsg(MSG_DEALLOC_VGPRS)
	s_endpgm
	.section	.rodata,"a",@progbits
	.p2align	6, 0x0
	.amdhsa_kernel _ZN9rocsparseL18bsrxmvn_4x4_kernelILj128ELj4E21rocsparse_complex_numIfEllS2_S2_S2_EEvT3_20rocsparse_direction_NS_24const_host_device_scalarIT1_EES3_PKS3_PKT2_SC_S9_PKT4_PKT5_S7_PT6_21rocsparse_index_base_b
		.amdhsa_group_segment_fixed_size 0
		.amdhsa_private_segment_fixed_size 0
		.amdhsa_kernarg_size 104
		.amdhsa_user_sgpr_count 15
		.amdhsa_user_sgpr_dispatch_ptr 0
		.amdhsa_user_sgpr_queue_ptr 0
		.amdhsa_user_sgpr_kernarg_segment_ptr 1
		.amdhsa_user_sgpr_dispatch_id 0
		.amdhsa_user_sgpr_private_segment_size 0
		.amdhsa_wavefront_size32 1
		.amdhsa_uses_dynamic_stack 0
		.amdhsa_enable_private_segment 0
		.amdhsa_system_sgpr_workgroup_id_x 1
		.amdhsa_system_sgpr_workgroup_id_y 0
		.amdhsa_system_sgpr_workgroup_id_z 0
		.amdhsa_system_sgpr_workgroup_info 0
		.amdhsa_system_vgpr_workitem_id 0
		.amdhsa_next_free_vgpr 181
		.amdhsa_next_free_sgpr 16
		.amdhsa_reserve_vcc 1
		.amdhsa_float_round_mode_32 0
		.amdhsa_float_round_mode_16_64 0
		.amdhsa_float_denorm_mode_32 3
		.amdhsa_float_denorm_mode_16_64 3
		.amdhsa_dx10_clamp 1
		.amdhsa_ieee_mode 1
		.amdhsa_fp16_overflow 0
		.amdhsa_workgroup_processor_mode 1
		.amdhsa_memory_ordered 1
		.amdhsa_forward_progress 0
		.amdhsa_shared_vgpr_count 0
		.amdhsa_exception_fp_ieee_invalid_op 0
		.amdhsa_exception_fp_denorm_src 0
		.amdhsa_exception_fp_ieee_div_zero 0
		.amdhsa_exception_fp_ieee_overflow 0
		.amdhsa_exception_fp_ieee_underflow 0
		.amdhsa_exception_fp_ieee_inexact 0
		.amdhsa_exception_int_div_zero 0
	.end_amdhsa_kernel
	.section	.text._ZN9rocsparseL18bsrxmvn_4x4_kernelILj128ELj4E21rocsparse_complex_numIfEllS2_S2_S2_EEvT3_20rocsparse_direction_NS_24const_host_device_scalarIT1_EES3_PKS3_PKT2_SC_S9_PKT4_PKT5_S7_PT6_21rocsparse_index_base_b,"axG",@progbits,_ZN9rocsparseL18bsrxmvn_4x4_kernelILj128ELj4E21rocsparse_complex_numIfEllS2_S2_S2_EEvT3_20rocsparse_direction_NS_24const_host_device_scalarIT1_EES3_PKS3_PKT2_SC_S9_PKT4_PKT5_S7_PT6_21rocsparse_index_base_b,comdat
.Lfunc_end50:
	.size	_ZN9rocsparseL18bsrxmvn_4x4_kernelILj128ELj4E21rocsparse_complex_numIfEllS2_S2_S2_EEvT3_20rocsparse_direction_NS_24const_host_device_scalarIT1_EES3_PKS3_PKT2_SC_S9_PKT4_PKT5_S7_PT6_21rocsparse_index_base_b, .Lfunc_end50-_ZN9rocsparseL18bsrxmvn_4x4_kernelILj128ELj4E21rocsparse_complex_numIfEllS2_S2_S2_EEvT3_20rocsparse_direction_NS_24const_host_device_scalarIT1_EES3_PKS3_PKT2_SC_S9_PKT4_PKT5_S7_PT6_21rocsparse_index_base_b
                                        ; -- End function
	.section	.AMDGPU.csdata,"",@progbits
; Kernel info:
; codeLenInByte = 7272
; NumSgprs: 18
; NumVgprs: 181
; ScratchSize: 0
; MemoryBound: 0
; FloatMode: 240
; IeeeMode: 1
; LDSByteSize: 0 bytes/workgroup (compile time only)
; SGPRBlocks: 2
; VGPRBlocks: 22
; NumSGPRsForWavesPerEU: 18
; NumVGPRsForWavesPerEU: 181
; Occupancy: 8
; WaveLimiterHint : 1
; COMPUTE_PGM_RSRC2:SCRATCH_EN: 0
; COMPUTE_PGM_RSRC2:USER_SGPR: 15
; COMPUTE_PGM_RSRC2:TRAP_HANDLER: 0
; COMPUTE_PGM_RSRC2:TGID_X_EN: 1
; COMPUTE_PGM_RSRC2:TGID_Y_EN: 0
; COMPUTE_PGM_RSRC2:TGID_Z_EN: 0
; COMPUTE_PGM_RSRC2:TIDIG_COMP_CNT: 0
	.section	.text._ZN9rocsparseL18bsrxmvn_4x4_kernelILj128ELj8E21rocsparse_complex_numIfEllS2_S2_S2_EEvT3_20rocsparse_direction_NS_24const_host_device_scalarIT1_EES3_PKS3_PKT2_SC_S9_PKT4_PKT5_S7_PT6_21rocsparse_index_base_b,"axG",@progbits,_ZN9rocsparseL18bsrxmvn_4x4_kernelILj128ELj8E21rocsparse_complex_numIfEllS2_S2_S2_EEvT3_20rocsparse_direction_NS_24const_host_device_scalarIT1_EES3_PKS3_PKT2_SC_S9_PKT4_PKT5_S7_PT6_21rocsparse_index_base_b,comdat
	.globl	_ZN9rocsparseL18bsrxmvn_4x4_kernelILj128ELj8E21rocsparse_complex_numIfEllS2_S2_S2_EEvT3_20rocsparse_direction_NS_24const_host_device_scalarIT1_EES3_PKS3_PKT2_SC_S9_PKT4_PKT5_S7_PT6_21rocsparse_index_base_b ; -- Begin function _ZN9rocsparseL18bsrxmvn_4x4_kernelILj128ELj8E21rocsparse_complex_numIfEllS2_S2_S2_EEvT3_20rocsparse_direction_NS_24const_host_device_scalarIT1_EES3_PKS3_PKT2_SC_S9_PKT4_PKT5_S7_PT6_21rocsparse_index_base_b
	.p2align	8
	.type	_ZN9rocsparseL18bsrxmvn_4x4_kernelILj128ELj8E21rocsparse_complex_numIfEllS2_S2_S2_EEvT3_20rocsparse_direction_NS_24const_host_device_scalarIT1_EES3_PKS3_PKT2_SC_S9_PKT4_PKT5_S7_PT6_21rocsparse_index_base_b,@function
_ZN9rocsparseL18bsrxmvn_4x4_kernelILj128ELj8E21rocsparse_complex_numIfEllS2_S2_S2_EEvT3_20rocsparse_direction_NS_24const_host_device_scalarIT1_EES3_PKS3_PKT2_SC_S9_PKT4_PKT5_S7_PT6_21rocsparse_index_base_b: ; @_ZN9rocsparseL18bsrxmvn_4x4_kernelILj128ELj8E21rocsparse_complex_numIfEllS2_S2_S2_EEvT3_20rocsparse_direction_NS_24const_host_device_scalarIT1_EES3_PKS3_PKT2_SC_S9_PKT4_PKT5_S7_PT6_21rocsparse_index_base_b
; %bb.0:
	s_clause 0x2
	s_load_b64 s[12:13], s[0:1], 0x60
	s_load_b128 s[4:7], s[0:1], 0x10
	s_load_b64 s[2:3], s[0:1], 0x50
	s_waitcnt lgkmcnt(0)
	s_bitcmp1_b32 s13, 0
	v_mov_b32_e32 v78, s4
	s_cselect_b32 s8, -1, 0
	s_delay_alu instid0(SALU_CYCLE_1)
	s_and_b32 vcc_lo, exec_lo, s8
	s_xor_b32 s8, s8, -1
	s_cbranch_vccz .LBB51_14
; %bb.1:
	v_cndmask_b32_e64 v1, 0, 1, s8
	v_mov_b32_e32 v79, s5
	s_and_not1_b32 vcc_lo, exec_lo, s8
	s_cbranch_vccz .LBB51_15
.LBB51_2:
	s_delay_alu instid0(VALU_DEP_2)
	v_cmp_ne_u32_e32 vcc_lo, 1, v1
	v_mov_b32_e32 v76, s2
	s_cbranch_vccz .LBB51_16
.LBB51_3:
	v_cmp_ne_u32_e32 vcc_lo, 1, v1
	v_mov_b32_e32 v77, s3
	s_cbranch_vccnz .LBB51_5
.LBB51_4:
	v_dual_mov_b32 v1, s2 :: v_dual_mov_b32 v2, s3
	flat_load_b32 v77, v[1:2] offset:4
.LBB51_5:
	s_waitcnt vmcnt(0) lgkmcnt(0)
	v_cmp_eq_f32_e32 vcc_lo, 0, v78
	v_cmp_eq_f32_e64 s2, 0, v79
	s_delay_alu instid0(VALU_DEP_1)
	s_and_b32 s4, vcc_lo, s2
	s_mov_b32 s2, -1
	s_and_saveexec_b32 s3, s4
; %bb.6:
	v_cmp_neq_f32_e32 vcc_lo, 1.0, v76
	v_cmp_neq_f32_e64 s2, 0, v77
	s_delay_alu instid0(VALU_DEP_1) | instskip(NEXT) | instid1(SALU_CYCLE_1)
	s_or_b32 s2, vcc_lo, s2
	s_or_not1_b32 s2, s2, exec_lo
; %bb.7:
	s_or_b32 exec_lo, exec_lo, s3
	s_and_saveexec_b32 s3, s2
	s_cbranch_execz .LBB51_13
; %bb.8:
	s_load_b64 s[4:5], s[0:1], 0x20
	v_lshrrev_b32_e32 v1, 3, v0
	v_mov_b32_e32 v2, 0
	s_mov_b32 s8, 0
	s_delay_alu instid0(VALU_DEP_2)
	v_lshl_or_b32 v1, s15, 4, v1
	s_waitcnt lgkmcnt(0)
	s_cmp_lg_u64 s[4:5], 0
	s_cbranch_scc0 .LBB51_17
; %bb.9:
	s_delay_alu instid0(VALU_DEP_1) | instskip(SKIP_2) | instid1(SALU_CYCLE_1)
	v_cmp_gt_i64_e32 vcc_lo, s[6:7], v[1:2]
	s_mov_b32 s6, 0
                                        ; implicit-def: $vgpr64_vgpr65
	s_and_saveexec_b32 s2, vcc_lo
	s_xor_b32 s7, exec_lo, s2
                                        ; implicit-def: $sgpr2_sgpr3
	s_cbranch_execz .LBB51_11
; %bb.10:
	v_lshlrev_b64 v[3:4], 3, v[1:2]
	s_mov_b32 s8, exec_lo
	s_mov_b32 s3, 0
	s_delay_alu instid0(VALU_DEP_1) | instskip(NEXT) | instid1(VALU_DEP_2)
	v_add_co_u32 v3, vcc_lo, s4, v3
	v_add_co_ci_u32_e32 v4, vcc_lo, s5, v4, vcc_lo
	global_load_b64 v[3:4], v[3:4], off
	s_waitcnt vmcnt(0)
	v_sub_co_u32 v64, vcc_lo, v3, s12
	v_subrev_co_ci_u32_e32 v65, vcc_lo, 0, v4, vcc_lo
.LBB51_11:
	s_or_b32 exec_lo, exec_lo, s7
	s_delay_alu instid0(SALU_CYCLE_1)
	s_and_b32 vcc_lo, exec_lo, s6
	s_cbranch_vccnz .LBB51_18
.LBB51_12:
	s_and_b32 exec_lo, exec_lo, s8
	s_cbranch_execnz .LBB51_21
.LBB51_13:
	s_nop 0
	s_sendmsg sendmsg(MSG_DEALLOC_VGPRS)
	s_endpgm
.LBB51_14:
	v_dual_mov_b32 v1, s4 :: v_dual_mov_b32 v2, s5
	flat_load_b32 v78, v[1:2]
	v_cndmask_b32_e64 v1, 0, 1, s8
	v_mov_b32_e32 v79, s5
	s_and_not1_b32 vcc_lo, exec_lo, s8
	s_cbranch_vccnz .LBB51_2
.LBB51_15:
	v_dual_mov_b32 v2, s4 :: v_dual_mov_b32 v3, s5
	flat_load_b32 v79, v[2:3] offset:4
	v_cmp_ne_u32_e32 vcc_lo, 1, v1
	v_mov_b32_e32 v76, s2
	s_cbranch_vccnz .LBB51_3
.LBB51_16:
	v_dual_mov_b32 v2, s2 :: v_dual_mov_b32 v3, s3
	flat_load_b32 v76, v[2:3]
	v_cmp_ne_u32_e32 vcc_lo, 1, v1
	v_mov_b32_e32 v77, s3
	s_cbranch_vccz .LBB51_4
	s_branch .LBB51_5
.LBB51_17:
                                        ; implicit-def: $vgpr64_vgpr65
                                        ; implicit-def: $sgpr2_sgpr3
	s_cbranch_execz .LBB51_12
.LBB51_18:
	s_load_b64 s[2:3], s[0:1], 0x0
	s_mov_b32 s4, exec_lo
                                        ; implicit-def: $vgpr64_vgpr65
	s_waitcnt lgkmcnt(0)
	v_cmpx_gt_i64_e64 s[2:3], v[1:2]
                                        ; implicit-def: $sgpr2_sgpr3
; %bb.19:
	v_dual_mov_b32 v65, v2 :: v_dual_mov_b32 v64, v1
	s_mov_b32 s3, 0
	s_or_b32 s8, s8, exec_lo
; %bb.20:
	s_or_b32 exec_lo, exec_lo, s4
	s_delay_alu instid0(SALU_CYCLE_1)
	s_and_b32 exec_lo, exec_lo, s8
	s_cbranch_execz .LBB51_13
.LBB51_21:
	s_load_b256 s[4:11], s[0:1], 0x28
	v_lshlrev_b64 v[1:2], 3, v[64:65]
	v_dual_mov_b32 v81, 0 :: v_dual_and_b32 v80, 7, v0
	s_waitcnt lgkmcnt(0)
	s_delay_alu instid0(VALU_DEP_2) | instskip(NEXT) | instid1(VALU_DEP_3)
	v_add_co_u32 v3, vcc_lo, s4, v1
	v_add_co_ci_u32_e32 v4, vcc_lo, s5, v2, vcc_lo
	v_add_co_u32 v1, vcc_lo, s6, v1
	v_add_co_ci_u32_e32 v2, vcc_lo, s7, v2, vcc_lo
	s_delay_alu instid0(VALU_DEP_4)
	v_add_co_u32 v5, vcc_lo, v3, 8
	global_load_b64 v[28:29], v[3:4], off
	v_add_co_ci_u32_e32 v6, vcc_lo, 0, v4, vcc_lo
	s_cmp_eq_u64 s[6:7], 0
	s_clause 0x1
	s_load_b32 s6, s[0:1], 0x8
	s_load_b64 s[4:5], s[0:1], 0x48
	s_cselect_b32 vcc_lo, -1, 0
	v_dual_cndmask_b32 v2, v2, v6 :: v_dual_cndmask_b32 v1, v1, v5
	global_load_b64 v[1:2], v[1:2], off
	s_waitcnt lgkmcnt(0)
	s_cmp_eq_u32 s6, 1
	s_waitcnt vmcnt(1)
	v_sub_co_u32 v0, vcc_lo, v28, s12
	v_subrev_co_ci_u32_e32 v3, vcc_lo, s3, v29, vcc_lo
	s_delay_alu instid0(VALU_DEP_2) | instskip(NEXT) | instid1(VALU_DEP_2)
	v_add_co_u32 v66, vcc_lo, v0, v80
	v_add_co_ci_u32_e32 v67, vcc_lo, 0, v3, vcc_lo
	s_waitcnt vmcnt(0)
	v_sub_co_u32 v68, vcc_lo, v1, s12
	s_delay_alu instid0(VALU_DEP_2) | instskip(SKIP_1) | instid1(VALU_DEP_2)
	v_lshlrev_b64 v[0:1], 7, v[66:67]
	v_subrev_co_ci_u32_e32 v69, vcc_lo, s3, v2, vcc_lo
	v_add_co_u32 v70, vcc_lo, s10, v0
	s_delay_alu instid0(VALU_DEP_2) | instskip(NEXT) | instid1(VALU_DEP_4)
	v_cmp_lt_i64_e64 s2, v[66:67], v[68:69]
	v_add_co_ci_u32_e32 v71, vcc_lo, s11, v1, vcc_lo
	s_cbranch_scc1 .LBB51_33
; %bb.22:
	v_dual_mov_b32 v87, 0 :: v_dual_mov_b32 v86, 0
	v_dual_mov_b32 v85, 0 :: v_dual_mov_b32 v84, 0
	;; [unrolled: 1-line block ×3, first 2 shown]
	v_mov_b32_e32 v82, 0
	s_mov_b32 s6, 0
	s_and_saveexec_b32 s7, s2
	s_cbranch_execz .LBB51_32
; %bb.23:
	v_or_b32_e32 v0, 8, v80
	v_not_b32_e32 v3, v28
	v_not_b32_e32 v2, v29
	v_mov_b32_e32 v30, v70
	v_mov_b32_e32 v32, v66
	v_sub_co_u32 v0, s10, v0, s12
	s_delay_alu instid0(VALU_DEP_1) | instskip(SKIP_1) | instid1(VALU_DEP_3)
	v_sub_co_ci_u32_e64 v1, null, 0, s3, s10
	v_sub_co_u32 v4, s10, s12, v80
	v_add_co_u32 v0, vcc_lo, v0, v28
	s_delay_alu instid0(VALU_DEP_3) | instskip(SKIP_2) | instid1(VALU_DEP_3)
	v_add_co_ci_u32_e32 v1, vcc_lo, v1, v29, vcc_lo
	v_sub_co_ci_u32_e64 v5, null, s3, 0, s10
	v_dual_mov_b32 v82, 0 :: v_dual_mov_b32 v83, 0
	v_cmp_gt_i64_e32 vcc_lo, v[0:1], v[68:69]
	v_dual_mov_b32 v88, 0 :: v_dual_mov_b32 v87, 0
	v_dual_mov_b32 v84, 0 :: v_dual_mov_b32 v81, 0
	v_dual_mov_b32 v86, 0 :: v_dual_mov_b32 v31, v71
	v_dual_cndmask_b32 v1, v69, v1 :: v_dual_cndmask_b32 v0, v68, v0
	v_add_co_u32 v3, vcc_lo, v4, v3
	v_add_co_ci_u32_e32 v2, vcc_lo, v5, v2, vcc_lo
	s_mov_b32 s10, exec_lo
	s_delay_alu instid0(VALU_DEP_2) | instskip(NEXT) | instid1(VALU_DEP_2)
	v_add_co_u32 v0, vcc_lo, v3, v0
	v_add_co_ci_u32_e32 v1, vcc_lo, v2, v1, vcc_lo
	v_mov_b32_e32 v85, 0
	s_delay_alu instid0(VALU_DEP_3) | instskip(NEXT) | instid1(VALU_DEP_1)
	v_lshrrev_b32_e32 v2, 3, v0
	v_dual_mov_b32 v33, v67 :: v_dual_add_nc_u32 v2, 1, v2
	s_delay_alu instid0(VALU_DEP_1) | instskip(NEXT) | instid1(VALU_DEP_1)
	v_and_b32_e32 v2, 3, v2
	v_cmpx_ne_u32_e32 0, v2
	s_cbranch_execz .LBB51_27
; %bb.24:
	v_lshlrev_b64 v[4:5], 3, v[66:67]
	v_dual_mov_b32 v3, 0 :: v_dual_lshlrev_b32 v2, 3, v2
	v_dual_mov_b32 v32, v66 :: v_dual_mov_b32 v33, v67
	v_dual_mov_b32 v30, v70 :: v_dual_mov_b32 v31, v71
	s_delay_alu instid0(VALU_DEP_4)
	v_add_co_u32 v4, vcc_lo, s8, v4
	v_add_co_ci_u32_e32 v5, vcc_lo, s9, v5, vcc_lo
	v_mov_b32_e32 v81, v3
	v_mov_b32_e32 v87, v3
	;; [unrolled: 1-line block ×8, first 2 shown]
	s_mov_b32 s11, 0
.LBB51_25:                              ; =>This Inner Loop Header: Depth=1
	global_load_b64 v[26:27], v[4:5], off
	s_clause 0x7
	global_load_b128 v[6:9], v[30:31], off offset:48
	global_load_b128 v[10:13], v[30:31], off offset:32
	;; [unrolled: 1-line block ×3, first 2 shown]
	global_load_b128 v[18:21], v[30:31], off
	global_load_b128 v[22:25], v[30:31], off offset:112
	global_load_b128 v[34:37], v[30:31], off offset:96
	;; [unrolled: 1-line block ×4, first 2 shown]
	s_waitcnt vmcnt(8)
	v_sub_co_u32 v26, vcc_lo, v26, s12
	v_subrev_co_ci_u32_e32 v27, vcc_lo, s3, v27, vcc_lo
	s_delay_alu instid0(VALU_DEP_1) | instskip(NEXT) | instid1(VALU_DEP_1)
	v_lshlrev_b64 v[26:27], 5, v[26:27]
	v_add_co_u32 v26, vcc_lo, s4, v26
	s_delay_alu instid0(VALU_DEP_2)
	v_add_co_ci_u32_e32 v27, vcc_lo, s5, v27, vcc_lo
	v_add_co_u32 v30, vcc_lo, 0x400, v30
	v_add_co_ci_u32_e32 v31, vcc_lo, 0, v31, vcc_lo
	s_clause 0x1
	global_load_b128 v[46:49], v[26:27], off
	global_load_b128 v[50:53], v[26:27], off offset:16
	v_add_co_u32 v32, vcc_lo, v32, 8
	v_add_co_ci_u32_e32 v33, vcc_lo, 0, v33, vcc_lo
	v_add_co_u32 v2, vcc_lo, v2, -8
	v_add_co_ci_u32_e32 v3, vcc_lo, -1, v3, vcc_lo
	v_add_co_u32 v4, vcc_lo, v4, 64
	v_add_co_ci_u32_e32 v5, vcc_lo, 0, v5, vcc_lo
	s_delay_alu instid0(VALU_DEP_3)
	v_cmp_eq_u64_e32 vcc_lo, 0, v[2:3]
	s_or_b32 s11, vcc_lo, s11
	s_waitcnt vmcnt(1)
	v_fmac_f32_e32 v82, v11, v46
	v_fmac_f32_e32 v81, v19, v46
	;; [unrolled: 1-line block ×4, first 2 shown]
	s_delay_alu instid0(VALU_DEP_4) | instskip(SKIP_3) | instid1(VALU_DEP_4)
	v_fmac_f32_e32 v82, v10, v47
	v_fmac_f32_e32 v87, v18, v46
	;; [unrolled: 1-line block ×4, first 2 shown]
	v_dual_fmac_f32 v83, v34, v47 :: v_dual_fmac_f32 v82, v13, v48
	s_delay_alu instid0(VALU_DEP_4) | instskip(NEXT) | instid1(VALU_DEP_4)
	v_fma_f32 v19, -v19, v47, v87
	v_dual_fmac_f32 v81, v21, v48 :: v_dual_fmac_f32 v88, v10, v46
	s_delay_alu instid0(VALU_DEP_4) | instskip(SKIP_1) | instid1(VALU_DEP_4)
	v_fma_f32 v10, -v43, v47, v86
	v_fmac_f32_e32 v85, v34, v46
	v_dual_fmac_f32 v84, v42, v47 :: v_dual_fmac_f32 v19, v20, v48
	s_delay_alu instid0(VALU_DEP_4) | instskip(NEXT) | instid1(VALU_DEP_4)
	v_fma_f32 v11, -v11, v47, v88
	v_fmac_f32_e32 v10, v44, v48
	s_delay_alu instid0(VALU_DEP_4) | instskip(NEXT) | instid1(VALU_DEP_4)
	v_fma_f32 v18, -v35, v47, v85
	v_dual_fmac_f32 v84, v45, v48 :: v_dual_fmac_f32 v81, v20, v49
	v_dual_fmac_f32 v83, v37, v48 :: v_dual_fmac_f32 v82, v12, v49
	v_fmac_f32_e32 v11, v12, v48
	v_fma_f32 v19, -v21, v49, v19
	v_fmac_f32_e32 v18, v36, v48
	v_fma_f32 v10, -v45, v49, v10
	s_waitcnt vmcnt(0)
	v_dual_fmac_f32 v84, v44, v49 :: v_dual_fmac_f32 v81, v15, v50
	v_fmac_f32_e32 v83, v36, v49
	v_fmac_f32_e32 v19, v14, v50
	;; [unrolled: 1-line block ×3, first 2 shown]
	v_fma_f32 v12, -v37, v49, v18
	v_fmac_f32_e32 v82, v7, v50
	v_fma_f32 v11, -v13, v49, v11
	v_dual_fmac_f32 v84, v39, v50 :: v_dual_fmac_f32 v81, v14, v51
	s_delay_alu instid0(VALU_DEP_3) | instskip(NEXT) | instid1(VALU_DEP_3)
	v_dual_fmac_f32 v83, v23, v50 :: v_dual_fmac_f32 v82, v6, v51
	v_fmac_f32_e32 v11, v6, v50
	v_fma_f32 v13, -v15, v51, v19
	v_fmac_f32_e32 v12, v22, v50
	v_fma_f32 v6, -v39, v51, v10
	v_dual_fmac_f32 v84, v38, v51 :: v_dual_fmac_f32 v81, v17, v52
	v_fmac_f32_e32 v83, v22, v51
	v_fmac_f32_e32 v13, v16, v52
	s_delay_alu instid0(VALU_DEP_4) | instskip(SKIP_4) | instid1(VALU_DEP_4)
	v_fmac_f32_e32 v6, v40, v52
	v_fma_f32 v10, -v23, v51, v12
	v_fmac_f32_e32 v82, v9, v52
	v_fma_f32 v7, -v7, v51, v11
	v_dual_fmac_f32 v84, v41, v52 :: v_dual_fmac_f32 v81, v16, v53
	v_fmac_f32_e32 v10, v24, v52
	s_delay_alu instid0(VALU_DEP_4) | instskip(NEXT) | instid1(VALU_DEP_4)
	v_dual_fmac_f32 v83, v25, v52 :: v_dual_fmac_f32 v82, v8, v53
	v_fmac_f32_e32 v7, v8, v52
	v_fma_f32 v87, -v17, v53, v13
	v_fma_f32 v86, -v41, v53, v6
	v_fmac_f32_e32 v84, v40, v53
	v_fma_f32 v85, -v25, v53, v10
	v_fma_f32 v88, -v9, v53, v7
	v_fmac_f32_e32 v83, v24, v53
	s_and_not1_b32 exec_lo, exec_lo, s11
	s_cbranch_execnz .LBB51_25
; %bb.26:
	s_or_b32 exec_lo, exec_lo, s11
.LBB51_27:
	s_delay_alu instid0(SALU_CYCLE_1) | instskip(NEXT) | instid1(SALU_CYCLE_1)
	s_or_b32 exec_lo, exec_lo, s10
	s_mov_b32 s10, exec_lo
	v_cmpx_lt_u64_e32 23, v[0:1]
	s_cbranch_execz .LBB51_31
; %bb.28:
	v_lshlrev_b64 v[0:1], 3, v[32:33]
	s_mov_b32 s11, 0
	s_delay_alu instid0(VALU_DEP_1) | instskip(NEXT) | instid1(VALU_DEP_2)
	v_add_co_u32 v0, vcc_lo, v0, s8
	v_add_co_ci_u32_e32 v1, vcc_lo, s9, v1, vcc_lo
	s_delay_alu instid0(VALU_DEP_2) | instskip(NEXT) | instid1(VALU_DEP_2)
	v_add_co_u32 v34, vcc_lo, 0x80, v0
	v_add_co_ci_u32_e32 v35, vcc_lo, 0, v1, vcc_lo
.LBB51_29:                              ; =>This Inner Loop Header: Depth=1
	s_clause 0x3
	global_load_b64 v[36:37], v[34:35], off offset:-128
	global_load_b64 v[62:63], v[34:35], off offset:-64
	global_load_b64 v[157:158], v[34:35], off
	global_load_b64 v[159:160], v[34:35], off offset:64
	s_clause 0x1e
	global_load_b128 v[38:41], v[30:31], off offset:48
	global_load_b128 v[42:45], v[30:31], off offset:32
	;; [unrolled: 1-line block ×3, first 2 shown]
	global_load_b128 v[50:53], v[30:31], off
	global_load_b128 v[54:57], v[30:31], off offset:112
	global_load_b128 v[58:61], v[30:31], off offset:96
	global_load_b128 v[72:75], v[30:31], off offset:80
	global_load_b128 v[89:92], v[30:31], off offset:64
	global_load_b128 v[93:96], v[30:31], off offset:1072
	global_load_b128 v[97:100], v[30:31], off offset:1056
	global_load_b128 v[101:104], v[30:31], off offset:1040
	global_load_b128 v[105:108], v[30:31], off offset:1024
	global_load_b128 v[109:112], v[30:31], off offset:1136
	global_load_b128 v[113:116], v[30:31], off offset:1120
	global_load_b128 v[117:120], v[30:31], off offset:1104
	global_load_b128 v[121:124], v[30:31], off offset:1088
	global_load_b128 v[8:11], v[30:31], off offset:2096
	global_load_b128 v[125:128], v[30:31], off offset:2080
	global_load_b128 v[16:19], v[30:31], off offset:2064
	global_load_b128 v[129:132], v[30:31], off offset:2048
	global_load_b128 v[12:15], v[30:31], off offset:2160
	global_load_b128 v[133:136], v[30:31], off offset:2144
	global_load_b128 v[20:23], v[30:31], off offset:2128
	global_load_b128 v[137:140], v[30:31], off offset:2112
	global_load_b128 v[0:3], v[30:31], off offset:3120
	global_load_b128 v[24:27], v[30:31], off offset:3104
	global_load_b128 v[4:7], v[30:31], off offset:3088
	global_load_b128 v[141:144], v[30:31], off offset:3072
	global_load_b128 v[145:148], v[30:31], off offset:3184
	global_load_b128 v[149:152], v[30:31], off offset:3168
	global_load_b128 v[153:156], v[30:31], off offset:3136
	s_waitcnt vmcnt(34)
	v_sub_co_u32 v36, vcc_lo, v36, s12
	v_subrev_co_ci_u32_e32 v37, vcc_lo, s3, v37, vcc_lo
	s_waitcnt vmcnt(33)
	v_sub_co_u32 v62, vcc_lo, v62, s12
	v_subrev_co_ci_u32_e32 v63, vcc_lo, s3, v63, vcc_lo
	s_waitcnt vmcnt(32)
	v_sub_co_u32 v157, vcc_lo, v157, s12
	v_lshlrev_b64 v[36:37], 5, v[36:37]
	v_subrev_co_ci_u32_e32 v158, vcc_lo, s3, v158, vcc_lo
	s_waitcnt vmcnt(31)
	v_sub_co_u32 v159, vcc_lo, v159, s12
	v_lshlrev_b64 v[62:63], 5, v[62:63]
	v_subrev_co_ci_u32_e32 v160, vcc_lo, s3, v160, vcc_lo
	v_lshlrev_b64 v[157:158], 5, v[157:158]
	v_add_co_u32 v36, vcc_lo, s4, v36
	v_add_co_ci_u32_e32 v37, vcc_lo, s5, v37, vcc_lo
	s_delay_alu instid0(VALU_DEP_4)
	v_lshlrev_b64 v[159:160], 5, v[159:160]
	v_add_co_u32 v62, vcc_lo, s4, v62
	v_add_co_ci_u32_e32 v63, vcc_lo, s5, v63, vcc_lo
	v_add_co_u32 v177, vcc_lo, s4, v157
	v_add_co_ci_u32_e32 v178, vcc_lo, s5, v158, vcc_lo
	;; [unrolled: 2-line block ×3, first 2 shown]
	s_clause 0x4
	global_load_b128 v[157:160], v[36:37], off
	global_load_b128 v[161:164], v[36:37], off offset:16
	global_load_b128 v[165:168], v[62:63], off
	global_load_b128 v[169:172], v[62:63], off offset:16
	global_load_b128 v[173:176], v[177:178], off
	v_add_co_u32 v32, vcc_lo, v32, 32
	v_add_co_ci_u32_e32 v33, vcc_lo, 0, v33, vcc_lo
	s_waitcnt vmcnt(4)
	v_fmac_f32_e32 v87, v50, v157
	v_fmac_f32_e32 v82, v43, v157
	;; [unrolled: 1-line block ×5, first 2 shown]
	v_fma_f32 v36, -v51, v158, v87
	v_fmac_f32_e32 v82, v42, v158
	v_fmac_f32_e32 v81, v50, v158
	v_fma_f32 v37, -v43, v158, v88
	v_fma_f32 v62, -v90, v158, v86
	v_fmac_f32_e32 v36, v52, v159
	v_fmac_f32_e32 v82, v45, v159
	;; [unrolled: 1-line block ×5, first 2 shown]
	v_fma_f32 v36, -v53, v160, v36
	v_fmac_f32_e32 v82, v44, v160
	v_fmac_f32_e32 v81, v52, v160
	global_load_b128 v[50:53], v[177:178], off offset:16
	v_fma_f32 v37, -v45, v160, v37
	global_load_b128 v[42:45], v[179:180], off
	s_waitcnt vmcnt(5)
	v_fmac_f32_e32 v82, v39, v161
	v_fmac_f32_e32 v83, v59, v157
	v_fma_f32 v59, -v59, v158, v85
	v_fmac_f32_e32 v84, v90, v157
	v_fmac_f32_e32 v36, v46, v161
	;; [unrolled: 1-line block ×3, first 2 shown]
	v_dual_fmac_f32 v62, v91, v159 :: v_dual_fmac_f32 v83, v58, v158
	v_fmac_f32_e32 v59, v60, v159
	v_fmac_f32_e32 v81, v47, v161
	;; [unrolled: 1-line block ×3, first 2 shown]
	s_delay_alu instid0(VALU_DEP_4)
	v_fma_f32 v62, -v92, v160, v62
	v_fmac_f32_e32 v83, v61, v159
	v_fmac_f32_e32 v84, v89, v158
	global_load_b128 v[87:90], v[30:31], off offset:3152
	global_load_b128 v[177:180], v[179:180], off offset:16
	v_fma_f32 v37, -v39, v162, v37
	v_fma_f32 v58, -v61, v160, v59
	v_fmac_f32_e32 v83, v60, v160
	v_dual_fmac_f32 v84, v92, v159 :: v_dual_fmac_f32 v81, v46, v162
	s_delay_alu instid0(VALU_DEP_3) | instskip(SKIP_1) | instid1(VALU_DEP_3)
	v_dual_fmac_f32 v37, v40, v163 :: v_dual_fmac_f32 v58, v54, v161
	v_fma_f32 v36, -v47, v162, v36
	v_dual_fmac_f32 v84, v91, v160 :: v_dual_fmac_f32 v81, v49, v163
	v_fmac_f32_e32 v82, v41, v163
	s_delay_alu instid0(VALU_DEP_4) | instskip(SKIP_1) | instid1(VALU_DEP_4)
	v_fma_f32 v39, -v55, v162, v58
	v_fma_f32 v37, -v41, v164, v37
	v_fmac_f32_e32 v84, v73, v161
	v_fmac_f32_e32 v83, v55, v161
	;; [unrolled: 1-line block ×6, first 2 shown]
	v_dual_fmac_f32 v62, v72, v161 :: v_dual_fmac_f32 v83, v54, v162
	s_waitcnt vmcnt(6)
	v_fmac_f32_e32 v81, v106, v165
	v_fma_f32 v36, -v49, v164, v36
	v_dual_fmac_f32 v84, v75, v163 :: v_dual_fmac_f32 v37, v97, v165
	v_fma_f32 v38, -v73, v162, v62
	v_fmac_f32_e32 v83, v57, v163
	s_delay_alu instid0(VALU_DEP_3) | instskip(SKIP_1) | instid1(VALU_DEP_3)
	v_dual_fmac_f32 v39, v56, v163 :: v_dual_fmac_f32 v84, v74, v164
	v_dual_fmac_f32 v82, v98, v165 :: v_dual_fmac_f32 v81, v105, v166
	;; [unrolled: 1-line block ×3, first 2 shown]
	s_delay_alu instid0(VALU_DEP_3) | instskip(NEXT) | instid1(VALU_DEP_3)
	v_fma_f32 v39, -v57, v164, v39
	v_dual_fmac_f32 v36, v105, v165 :: v_dual_fmac_f32 v81, v108, v167
	s_delay_alu instid0(VALU_DEP_3) | instskip(NEXT) | instid1(VALU_DEP_4)
	v_fma_f32 v38, -v75, v164, v38
	v_dual_fmac_f32 v83, v114, v165 :: v_dual_fmac_f32 v82, v97, v166
	v_fmac_f32_e32 v84, v122, v165
	s_delay_alu instid0(VALU_DEP_4)
	v_fma_f32 v36, -v106, v166, v36
	v_fmac_f32_e32 v39, v113, v165
	v_fma_f32 v37, -v98, v166, v37
	v_fmac_f32_e32 v38, v121, v165
	v_dual_fmac_f32 v83, v113, v166 :: v_dual_fmac_f32 v82, v100, v167
	v_fmac_f32_e32 v81, v107, v168
	v_fmac_f32_e32 v36, v107, v167
	v_fma_f32 v39, -v114, v166, v39
	v_dual_fmac_f32 v84, v121, v166 :: v_dual_fmac_f32 v37, v99, v167
	v_fma_f32 v38, -v122, v166, v38
	v_dual_fmac_f32 v83, v116, v167 :: v_dual_fmac_f32 v82, v99, v168
	s_delay_alu instid0(VALU_DEP_4) | instskip(NEXT) | instid1(VALU_DEP_4)
	v_fmac_f32_e32 v39, v115, v167
	v_fmac_f32_e32 v84, v124, v167
	s_waitcnt vmcnt(5)
	v_dual_fmac_f32 v38, v123, v167 :: v_dual_fmac_f32 v81, v102, v169
	v_fma_f32 v36, -v108, v168, v36
	v_fma_f32 v37, -v100, v168, v37
	v_dual_fmac_f32 v83, v115, v168 :: v_dual_fmac_f32 v82, v94, v169
	s_delay_alu instid0(VALU_DEP_4) | instskip(SKIP_1) | instid1(VALU_DEP_4)
	v_fmac_f32_e32 v81, v101, v170
	v_fma_f32 v38, -v124, v168, v38
	v_dual_fmac_f32 v84, v123, v168 :: v_dual_fmac_f32 v37, v93, v169
	v_fma_f32 v39, -v116, v168, v39
	s_delay_alu instid0(VALU_DEP_4) | instskip(SKIP_1) | instid1(VALU_DEP_4)
	v_dual_fmac_f32 v36, v101, v169 :: v_dual_fmac_f32 v81, v104, v171
	v_dual_fmac_f32 v83, v110, v169 :: v_dual_fmac_f32 v82, v93, v170
	v_fmac_f32_e32 v84, v118, v169
	s_delay_alu instid0(VALU_DEP_3)
	v_fma_f32 v36, -v102, v170, v36
	v_fmac_f32_e32 v39, v109, v169
	v_fma_f32 v37, -v94, v170, v37
	v_fmac_f32_e32 v38, v117, v169
	v_dual_fmac_f32 v83, v109, v170 :: v_dual_fmac_f32 v82, v96, v171
	v_fmac_f32_e32 v81, v103, v172
	v_fmac_f32_e32 v36, v103, v171
	v_fma_f32 v39, -v110, v170, v39
	v_dual_fmac_f32 v84, v117, v170 :: v_dual_fmac_f32 v37, v95, v171
	v_fma_f32 v38, -v118, v170, v38
	v_dual_fmac_f32 v83, v112, v171 :: v_dual_fmac_f32 v82, v95, v172
	s_delay_alu instid0(VALU_DEP_4) | instskip(NEXT) | instid1(VALU_DEP_4)
	v_fmac_f32_e32 v39, v111, v171
	v_fmac_f32_e32 v84, v120, v171
	s_waitcnt vmcnt(4)
	v_dual_fmac_f32 v38, v119, v171 :: v_dual_fmac_f32 v81, v130, v173
	v_fma_f32 v36, -v104, v172, v36
	v_fma_f32 v37, -v96, v172, v37
	v_dual_fmac_f32 v83, v111, v172 :: v_dual_fmac_f32 v82, v126, v173
	s_delay_alu instid0(VALU_DEP_4) | instskip(SKIP_1) | instid1(VALU_DEP_4)
	v_fmac_f32_e32 v81, v129, v174
	v_fma_f32 v38, -v120, v172, v38
	v_dual_fmac_f32 v84, v119, v172 :: v_dual_fmac_f32 v37, v125, v173
	v_fma_f32 v39, -v112, v172, v39
	s_delay_alu instid0(VALU_DEP_4) | instskip(SKIP_1) | instid1(VALU_DEP_4)
	v_dual_fmac_f32 v36, v129, v173 :: v_dual_fmac_f32 v81, v132, v175
	v_dual_fmac_f32 v83, v134, v173 :: v_dual_fmac_f32 v82, v125, v174
	v_fmac_f32_e32 v84, v138, v173
	s_delay_alu instid0(VALU_DEP_3)
	v_fma_f32 v36, -v130, v174, v36
	v_fmac_f32_e32 v39, v133, v173
	v_fma_f32 v37, -v126, v174, v37
	v_fmac_f32_e32 v38, v137, v173
	v_dual_fmac_f32 v83, v133, v174 :: v_dual_fmac_f32 v82, v128, v175
	v_fmac_f32_e32 v81, v131, v176
	v_fmac_f32_e32 v36, v131, v175
	v_fma_f32 v39, -v134, v174, v39
	v_dual_fmac_f32 v84, v137, v174 :: v_dual_fmac_f32 v37, v127, v175
	v_fma_f32 v38, -v138, v174, v38
	v_dual_fmac_f32 v83, v136, v175 :: v_dual_fmac_f32 v82, v127, v176
	s_delay_alu instid0(VALU_DEP_4) | instskip(NEXT) | instid1(VALU_DEP_4)
	v_fmac_f32_e32 v39, v135, v175
	v_fmac_f32_e32 v84, v140, v175
	s_delay_alu instid0(VALU_DEP_4)
	v_fmac_f32_e32 v38, v139, v175
	v_fma_f32 v36, -v132, v176, v36
	v_fmac_f32_e32 v83, v135, v176
	v_fma_f32 v37, -v128, v176, v37
	;; [unrolled: 2-line block ×3, first 2 shown]
	v_add_co_u32 v30, vcc_lo, 0x1000, v30
	v_add_co_ci_u32_e32 v31, vcc_lo, 0, v31, vcc_lo
	v_add_co_u32 v34, vcc_lo, 0x100, v34
	v_add_co_ci_u32_e32 v35, vcc_lo, 0, v35, vcc_lo
	v_cmp_ge_i64_e32 vcc_lo, v[32:33], v[68:69]
	s_or_b32 s11, vcc_lo, s11
	s_waitcnt vmcnt(3)
	v_fmac_f32_e32 v37, v8, v50
	v_fmac_f32_e32 v81, v17, v50
	;; [unrolled: 1-line block ×4, first 2 shown]
	v_fma_f32 v38, -v140, v176, v38
	v_fma_f32 v9, -v9, v51, v37
	v_fmac_f32_e32 v81, v16, v51
	v_dual_fmac_f32 v83, v13, v50 :: v_dual_fmac_f32 v82, v8, v51
	v_fmac_f32_e32 v84, v21, v50
	v_fmac_f32_e32 v39, v12, v50
	v_fma_f32 v17, -v17, v51, v36
	s_delay_alu instid0(VALU_DEP_4) | instskip(SKIP_2) | instid1(VALU_DEP_4)
	v_dual_fmac_f32 v83, v12, v51 :: v_dual_fmac_f32 v82, v11, v52
	v_dual_fmac_f32 v38, v20, v50 :: v_dual_fmac_f32 v81, v19, v52
	;; [unrolled: 1-line block ×3, first 2 shown]
	v_fmac_f32_e32 v17, v18, v52
	s_delay_alu instid0(VALU_DEP_4) | instskip(NEXT) | instid1(VALU_DEP_4)
	v_dual_fmac_f32 v83, v15, v52 :: v_dual_fmac_f32 v82, v10, v53
	v_fma_f32 v8, -v21, v51, v38
	v_fma_f32 v13, -v13, v51, v39
	v_dual_fmac_f32 v84, v23, v52 :: v_dual_fmac_f32 v81, v18, v53
	v_fma_f32 v12, -v19, v53, v17
	s_waitcnt vmcnt(2)
	v_dual_fmac_f32 v83, v14, v53 :: v_dual_fmac_f32 v82, v25, v42
	v_fmac_f32_e32 v13, v14, v52
	v_fma_f32 v9, -v11, v53, v9
	v_fmac_f32_e32 v12, v141, v42
	v_fmac_f32_e32 v8, v22, v52
	v_dual_fmac_f32 v81, v142, v42 :: v_dual_fmac_f32 v82, v24, v43
	v_fmac_f32_e32 v84, v22, v53
	v_fma_f32 v10, -v15, v53, v13
	v_fmac_f32_e32 v9, v24, v42
	s_delay_alu instid0(VALU_DEP_4)
	v_fmac_f32_e32 v81, v141, v43
	v_fma_f32 v8, -v23, v53, v8
	v_fmac_f32_e32 v83, v150, v42
	v_fmac_f32_e32 v84, v154, v42
	v_fma_f32 v11, -v142, v43, v12
	v_dual_fmac_f32 v10, v149, v42 :: v_dual_fmac_f32 v81, v144, v44
	v_fmac_f32_e32 v8, v153, v42
	v_fma_f32 v9, -v25, v43, v9
	s_delay_alu instid0(VALU_DEP_4)
	v_fmac_f32_e32 v11, v143, v44
	v_fmac_f32_e32 v83, v149, v43
	;; [unrolled: 1-line block ×3, first 2 shown]
	v_fma_f32 v8, -v154, v43, v8
	v_fma_f32 v10, -v150, v43, v10
	v_fma_f32 v11, -v144, v45, v11
	v_fmac_f32_e32 v82, v27, v44
	v_dual_fmac_f32 v84, v156, v44 :: v_dual_fmac_f32 v81, v143, v45
	v_fmac_f32_e32 v9, v26, v44
	s_waitcnt vmcnt(0)
	v_dual_fmac_f32 v8, v155, v44 :: v_dual_fmac_f32 v11, v4, v177
	v_dual_fmac_f32 v83, v152, v44 :: v_dual_fmac_f32 v82, v26, v45
	v_fmac_f32_e32 v84, v155, v45
	v_fma_f32 v9, -v27, v45, v9
	v_dual_fmac_f32 v10, v151, v44 :: v_dual_fmac_f32 v81, v5, v177
	v_fma_f32 v8, -v156, v45, v8
	v_fmac_f32_e32 v82, v1, v177
	s_delay_alu instid0(VALU_DEP_4) | instskip(NEXT) | instid1(VALU_DEP_4)
	v_fmac_f32_e32 v9, v0, v177
	v_fma_f32 v10, -v152, v45, v10
	v_fmac_f32_e32 v81, v4, v178
	s_delay_alu instid0(VALU_DEP_4) | instskip(SKIP_2) | instid1(VALU_DEP_4)
	v_dual_fmac_f32 v83, v151, v45 :: v_dual_fmac_f32 v82, v0, v178
	v_fma_f32 v5, -v5, v178, v11
	v_fmac_f32_e32 v84, v88, v177
	v_dual_fmac_f32 v10, v145, v177 :: v_dual_fmac_f32 v81, v7, v179
	v_fma_f32 v1, -v1, v178, v9
	s_delay_alu instid0(VALU_DEP_4) | instskip(NEXT) | instid1(VALU_DEP_4)
	v_fmac_f32_e32 v5, v6, v179
	v_dual_fmac_f32 v83, v146, v177 :: v_dual_fmac_f32 v84, v87, v178
	v_fmac_f32_e32 v8, v87, v177
	v_fma_f32 v4, -v146, v178, v10
	v_dual_fmac_f32 v82, v3, v179 :: v_dual_fmac_f32 v81, v6, v180
	s_delay_alu instid0(VALU_DEP_4) | instskip(NEXT) | instid1(VALU_DEP_4)
	v_fmac_f32_e32 v83, v145, v178
	v_fma_f32 v0, -v88, v178, v8
	v_fmac_f32_e32 v84, v90, v179
	v_fmac_f32_e32 v1, v2, v179
	;; [unrolled: 1-line block ×3, first 2 shown]
	v_dual_fmac_f32 v83, v148, v179 :: v_dual_fmac_f32 v82, v2, v180
	v_fmac_f32_e32 v0, v89, v179
	v_fma_f32 v87, -v7, v180, v5
	v_fmac_f32_e32 v84, v89, v180
	s_delay_alu instid0(VALU_DEP_4)
	v_fmac_f32_e32 v83, v147, v180
	v_fma_f32 v88, -v3, v180, v1
	v_fma_f32 v86, -v90, v180, v0
	;; [unrolled: 1-line block ×3, first 2 shown]
	s_and_not1_b32 exec_lo, exec_lo, s11
	s_cbranch_execnz .LBB51_29
; %bb.30:
	s_or_b32 exec_lo, exec_lo, s11
.LBB51_31:
	s_delay_alu instid0(SALU_CYCLE_1)
	s_or_b32 exec_lo, exec_lo, s10
.LBB51_32:
	s_delay_alu instid0(SALU_CYCLE_1) | instskip(NEXT) | instid1(SALU_CYCLE_1)
	s_or_b32 exec_lo, exec_lo, s7
	s_and_not1_b32 vcc_lo, exec_lo, s6
	s_cbranch_vccz .LBB51_34
	s_branch .LBB51_45
.LBB51_33:
                                        ; implicit-def: $vgpr81
                                        ; implicit-def: $vgpr87
                                        ; implicit-def: $vgpr85
                                        ; implicit-def: $vgpr83
                                        ; implicit-def: $vgpr86
                                        ; implicit-def: $vgpr84
                                        ; implicit-def: $vgpr88
                                        ; implicit-def: $vgpr82
.LBB51_34:
	v_dual_mov_b32 v81, 0 :: v_dual_mov_b32 v86, 0
	v_dual_mov_b32 v87, 0 :: v_dual_mov_b32 v84, 0
	;; [unrolled: 1-line block ×4, first 2 shown]
	s_and_saveexec_b32 s6, s2
	s_cbranch_execz .LBB51_44
; %bb.35:
	v_or_b32_e32 v0, 8, v80
	v_not_b32_e32 v3, v28
	v_not_b32_e32 v2, v29
	v_dual_mov_b32 v82, 0 :: v_dual_mov_b32 v85, 0
	s_delay_alu instid0(VALU_DEP_4) | instskip(NEXT) | instid1(VALU_DEP_1)
	v_sub_co_u32 v0, s2, v0, s12
	v_sub_co_ci_u32_e64 v1, null, 0, s3, s2
	v_sub_co_u32 v4, s2, s12, v80
	s_delay_alu instid0(VALU_DEP_3) | instskip(NEXT) | instid1(VALU_DEP_3)
	v_add_co_u32 v0, vcc_lo, v0, v28
	v_add_co_ci_u32_e32 v1, vcc_lo, v1, v29, vcc_lo
	v_sub_co_ci_u32_e64 v5, null, s3, 0, s2
	v_dual_mov_b32 v88, 0 :: v_dual_mov_b32 v87, 0
	s_delay_alu instid0(VALU_DEP_3)
	v_cmp_gt_i64_e32 vcc_lo, v[0:1], v[68:69]
	v_dual_mov_b32 v84, 0 :: v_dual_mov_b32 v81, 0
	v_mov_b32_e32 v86, 0
	s_mov_b32 s2, exec_lo
	v_mov_b32_e32 v83, 0
	v_dual_cndmask_b32 v1, v69, v1 :: v_dual_cndmask_b32 v0, v68, v0
	v_add_co_u32 v3, vcc_lo, v4, v3
	v_add_co_ci_u32_e32 v2, vcc_lo, v5, v2, vcc_lo
	s_delay_alu instid0(VALU_DEP_2) | instskip(NEXT) | instid1(VALU_DEP_2)
	v_add_co_u32 v0, vcc_lo, v3, v0
	v_add_co_ci_u32_e32 v1, vcc_lo, v2, v1, vcc_lo
	s_delay_alu instid0(VALU_DEP_2) | instskip(NEXT) | instid1(VALU_DEP_1)
	v_lshrrev_b32_e32 v2, 3, v0
	v_add_nc_u32_e32 v2, 1, v2
	s_delay_alu instid0(VALU_DEP_1) | instskip(NEXT) | instid1(VALU_DEP_1)
	v_and_b32_e32 v2, 3, v2
	v_cmpx_ne_u32_e32 0, v2
	s_cbranch_execz .LBB51_39
; %bb.36:
	v_lshlrev_b64 v[4:5], 3, v[66:67]
	v_dual_mov_b32 v3, 0 :: v_dual_lshlrev_b32 v2, 3, v2
	s_mov_b32 s7, 0
	s_delay_alu instid0(VALU_DEP_1) | instskip(NEXT) | instid1(VALU_DEP_3)
	v_mov_b32_e32 v81, v3
	v_add_co_u32 v4, vcc_lo, s8, v4
	s_delay_alu instid0(VALU_DEP_4)
	v_add_co_ci_u32_e32 v5, vcc_lo, s9, v5, vcc_lo
	v_mov_b32_e32 v87, v3
	v_mov_b32_e32 v85, v3
	;; [unrolled: 1-line block ×7, first 2 shown]
.LBB51_37:                              ; =>This Inner Loop Header: Depth=1
	global_load_b64 v[18:19], v[4:5], off
	s_clause 0x2
	global_load_b128 v[6:9], v[70:71], off offset:32
	global_load_b128 v[10:13], v[70:71], off offset:16
	global_load_b128 v[14:17], v[70:71], off
	s_waitcnt vmcnt(3)
	v_sub_co_u32 v18, vcc_lo, v18, s12
	v_subrev_co_ci_u32_e32 v19, vcc_lo, s3, v19, vcc_lo
	s_delay_alu instid0(VALU_DEP_1) | instskip(NEXT) | instid1(VALU_DEP_1)
	v_lshlrev_b64 v[18:19], 5, v[18:19]
	v_add_co_u32 v22, vcc_lo, s4, v18
	s_delay_alu instid0(VALU_DEP_2)
	v_add_co_ci_u32_e32 v23, vcc_lo, s5, v19, vcc_lo
	s_clause 0x1
	global_load_b128 v[18:21], v[22:23], off
	global_load_b128 v[22:25], v[22:23], off offset:16
	s_clause 0x4
	global_load_b128 v[26:29], v[70:71], off offset:48
	global_load_b128 v[30:33], v[70:71], off offset:64
	global_load_b128 v[34:37], v[70:71], off offset:80
	global_load_b128 v[38:41], v[70:71], off offset:96
	global_load_b128 v[42:45], v[70:71], off offset:112
	v_add_co_u32 v70, vcc_lo, 0x400, v70
	v_add_co_ci_u32_e32 v71, vcc_lo, 0, v71, vcc_lo
	v_add_co_u32 v66, vcc_lo, v66, 8
	v_add_co_ci_u32_e32 v67, vcc_lo, 0, v67, vcc_lo
	v_add_co_u32 v2, vcc_lo, v2, -8
	v_add_co_ci_u32_e32 v3, vcc_lo, -1, v3, vcc_lo
	v_add_co_u32 v4, vcc_lo, v4, 64
	v_add_co_ci_u32_e32 v5, vcc_lo, 0, v5, vcc_lo
	s_delay_alu instid0(VALU_DEP_3)
	v_cmp_eq_u64_e32 vcc_lo, 0, v[2:3]
	s_or_b32 s7, vcc_lo, s7
	s_waitcnt vmcnt(6)
	v_fmac_f32_e32 v83, v13, v18
	v_fmac_f32_e32 v82, v17, v18
	;; [unrolled: 1-line block ×4, first 2 shown]
	s_delay_alu instid0(VALU_DEP_4) | instskip(NEXT) | instid1(VALU_DEP_4)
	v_fmac_f32_e32 v83, v12, v19
	v_dual_fmac_f32 v87, v14, v18 :: v_dual_fmac_f32 v82, v16, v19
	v_fmac_f32_e32 v85, v12, v18
	s_delay_alu instid0(VALU_DEP_2) | instskip(NEXT) | instid1(VALU_DEP_3)
	v_fma_f32 v15, -v15, v19, v87
	v_fmac_f32_e32 v82, v9, v20
	s_delay_alu instid0(VALU_DEP_2)
	v_fmac_f32_e32 v15, v6, v20
	v_fmac_f32_e32 v84, v10, v19
	v_dual_fmac_f32 v88, v16, v18 :: v_dual_fmac_f32 v81, v14, v19
	v_fmac_f32_e32 v86, v10, v18
	v_fma_f32 v10, -v13, v19, v85
	v_fmac_f32_e32 v82, v8, v21
	s_delay_alu instid0(VALU_DEP_4)
	v_fma_f32 v14, -v17, v19, v88
	v_fmac_f32_e32 v81, v7, v20
	v_fma_f32 v11, -v11, v19, v86
	s_waitcnt vmcnt(4)
	v_fmac_f32_e32 v84, v27, v20
	v_fma_f32 v7, -v7, v21, v15
	v_dual_fmac_f32 v14, v8, v20 :: v_dual_fmac_f32 v81, v6, v21
	v_fmac_f32_e32 v11, v26, v20
	s_delay_alu instid0(VALU_DEP_4) | instskip(NEXT) | instid1(VALU_DEP_3)
	v_dual_fmac_f32 v83, v29, v20 :: v_dual_fmac_f32 v84, v26, v21
	v_fma_f32 v6, -v9, v21, v14
	s_waitcnt vmcnt(3)
	v_fmac_f32_e32 v82, v33, v22
	v_dual_fmac_f32 v10, v28, v20 :: v_dual_fmac_f32 v7, v30, v22
	v_fmac_f32_e32 v83, v28, v21
	s_delay_alu instid0(VALU_DEP_3) | instskip(SKIP_3) | instid1(VALU_DEP_4)
	v_dual_fmac_f32 v81, v31, v22 :: v_dual_fmac_f32 v82, v32, v23
	v_fmac_f32_e32 v6, v32, v22
	v_fma_f32 v8, -v27, v21, v11
	v_fma_f32 v9, -v29, v21, v10
	v_fmac_f32_e32 v81, v30, v23
	v_fma_f32 v7, -v31, v23, v7
	v_fma_f32 v6, -v33, v23, v6
	s_waitcnt vmcnt(2)
	v_fmac_f32_e32 v84, v35, v22
	v_fmac_f32_e32 v83, v37, v22
	s_waitcnt vmcnt(1)
	v_fmac_f32_e32 v82, v41, v24
	v_fmac_f32_e32 v7, v38, v24
	v_dual_fmac_f32 v9, v36, v22 :: v_dual_fmac_f32 v84, v34, v23
	v_fmac_f32_e32 v6, v40, v24
	v_dual_fmac_f32 v8, v34, v22 :: v_dual_fmac_f32 v83, v36, v23
	s_delay_alu instid0(VALU_DEP_3) | instskip(SKIP_1) | instid1(VALU_DEP_3)
	v_fma_f32 v9, -v37, v23, v9
	v_dual_fmac_f32 v81, v39, v24 :: v_dual_fmac_f32 v82, v40, v25
	v_fma_f32 v8, -v35, v23, v8
	s_waitcnt vmcnt(0)
	v_fmac_f32_e32 v84, v43, v24
	v_fmac_f32_e32 v9, v44, v24
	;; [unrolled: 1-line block ×3, first 2 shown]
	v_fma_f32 v87, -v39, v25, v7
	v_fmac_f32_e32 v8, v42, v24
	v_fmac_f32_e32 v81, v38, v25
	v_fma_f32 v88, -v41, v25, v6
	v_fmac_f32_e32 v83, v44, v25
	v_fmac_f32_e32 v84, v42, v25
	v_fma_f32 v86, -v43, v25, v8
	v_fma_f32 v85, -v45, v25, v9
	s_and_not1_b32 exec_lo, exec_lo, s7
	s_cbranch_execnz .LBB51_37
; %bb.38:
	s_or_b32 exec_lo, exec_lo, s7
.LBB51_39:
	s_delay_alu instid0(SALU_CYCLE_1) | instskip(NEXT) | instid1(SALU_CYCLE_1)
	s_or_b32 exec_lo, exec_lo, s2
	s_mov_b32 s2, exec_lo
	v_cmpx_lt_u64_e32 23, v[0:1]
	s_cbranch_execz .LBB51_43
; %bb.40:
	v_lshlrev_b64 v[0:1], 3, v[66:67]
	s_mov_b32 s7, 0
	s_delay_alu instid0(VALU_DEP_1) | instskip(NEXT) | instid1(VALU_DEP_2)
	v_add_co_u32 v0, vcc_lo, v0, s8
	v_add_co_ci_u32_e32 v1, vcc_lo, s9, v1, vcc_lo
	s_delay_alu instid0(VALU_DEP_2) | instskip(NEXT) | instid1(VALU_DEP_2)
	v_add_co_u32 v72, vcc_lo, 0x80, v0
	v_add_co_ci_u32_e32 v73, vcc_lo, 0, v1, vcc_lo
.LBB51_41:                              ; =>This Inner Loop Header: Depth=1
	global_load_b64 v[74:75], v[72:73], off offset:-128
	s_clause 0xf
	global_load_b128 v[8:11], v[70:71], off offset:48
	global_load_b128 v[52:55], v[70:71], off offset:32
	;; [unrolled: 1-line block ×3, first 2 shown]
	global_load_b128 v[60:63], v[70:71], off
	global_load_b128 v[28:31], v[70:71], off offset:112
	global_load_b128 v[36:39], v[70:71], off offset:96
	;; [unrolled: 1-line block ×12, first 2 shown]
	s_clause 0x2
	global_load_b64 v[141:142], v[72:73], off offset:-64
	global_load_b64 v[143:144], v[72:73], off
	global_load_b64 v[145:146], v[72:73], off offset:64
	s_clause 0xa
	global_load_b128 v[89:92], v[70:71], off offset:2096
	global_load_b128 v[93:96], v[70:71], off offset:2080
	;; [unrolled: 1-line block ×11, first 2 shown]
	s_waitcnt vmcnt(30)
	v_sub_co_u32 v74, vcc_lo, v74, s12
	v_subrev_co_ci_u32_e32 v75, vcc_lo, s3, v75, vcc_lo
	s_delay_alu instid0(VALU_DEP_1) | instskip(NEXT) | instid1(VALU_DEP_1)
	v_lshlrev_b64 v[74:75], 5, v[74:75]
	v_add_co_u32 v74, vcc_lo, s4, v74
	s_delay_alu instid0(VALU_DEP_2)
	v_add_co_ci_u32_e32 v75, vcc_lo, s5, v75, vcc_lo
	s_clause 0x1
	global_load_b128 v[133:136], v[74:75], off
	global_load_b128 v[137:140], v[74:75], off offset:16
	s_waitcnt vmcnt(1)
	v_fmac_f32_e32 v83, v59, v133
	v_fmac_f32_e32 v84, v57, v133
	;; [unrolled: 1-line block ×4, first 2 shown]
	s_delay_alu instid0(VALU_DEP_4) | instskip(NEXT) | instid1(VALU_DEP_4)
	v_fmac_f32_e32 v83, v58, v134
	v_fmac_f32_e32 v84, v56, v134
	s_delay_alu instid0(VALU_DEP_4) | instskip(NEXT) | instid1(VALU_DEP_4)
	v_dual_fmac_f32 v87, v60, v133 :: v_dual_fmac_f32 v82, v62, v134
	v_dual_fmac_f32 v88, v62, v133 :: v_dual_fmac_f32 v81, v60, v134
	v_fmac_f32_e32 v86, v56, v133
	s_delay_alu instid0(VALU_DEP_3) | instskip(SKIP_1) | instid1(VALU_DEP_4)
	v_fma_f32 v74, -v61, v134, v87
	v_fmac_f32_e32 v85, v58, v133
	v_fma_f32 v75, -v63, v134, v88
	v_fmac_f32_e32 v81, v53, v135
	;; [unrolled: 2-line block ×4, first 2 shown]
	v_dual_fmac_f32 v82, v55, v135 :: v_dual_fmac_f32 v81, v52, v136
	s_delay_alu instid0(VALU_DEP_4) | instskip(SKIP_1) | instid1(VALU_DEP_4)
	v_fma_f32 v148, -v53, v136, v74
	v_sub_co_u32 v74, vcc_lo, v141, s12
	v_fma_f32 v149, -v55, v136, v75
	v_subrev_co_ci_u32_e32 v75, vcc_lo, s3, v142, vcc_lo
	v_sub_co_u32 v85, vcc_lo, v143, s12
	v_subrev_co_ci_u32_e32 v86, vcc_lo, s3, v144, vcc_lo
	v_sub_co_u32 v87, vcc_lo, v145, s12
	s_delay_alu instid0(VALU_DEP_4) | instskip(SKIP_1) | instid1(VALU_DEP_4)
	v_lshlrev_b64 v[74:75], 5, v[74:75]
	v_subrev_co_ci_u32_e32 v88, vcc_lo, s3, v146, vcc_lo
	v_lshlrev_b64 v[85:86], 5, v[85:86]
	s_waitcnt vmcnt(0)
	v_dual_fmac_f32 v83, v11, v135 :: v_dual_fmac_f32 v148, v48, v137
	s_delay_alu instid0(VALU_DEP_3)
	v_lshlrev_b64 v[87:88], 5, v[87:88]
	v_add_co_u32 v74, vcc_lo, s4, v74
	v_add_co_ci_u32_e32 v75, vcc_lo, s5, v75, vcc_lo
	v_fmac_f32_e32 v82, v54, v136
	v_add_co_u32 v141, vcc_lo, s4, v85
	v_fmac_f32_e32 v133, v8, v135
	v_dual_fmac_f32 v84, v9, v135 :: v_dual_fmac_f32 v83, v10, v136
	v_fmac_f32_e32 v147, v10, v135
	v_add_co_ci_u32_e32 v142, vcc_lo, s5, v86, vcc_lo
	s_delay_alu instid0(VALU_DEP_3)
	v_fmac_f32_e32 v84, v8, v136
	v_add_co_u32 v143, vcc_lo, s4, v87
	s_clause 0x2
	global_load_b128 v[60:63], v[70:71], off offset:3072
	global_load_b128 v[56:59], v[70:71], off offset:3136
	;; [unrolled: 1-line block ×3, first 2 shown]
	v_add_co_ci_u32_e32 v144, vcc_lo, s5, v88, vcc_lo
	v_fma_f32 v146, -v11, v136, v147
	v_fmac_f32_e32 v82, v51, v137
	v_fma_f32 v145, -v9, v136, v133
	s_clause 0x2
	global_load_b128 v[8:11], v[74:75], off
	global_load_b128 v[85:88], v[74:75], off offset:16
	global_load_b128 v[133:136], v[141:142], off
	v_fmac_f32_e32 v81, v49, v137
	v_fmac_f32_e32 v84, v45, v137
	;; [unrolled: 1-line block ×4, first 2 shown]
	v_fma_f32 v74, -v49, v138, v148
	v_fmac_f32_e32 v81, v48, v138
	v_fmac_f32_e32 v84, v44, v138
	v_dual_fmac_f32 v145, v44, v137 :: v_dual_fmac_f32 v82, v39, v139
	v_fma_f32 v75, -v51, v138, v149
	global_load_b128 v[48:51], v[141:142], off offset:16
	v_dual_fmac_f32 v146, v46, v137 :: v_dual_fmac_f32 v81, v37, v139
	v_dual_fmac_f32 v83, v47, v137 :: v_dual_fmac_f32 v74, v36, v139
	v_fma_f32 v137, -v45, v138, v145
	s_delay_alu instid0(VALU_DEP_3) | instskip(SKIP_1) | instid1(VALU_DEP_4)
	v_fma_f32 v145, -v47, v138, v146
	v_fmac_f32_e32 v82, v38, v140
	v_dual_fmac_f32 v83, v46, v138 :: v_dual_fmac_f32 v84, v29, v139
	global_load_b128 v[44:47], v[143:144], off
	v_fmac_f32_e32 v75, v38, v139
	v_fma_f32 v74, -v37, v140, v74
	v_fmac_f32_e32 v137, v28, v139
	v_dual_fmac_f32 v84, v28, v140 :: v_dual_fmac_f32 v145, v30, v139
	s_delay_alu instid0(VALU_DEP_4) | instskip(SKIP_1) | instid1(VALU_DEP_4)
	v_fma_f32 v75, -v39, v140, v75
	v_fmac_f32_e32 v83, v31, v139
	v_fma_f32 v137, -v29, v140, v137
	s_waitcnt vmcnt(4)
	v_fmac_f32_e32 v84, v13, v8
	v_fmac_f32_e32 v82, v19, v8
	;; [unrolled: 1-line block ×3, first 2 shown]
	global_load_b128 v[36:39], v[70:71], off offset:3168
	global_load_b128 v[141:144], v[143:144], off offset:16
	v_dual_fmac_f32 v83, v30, v140 :: v_dual_fmac_f32 v84, v12, v9
	v_fmac_f32_e32 v74, v16, v8
	v_fma_f32 v138, -v31, v140, v145
	global_load_b128 v[28:31], v[70:71], off offset:3184
	v_fmac_f32_e32 v137, v12, v8
	v_dual_fmac_f32 v83, v15, v8 :: v_dual_fmac_f32 v84, v1, v10
	v_fmac_f32_e32 v138, v14, v8
	v_dual_fmac_f32 v82, v18, v9 :: v_dual_fmac_f32 v81, v17, v8
	v_fmac_f32_e32 v75, v18, v8
	v_fma_f32 v8, -v17, v9, v74
	v_dual_fmac_f32 v83, v14, v9 :: v_dual_fmac_f32 v84, v0, v11
	s_delay_alu instid0(VALU_DEP_4) | instskip(SKIP_1) | instid1(VALU_DEP_4)
	v_fmac_f32_e32 v82, v7, v10
	v_add_co_u32 v70, vcc_lo, 0x1000, v70
	v_fmac_f32_e32 v8, v4, v10
	v_fmac_f32_e32 v81, v16, v9
	v_fma_f32 v16, -v19, v9, v75
	v_fmac_f32_e32 v82, v6, v11
	s_waitcnt vmcnt(6)
	v_fmac_f32_e32 v84, v33, v85
	v_add_co_ci_u32_e32 v71, vcc_lo, 0, v71, vcc_lo
	v_fmac_f32_e32 v81, v5, v10
	v_fma_f32 v12, -v15, v9, v138
	v_fmac_f32_e32 v16, v6, v10
	v_fma_f32 v13, -v13, v9, v137
	v_fma_f32 v5, -v5, v11, v8
	s_delay_alu instid0(VALU_DEP_4) | instskip(NEXT) | instid1(VALU_DEP_4)
	v_dual_fmac_f32 v81, v4, v11 :: v_dual_fmac_f32 v12, v2, v10
	v_fma_f32 v4, -v7, v11, v16
	s_delay_alu instid0(VALU_DEP_4)
	v_fmac_f32_e32 v13, v0, v10
	v_fmac_f32_e32 v83, v3, v10
	v_fmac_f32_e32 v82, v43, v85
	v_fmac_f32_e32 v5, v40, v85
	v_fmac_f32_e32 v4, v42, v85
	v_fma_f32 v1, -v1, v11, v13
	v_fmac_f32_e32 v83, v2, v11
	v_fma_f32 v0, -v3, v11, v12
	v_dual_fmac_f32 v81, v41, v85 :: v_dual_fmac_f32 v84, v32, v86
	s_delay_alu instid0(VALU_DEP_4) | instskip(SKIP_2) | instid1(VALU_DEP_4)
	v_dual_fmac_f32 v82, v42, v86 :: v_dual_fmac_f32 v1, v32, v85
	v_fma_f32 v2, -v41, v86, v5
	v_fmac_f32_e32 v83, v35, v85
	v_dual_fmac_f32 v81, v40, v86 :: v_dual_fmac_f32 v0, v34, v85
	s_delay_alu instid0(VALU_DEP_4) | instskip(SKIP_2) | instid1(VALU_DEP_4)
	v_fmac_f32_e32 v82, v27, v87
	v_fma_f32 v1, -v33, v86, v1
	v_fmac_f32_e32 v2, v24, v87
	v_fmac_f32_e32 v81, v25, v87
	v_dual_fmac_f32 v83, v34, v86 :: v_dual_fmac_f32 v84, v21, v87
	v_fma_f32 v3, -v43, v86, v4
	v_fma_f32 v0, -v35, v86, v0
	v_dual_fmac_f32 v1, v20, v87 :: v_dual_fmac_f32 v82, v26, v88
	v_fma_f32 v2, -v25, v88, v2
	v_fmac_f32_e32 v83, v23, v87
	v_dual_fmac_f32 v3, v26, v87 :: v_dual_fmac_f32 v84, v20, v88
	v_dual_fmac_f32 v0, v22, v87 :: v_dual_fmac_f32 v81, v24, v88
	s_waitcnt vmcnt(5)
	s_delay_alu instid0(VALU_DEP_3) | instskip(SKIP_4) | instid1(VALU_DEP_4)
	v_dual_fmac_f32 v2, v101, v133 :: v_dual_fmac_f32 v83, v22, v88
	v_fmac_f32_e32 v82, v104, v133
	v_fma_f32 v3, -v27, v88, v3
	v_fma_f32 v1, -v21, v88, v1
	;; [unrolled: 1-line block ×3, first 2 shown]
	v_dual_fmac_f32 v81, v102, v133 :: v_dual_fmac_f32 v82, v103, v134
	v_fmac_f32_e32 v84, v98, v133
	s_delay_alu instid0(VALU_DEP_4)
	v_fmac_f32_e32 v1, v97, v133
	v_fma_f32 v2, -v102, v134, v2
	v_fmac_f32_e32 v83, v100, v133
	v_fmac_f32_e32 v81, v101, v134
	v_dual_fmac_f32 v3, v103, v133 :: v_dual_fmac_f32 v84, v97, v134
	v_fmac_f32_e32 v0, v99, v133
	v_fmac_f32_e32 v2, v93, v135
	s_delay_alu instid0(VALU_DEP_4) | instskip(NEXT) | instid1(VALU_DEP_4)
	v_fmac_f32_e32 v81, v94, v135
	v_fma_f32 v3, -v104, v134, v3
	v_dual_fmac_f32 v83, v99, v134 :: v_dual_fmac_f32 v84, v90, v135
	v_fma_f32 v0, -v100, v134, v0
	v_fmac_f32_e32 v82, v96, v135
	v_fma_f32 v1, -v98, v134, v1
	s_delay_alu instid0(VALU_DEP_4) | instskip(NEXT) | instid1(VALU_DEP_4)
	v_dual_fmac_f32 v3, v95, v135 :: v_dual_fmac_f32 v84, v89, v136
	v_dual_fmac_f32 v0, v91, v135 :: v_dual_fmac_f32 v81, v93, v136
	s_delay_alu instid0(VALU_DEP_3) | instskip(SKIP_3) | instid1(VALU_DEP_4)
	v_dual_fmac_f32 v1, v89, v135 :: v_dual_fmac_f32 v82, v95, v136
	v_fma_f32 v2, -v94, v136, v2
	v_fmac_f32_e32 v83, v92, v135
	v_fma_f32 v3, -v96, v136, v3
	v_fma_f32 v1, -v90, v136, v1
	;; [unrolled: 1-line block ×3, first 2 shown]
	s_waitcnt vmcnt(4)
	v_fmac_f32_e32 v2, v117, v48
	v_fmac_f32_e32 v82, v120, v48
	;; [unrolled: 1-line block ×5, first 2 shown]
	v_fma_f32 v2, -v118, v49, v2
	v_fmac_f32_e32 v3, v119, v48
	v_dual_fmac_f32 v82, v119, v49 :: v_dual_fmac_f32 v1, v113, v48
	v_dual_fmac_f32 v81, v117, v49 :: v_dual_fmac_f32 v0, v115, v48
	;; [unrolled: 1-line block ×3, first 2 shown]
	v_fmac_f32_e32 v2, v109, v50
	v_fma_f32 v3, -v120, v49, v3
	s_delay_alu instid0(VALU_DEP_4) | instskip(NEXT) | instid1(VALU_DEP_4)
	v_fmac_f32_e32 v81, v110, v50
	v_fmac_f32_e32 v84, v106, v50
	v_fma_f32 v0, -v116, v49, v0
	v_dual_fmac_f32 v83, v115, v49 :: v_dual_fmac_f32 v82, v112, v50
	v_fma_f32 v1, -v114, v49, v1
	s_delay_alu instid0(VALU_DEP_4) | instskip(NEXT) | instid1(VALU_DEP_4)
	v_dual_fmac_f32 v3, v111, v50 :: v_dual_fmac_f32 v84, v105, v51
	v_dual_fmac_f32 v0, v107, v50 :: v_dual_fmac_f32 v81, v109, v51
	s_delay_alu instid0(VALU_DEP_3) | instskip(SKIP_3) | instid1(VALU_DEP_4)
	v_dual_fmac_f32 v1, v105, v50 :: v_dual_fmac_f32 v82, v111, v51
	v_fmac_f32_e32 v83, v108, v50
	v_fma_f32 v2, -v110, v51, v2
	v_fma_f32 v3, -v112, v51, v3
	v_fma_f32 v1, -v106, v51, v1
	s_waitcnt vmcnt(3)
	v_fmac_f32_e32 v82, v63, v44
	v_fma_f32 v0, -v108, v51, v0
	v_dual_fmac_f32 v83, v107, v51 :: v_dual_fmac_f32 v2, v60, v44
	s_delay_alu instid0(VALU_DEP_3) | instskip(SKIP_2) | instid1(VALU_DEP_4)
	v_dual_fmac_f32 v81, v61, v44 :: v_dual_fmac_f32 v82, v62, v45
	v_fmac_f32_e32 v1, v129, v44
	v_fmac_f32_e32 v84, v130, v44
	v_fma_f32 v2, -v61, v45, v2
	s_delay_alu instid0(VALU_DEP_4) | instskip(SKIP_2) | instid1(VALU_DEP_4)
	v_fmac_f32_e32 v81, v60, v45
	v_fmac_f32_e32 v3, v62, v44
	;; [unrolled: 1-line block ×3, first 2 shown]
	v_dual_fmac_f32 v83, v132, v44 :: v_dual_fmac_f32 v2, v125, v46
	v_fmac_f32_e32 v84, v129, v45
	s_delay_alu instid0(VALU_DEP_4) | instskip(SKIP_2) | instid1(VALU_DEP_4)
	v_fma_f32 v3, -v63, v45, v3
	v_fmac_f32_e32 v81, v126, v46
	v_fma_f32 v0, -v132, v45, v0
	v_dual_fmac_f32 v83, v131, v45 :: v_dual_fmac_f32 v84, v122, v46
	v_fmac_f32_e32 v82, v128, v46
	v_fma_f32 v1, -v130, v45, v1
	v_fmac_f32_e32 v3, v127, v46
	v_dual_fmac_f32 v0, v123, v46 :: v_dual_fmac_f32 v81, v125, v47
	v_fma_f32 v2, -v126, v47, v2
	s_delay_alu instid0(VALU_DEP_4) | instskip(SKIP_2) | instid1(VALU_DEP_3)
	v_dual_fmac_f32 v1, v121, v46 :: v_dual_fmac_f32 v82, v127, v47
	v_dual_fmac_f32 v83, v124, v46 :: v_dual_fmac_f32 v84, v121, v47
	v_fma_f32 v3, -v128, v47, v3
	v_fma_f32 v1, -v122, v47, v1
	;; [unrolled: 1-line block ×3, first 2 shown]
	v_add_co_u32 v66, vcc_lo, v66, 32
	v_add_co_ci_u32_e32 v67, vcc_lo, 0, v67, vcc_lo
	v_add_co_u32 v72, vcc_lo, 0x100, v72
	v_add_co_ci_u32_e32 v73, vcc_lo, 0, v73, vcc_lo
	s_delay_alu instid0(VALU_DEP_3) | instskip(SKIP_4) | instid1(VALU_DEP_2)
	v_cmp_ge_i64_e32 vcc_lo, v[66:67], v[68:69]
	s_or_b32 s7, vcc_lo, s7
	s_waitcnt vmcnt(1)
	v_fmac_f32_e32 v82, v59, v141
	v_dual_fmac_f32 v83, v123, v47 :: v_dual_fmac_f32 v2, v56, v141
	v_dual_fmac_f32 v81, v57, v141 :: v_dual_fmac_f32 v82, v58, v142
	v_fmac_f32_e32 v1, v52, v141
	s_delay_alu instid0(VALU_DEP_2) | instskip(SKIP_3) | instid1(VALU_DEP_4)
	v_dual_fmac_f32 v84, v53, v141 :: v_dual_fmac_f32 v81, v56, v142
	v_fmac_f32_e32 v3, v58, v141
	v_fmac_f32_e32 v0, v54, v141
	v_fma_f32 v2, -v57, v142, v2
	v_dual_fmac_f32 v83, v55, v141 :: v_dual_fmac_f32 v84, v52, v142
	s_delay_alu instid0(VALU_DEP_4) | instskip(SKIP_1) | instid1(VALU_DEP_4)
	v_fma_f32 v3, -v59, v142, v3
	v_fmac_f32_e32 v81, v37, v143
	v_fmac_f32_e32 v2, v36, v143
	v_fma_f32 v0, -v55, v142, v0
	s_waitcnt vmcnt(0)
	v_dual_fmac_f32 v83, v54, v142 :: v_dual_fmac_f32 v84, v29, v143
	v_fmac_f32_e32 v82, v39, v143
	v_fma_f32 v1, -v53, v142, v1
	v_fmac_f32_e32 v3, v38, v143
	v_dual_fmac_f32 v0, v30, v143 :: v_dual_fmac_f32 v81, v36, v144
	v_fmac_f32_e32 v83, v31, v143
	s_delay_alu instid0(VALU_DEP_4) | instskip(SKIP_3) | instid1(VALU_DEP_4)
	v_dual_fmac_f32 v1, v28, v143 :: v_dual_fmac_f32 v82, v38, v144
	v_fma_f32 v87, -v37, v144, v2
	v_fmac_f32_e32 v84, v28, v144
	v_fma_f32 v88, -v39, v144, v3
	v_fma_f32 v86, -v29, v144, v1
	;; [unrolled: 1-line block ×3, first 2 shown]
	v_fmac_f32_e32 v83, v30, v144
	s_and_not1_b32 exec_lo, exec_lo, s7
	s_cbranch_execnz .LBB51_41
; %bb.42:
	s_or_b32 exec_lo, exec_lo, s7
.LBB51_43:
	s_delay_alu instid0(SALU_CYCLE_1)
	s_or_b32 exec_lo, exec_lo, s2
.LBB51_44:
	s_delay_alu instid0(SALU_CYCLE_1)
	s_or_b32 exec_lo, exec_lo, s6
.LBB51_45:
	v_mbcnt_lo_u32_b32 v0, -1, 0
	s_delay_alu instid0(VALU_DEP_1) | instskip(SKIP_2) | instid1(VALU_DEP_3)
	v_xor_b32_e32 v1, 4, v0
	v_xor_b32_e32 v9, 2, v0
	;; [unrolled: 1-line block ×3, first 2 shown]
	v_cmp_gt_i32_e32 vcc_lo, 32, v1
	v_cndmask_b32_e32 v1, v0, v1, vcc_lo
	s_delay_alu instid0(VALU_DEP_4) | instskip(NEXT) | instid1(VALU_DEP_2)
	v_cmp_gt_i32_e32 vcc_lo, 32, v9
	v_lshlrev_b32_e32 v1, 2, v1
	ds_bpermute_b32 v4, v1, v88
	s_waitcnt lgkmcnt(0)
	v_add_f32_e32 v4, v88, v4
	ds_bpermute_b32 v2, v1, v87
	ds_bpermute_b32 v6, v1, v86
	;; [unrolled: 1-line block ×7, first 2 shown]
	v_cndmask_b32_e32 v9, v0, v9, vcc_lo
	v_cmp_gt_i32_e32 vcc_lo, 32, v17
	s_waitcnt lgkmcnt(6)
	v_add_f32_e32 v2, v87, v2
	s_waitcnt lgkmcnt(5)
	v_dual_add_f32 v6, v86, v6 :: v_dual_lshlrev_b32 v9, 2, v9
	s_waitcnt lgkmcnt(4)
	v_add_f32_e32 v3, v81, v3
	s_waitcnt lgkmcnt(1)
	v_add_f32_e32 v8, v85, v8
	;; [unrolled: 2-line block ×3, first 2 shown]
	ds_bpermute_b32 v1, v9, v2
	ds_bpermute_b32 v12, v9, v4
	v_add_f32_e32 v5, v82, v5
	v_add_f32_e32 v7, v84, v7
	ds_bpermute_b32 v11, v9, v3
	v_cndmask_b32_e32 v0, v0, v17, vcc_lo
	ds_bpermute_b32 v14, v9, v6
	ds_bpermute_b32 v16, v9, v8
	v_cmp_eq_u32_e32 vcc_lo, 7, v80
	s_waitcnt lgkmcnt(4)
	v_dual_add_f32 v0, v2, v1 :: v_dual_lshlrev_b32 v17, 2, v0
	ds_bpermute_b32 v15, v9, v7
	s_waitcnt lgkmcnt(4)
	v_add_f32_e32 v2, v4, v12
	ds_bpermute_b32 v13, v9, v5
	ds_bpermute_b32 v9, v9, v10
	s_waitcnt lgkmcnt(4)
	v_dual_add_f32 v1, v3, v11 :: v_dual_add_f32 v4, v6, v14
	s_waitcnt lgkmcnt(3)
	v_add_f32_e32 v6, v8, v16
	ds_bpermute_b32 v8, v17, v0
	ds_bpermute_b32 v12, v17, v4
	ds_bpermute_b32 v14, v17, v6
	s_waitcnt lgkmcnt(4)
	v_add_f32_e32 v3, v5, v13
	v_add_f32_e32 v5, v7, v15
	s_waitcnt lgkmcnt(3)
	v_add_f32_e32 v7, v10, v9
	ds_bpermute_b32 v9, v17, v1
	ds_bpermute_b32 v10, v17, v2
	;; [unrolled: 1-line block ×5, first 2 shown]
	s_and_b32 exec_lo, exec_lo, vcc_lo
	s_cbranch_execz .LBB51_13
; %bb.46:
	s_load_b64 s[2:3], s[0:1], 0x58
	s_waitcnt lgkmcnt(0)
	v_add_f32_e32 v8, v0, v8
	v_add_f32_e32 v0, v1, v9
	v_dual_add_f32 v10, v2, v10 :: v_dual_add_f32 v1, v3, v11
	v_add_f32_e32 v3, v7, v15
	v_dual_add_f32 v11, v4, v12 :: v_dual_add_f32 v2, v5, v13
	s_delay_alu instid0(VALU_DEP_4)
	v_mul_f32_e32 v5, v0, v78
	v_mul_f32_e64 v4, v0, -v79
	v_add_f32_e32 v12, v6, v14
	v_mul_f32_e64 v6, v1, -v79
	v_mul_f32_e32 v7, v1, v78
	v_mul_f32_e64 v0, v2, -v79
	v_fmac_f32_e32 v4, v78, v8
	v_mul_f32_e32 v1, v2, v78
	v_mul_f32_e64 v2, v3, -v79
	s_delay_alu instid0(VALU_DEP_4)
	v_dual_mul_f32 v3, v3, v78 :: v_dual_fmac_f32 v0, v78, v11
	v_cmp_eq_f32_e32 vcc_lo, 0, v76
	v_cmp_eq_f32_e64 s0, 0, v77
	v_fmac_f32_e32 v5, v79, v8
	v_lshlrev_b64 v[8:9], 5, v[64:65]
	v_dual_fmac_f32 v6, v78, v10 :: v_dual_fmac_f32 v1, v79, v11
	v_dual_fmac_f32 v7, v79, v10 :: v_dual_fmac_f32 v2, v78, v12
	v_fmac_f32_e32 v3, v79, v12
	s_and_b32 s0, vcc_lo, s0
	s_delay_alu instid0(SALU_CYCLE_1) | instskip(NEXT) | instid1(SALU_CYCLE_1)
	s_and_saveexec_b32 s1, s0
	s_xor_b32 s0, exec_lo, s1
; %bb.47:
	v_add_co_u32 v8, vcc_lo, s2, v8
	v_add_co_ci_u32_e32 v9, vcc_lo, s3, v9, vcc_lo
                                        ; implicit-def: $vgpr76
                                        ; implicit-def: $vgpr77
	s_clause 0x1
	global_store_b128 v[8:9], v[4:7], off
	global_store_b128 v[8:9], v[0:3], off offset:16
                                        ; implicit-def: $vgpr4
                                        ; implicit-def: $vgpr8_vgpr9
                                        ; implicit-def: $vgpr0
; %bb.48:
	s_and_not1_saveexec_b32 s0, s0
	s_cbranch_execz .LBB51_13
; %bb.49:
	v_add_co_u32 v16, vcc_lo, s2, v8
	v_add_co_ci_u32_e32 v17, vcc_lo, s3, v9, vcc_lo
	s_clause 0x1
	global_load_b128 v[8:11], v[16:17], off
	global_load_b128 v[12:15], v[16:17], off offset:16
	s_waitcnt vmcnt(1)
	v_dual_fmac_f32 v4, v76, v8 :: v_dual_fmac_f32 v7, v77, v10
	v_dual_fmac_f32 v5, v77, v8 :: v_dual_fmac_f32 v6, v76, v10
	s_waitcnt vmcnt(0)
	v_dual_fmac_f32 v0, v76, v12 :: v_dual_fmac_f32 v3, v77, v14
	v_dual_fmac_f32 v1, v77, v12 :: v_dual_fmac_f32 v2, v76, v14
	v_fma_f32 v4, -v77, v9, v4
	v_fmac_f32_e32 v5, v76, v9
	v_fma_f32 v6, -v77, v11, v6
	v_fmac_f32_e32 v7, v76, v11
	;; [unrolled: 2-line block ×4, first 2 shown]
	s_clause 0x1
	global_store_b128 v[16:17], v[4:7], off
	global_store_b128 v[16:17], v[0:3], off offset:16
	s_nop 0
	s_sendmsg sendmsg(MSG_DEALLOC_VGPRS)
	s_endpgm
	.section	.rodata,"a",@progbits
	.p2align	6, 0x0
	.amdhsa_kernel _ZN9rocsparseL18bsrxmvn_4x4_kernelILj128ELj8E21rocsparse_complex_numIfEllS2_S2_S2_EEvT3_20rocsparse_direction_NS_24const_host_device_scalarIT1_EES3_PKS3_PKT2_SC_S9_PKT4_PKT5_S7_PT6_21rocsparse_index_base_b
		.amdhsa_group_segment_fixed_size 0
		.amdhsa_private_segment_fixed_size 0
		.amdhsa_kernarg_size 104
		.amdhsa_user_sgpr_count 15
		.amdhsa_user_sgpr_dispatch_ptr 0
		.amdhsa_user_sgpr_queue_ptr 0
		.amdhsa_user_sgpr_kernarg_segment_ptr 1
		.amdhsa_user_sgpr_dispatch_id 0
		.amdhsa_user_sgpr_private_segment_size 0
		.amdhsa_wavefront_size32 1
		.amdhsa_uses_dynamic_stack 0
		.amdhsa_enable_private_segment 0
		.amdhsa_system_sgpr_workgroup_id_x 1
		.amdhsa_system_sgpr_workgroup_id_y 0
		.amdhsa_system_sgpr_workgroup_id_z 0
		.amdhsa_system_sgpr_workgroup_info 0
		.amdhsa_system_vgpr_workitem_id 0
		.amdhsa_next_free_vgpr 181
		.amdhsa_next_free_sgpr 16
		.amdhsa_reserve_vcc 1
		.amdhsa_float_round_mode_32 0
		.amdhsa_float_round_mode_16_64 0
		.amdhsa_float_denorm_mode_32 3
		.amdhsa_float_denorm_mode_16_64 3
		.amdhsa_dx10_clamp 1
		.amdhsa_ieee_mode 1
		.amdhsa_fp16_overflow 0
		.amdhsa_workgroup_processor_mode 1
		.amdhsa_memory_ordered 1
		.amdhsa_forward_progress 0
		.amdhsa_shared_vgpr_count 0
		.amdhsa_exception_fp_ieee_invalid_op 0
		.amdhsa_exception_fp_denorm_src 0
		.amdhsa_exception_fp_ieee_div_zero 0
		.amdhsa_exception_fp_ieee_overflow 0
		.amdhsa_exception_fp_ieee_underflow 0
		.amdhsa_exception_fp_ieee_inexact 0
		.amdhsa_exception_int_div_zero 0
	.end_amdhsa_kernel
	.section	.text._ZN9rocsparseL18bsrxmvn_4x4_kernelILj128ELj8E21rocsparse_complex_numIfEllS2_S2_S2_EEvT3_20rocsparse_direction_NS_24const_host_device_scalarIT1_EES3_PKS3_PKT2_SC_S9_PKT4_PKT5_S7_PT6_21rocsparse_index_base_b,"axG",@progbits,_ZN9rocsparseL18bsrxmvn_4x4_kernelILj128ELj8E21rocsparse_complex_numIfEllS2_S2_S2_EEvT3_20rocsparse_direction_NS_24const_host_device_scalarIT1_EES3_PKS3_PKT2_SC_S9_PKT4_PKT5_S7_PT6_21rocsparse_index_base_b,comdat
.Lfunc_end51:
	.size	_ZN9rocsparseL18bsrxmvn_4x4_kernelILj128ELj8E21rocsparse_complex_numIfEllS2_S2_S2_EEvT3_20rocsparse_direction_NS_24const_host_device_scalarIT1_EES3_PKS3_PKT2_SC_S9_PKT4_PKT5_S7_PT6_21rocsparse_index_base_b, .Lfunc_end51-_ZN9rocsparseL18bsrxmvn_4x4_kernelILj128ELj8E21rocsparse_complex_numIfEllS2_S2_S2_EEvT3_20rocsparse_direction_NS_24const_host_device_scalarIT1_EES3_PKS3_PKT2_SC_S9_PKT4_PKT5_S7_PT6_21rocsparse_index_base_b
                                        ; -- End function
	.section	.AMDGPU.csdata,"",@progbits
; Kernel info:
; codeLenInByte = 7416
; NumSgprs: 18
; NumVgprs: 181
; ScratchSize: 0
; MemoryBound: 0
; FloatMode: 240
; IeeeMode: 1
; LDSByteSize: 0 bytes/workgroup (compile time only)
; SGPRBlocks: 2
; VGPRBlocks: 22
; NumSGPRsForWavesPerEU: 18
; NumVGPRsForWavesPerEU: 181
; Occupancy: 8
; WaveLimiterHint : 1
; COMPUTE_PGM_RSRC2:SCRATCH_EN: 0
; COMPUTE_PGM_RSRC2:USER_SGPR: 15
; COMPUTE_PGM_RSRC2:TRAP_HANDLER: 0
; COMPUTE_PGM_RSRC2:TGID_X_EN: 1
; COMPUTE_PGM_RSRC2:TGID_Y_EN: 0
; COMPUTE_PGM_RSRC2:TGID_Z_EN: 0
; COMPUTE_PGM_RSRC2:TIDIG_COMP_CNT: 0
	.section	.text._ZN9rocsparseL18bsrxmvn_4x4_kernelILj128ELj16E21rocsparse_complex_numIfEllS2_S2_S2_EEvT3_20rocsparse_direction_NS_24const_host_device_scalarIT1_EES3_PKS3_PKT2_SC_S9_PKT4_PKT5_S7_PT6_21rocsparse_index_base_b,"axG",@progbits,_ZN9rocsparseL18bsrxmvn_4x4_kernelILj128ELj16E21rocsparse_complex_numIfEllS2_S2_S2_EEvT3_20rocsparse_direction_NS_24const_host_device_scalarIT1_EES3_PKS3_PKT2_SC_S9_PKT4_PKT5_S7_PT6_21rocsparse_index_base_b,comdat
	.globl	_ZN9rocsparseL18bsrxmvn_4x4_kernelILj128ELj16E21rocsparse_complex_numIfEllS2_S2_S2_EEvT3_20rocsparse_direction_NS_24const_host_device_scalarIT1_EES3_PKS3_PKT2_SC_S9_PKT4_PKT5_S7_PT6_21rocsparse_index_base_b ; -- Begin function _ZN9rocsparseL18bsrxmvn_4x4_kernelILj128ELj16E21rocsparse_complex_numIfEllS2_S2_S2_EEvT3_20rocsparse_direction_NS_24const_host_device_scalarIT1_EES3_PKS3_PKT2_SC_S9_PKT4_PKT5_S7_PT6_21rocsparse_index_base_b
	.p2align	8
	.type	_ZN9rocsparseL18bsrxmvn_4x4_kernelILj128ELj16E21rocsparse_complex_numIfEllS2_S2_S2_EEvT3_20rocsparse_direction_NS_24const_host_device_scalarIT1_EES3_PKS3_PKT2_SC_S9_PKT4_PKT5_S7_PT6_21rocsparse_index_base_b,@function
_ZN9rocsparseL18bsrxmvn_4x4_kernelILj128ELj16E21rocsparse_complex_numIfEllS2_S2_S2_EEvT3_20rocsparse_direction_NS_24const_host_device_scalarIT1_EES3_PKS3_PKT2_SC_S9_PKT4_PKT5_S7_PT6_21rocsparse_index_base_b: ; @_ZN9rocsparseL18bsrxmvn_4x4_kernelILj128ELj16E21rocsparse_complex_numIfEllS2_S2_S2_EEvT3_20rocsparse_direction_NS_24const_host_device_scalarIT1_EES3_PKS3_PKT2_SC_S9_PKT4_PKT5_S7_PT6_21rocsparse_index_base_b
; %bb.0:
	s_clause 0x2
	s_load_b64 s[12:13], s[0:1], 0x60
	s_load_b128 s[4:7], s[0:1], 0x10
	s_load_b64 s[2:3], s[0:1], 0x50
	s_waitcnt lgkmcnt(0)
	s_bitcmp1_b32 s13, 0
	v_mov_b32_e32 v76, s4
	s_cselect_b32 s8, -1, 0
	s_delay_alu instid0(SALU_CYCLE_1)
	s_and_b32 vcc_lo, exec_lo, s8
	s_xor_b32 s8, s8, -1
	s_cbranch_vccz .LBB52_14
; %bb.1:
	v_cndmask_b32_e64 v1, 0, 1, s8
	v_mov_b32_e32 v77, s5
	s_and_not1_b32 vcc_lo, exec_lo, s8
	s_cbranch_vccz .LBB52_15
.LBB52_2:
	s_delay_alu instid0(VALU_DEP_2)
	v_cmp_ne_u32_e32 vcc_lo, 1, v1
	v_mov_b32_e32 v74, s2
	s_cbranch_vccz .LBB52_16
.LBB52_3:
	v_cmp_ne_u32_e32 vcc_lo, 1, v1
	v_mov_b32_e32 v75, s3
	s_cbranch_vccnz .LBB52_5
.LBB52_4:
	v_dual_mov_b32 v1, s2 :: v_dual_mov_b32 v2, s3
	flat_load_b32 v75, v[1:2] offset:4
.LBB52_5:
	s_waitcnt vmcnt(0) lgkmcnt(0)
	v_cmp_eq_f32_e32 vcc_lo, 0, v76
	v_cmp_eq_f32_e64 s2, 0, v77
	s_delay_alu instid0(VALU_DEP_1)
	s_and_b32 s4, vcc_lo, s2
	s_mov_b32 s2, -1
	s_and_saveexec_b32 s3, s4
; %bb.6:
	v_cmp_neq_f32_e32 vcc_lo, 1.0, v74
	v_cmp_neq_f32_e64 s2, 0, v75
	s_delay_alu instid0(VALU_DEP_1) | instskip(NEXT) | instid1(SALU_CYCLE_1)
	s_or_b32 s2, vcc_lo, s2
	s_or_not1_b32 s2, s2, exec_lo
; %bb.7:
	s_or_b32 exec_lo, exec_lo, s3
	s_and_saveexec_b32 s3, s2
	s_cbranch_execz .LBB52_13
; %bb.8:
	s_load_b64 s[4:5], s[0:1], 0x20
	v_lshrrev_b32_e32 v1, 4, v0
	v_mov_b32_e32 v2, 0
	s_mov_b32 s8, 0
	s_delay_alu instid0(VALU_DEP_2)
	v_lshl_or_b32 v1, s15, 3, v1
	s_waitcnt lgkmcnt(0)
	s_cmp_lg_u64 s[4:5], 0
	s_cbranch_scc0 .LBB52_17
; %bb.9:
	s_delay_alu instid0(VALU_DEP_1) | instskip(SKIP_2) | instid1(SALU_CYCLE_1)
	v_cmp_gt_i64_e32 vcc_lo, s[6:7], v[1:2]
	s_mov_b32 s6, 0
                                        ; implicit-def: $vgpr56_vgpr57
	s_and_saveexec_b32 s2, vcc_lo
	s_xor_b32 s7, exec_lo, s2
                                        ; implicit-def: $sgpr2_sgpr3
	s_cbranch_execz .LBB52_11
; %bb.10:
	v_lshlrev_b64 v[3:4], 3, v[1:2]
	s_mov_b32 s8, exec_lo
	s_mov_b32 s3, 0
	s_delay_alu instid0(VALU_DEP_1) | instskip(NEXT) | instid1(VALU_DEP_2)
	v_add_co_u32 v3, vcc_lo, s4, v3
	v_add_co_ci_u32_e32 v4, vcc_lo, s5, v4, vcc_lo
	global_load_b64 v[3:4], v[3:4], off
	s_waitcnt vmcnt(0)
	v_sub_co_u32 v56, vcc_lo, v3, s12
	v_subrev_co_ci_u32_e32 v57, vcc_lo, 0, v4, vcc_lo
.LBB52_11:
	s_or_b32 exec_lo, exec_lo, s7
	s_delay_alu instid0(SALU_CYCLE_1)
	s_and_b32 vcc_lo, exec_lo, s6
	s_cbranch_vccnz .LBB52_18
.LBB52_12:
	s_and_b32 exec_lo, exec_lo, s8
	s_cbranch_execnz .LBB52_21
.LBB52_13:
	s_nop 0
	s_sendmsg sendmsg(MSG_DEALLOC_VGPRS)
	s_endpgm
.LBB52_14:
	v_dual_mov_b32 v1, s4 :: v_dual_mov_b32 v2, s5
	flat_load_b32 v76, v[1:2]
	v_cndmask_b32_e64 v1, 0, 1, s8
	v_mov_b32_e32 v77, s5
	s_and_not1_b32 vcc_lo, exec_lo, s8
	s_cbranch_vccnz .LBB52_2
.LBB52_15:
	v_dual_mov_b32 v2, s4 :: v_dual_mov_b32 v3, s5
	flat_load_b32 v77, v[2:3] offset:4
	v_cmp_ne_u32_e32 vcc_lo, 1, v1
	v_mov_b32_e32 v74, s2
	s_cbranch_vccnz .LBB52_3
.LBB52_16:
	v_dual_mov_b32 v2, s2 :: v_dual_mov_b32 v3, s3
	flat_load_b32 v74, v[2:3]
	v_cmp_ne_u32_e32 vcc_lo, 1, v1
	v_mov_b32_e32 v75, s3
	s_cbranch_vccz .LBB52_4
	s_branch .LBB52_5
.LBB52_17:
                                        ; implicit-def: $vgpr56_vgpr57
                                        ; implicit-def: $sgpr2_sgpr3
	s_cbranch_execz .LBB52_12
.LBB52_18:
	s_load_b64 s[2:3], s[0:1], 0x0
	s_mov_b32 s4, exec_lo
                                        ; implicit-def: $vgpr56_vgpr57
	s_waitcnt lgkmcnt(0)
	v_cmpx_gt_i64_e64 s[2:3], v[1:2]
                                        ; implicit-def: $sgpr2_sgpr3
; %bb.19:
	v_dual_mov_b32 v57, v2 :: v_dual_mov_b32 v56, v1
	s_mov_b32 s3, 0
	s_or_b32 s8, s8, exec_lo
; %bb.20:
	s_or_b32 exec_lo, exec_lo, s4
	s_delay_alu instid0(SALU_CYCLE_1)
	s_and_b32 exec_lo, exec_lo, s8
	s_cbranch_execz .LBB52_13
.LBB52_21:
	s_load_b256 s[4:11], s[0:1], 0x28
	v_lshlrev_b64 v[1:2], 3, v[56:57]
	v_dual_mov_b32 v79, 0 :: v_dual_and_b32 v78, 15, v0
	s_waitcnt lgkmcnt(0)
	s_delay_alu instid0(VALU_DEP_2) | instskip(NEXT) | instid1(VALU_DEP_3)
	v_add_co_u32 v3, vcc_lo, s4, v1
	v_add_co_ci_u32_e32 v4, vcc_lo, s5, v2, vcc_lo
	v_add_co_u32 v1, vcc_lo, s6, v1
	v_add_co_ci_u32_e32 v2, vcc_lo, s7, v2, vcc_lo
	s_delay_alu instid0(VALU_DEP_4)
	v_add_co_u32 v5, vcc_lo, v3, 8
	global_load_b64 v[64:65], v[3:4], off
	v_add_co_ci_u32_e32 v6, vcc_lo, 0, v4, vcc_lo
	s_cmp_eq_u64 s[6:7], 0
	s_clause 0x1
	s_load_b32 s6, s[0:1], 0x8
	s_load_b64 s[4:5], s[0:1], 0x48
	s_cselect_b32 vcc_lo, -1, 0
	v_dual_cndmask_b32 v2, v2, v6 :: v_dual_cndmask_b32 v1, v1, v5
	global_load_b64 v[1:2], v[1:2], off
	s_waitcnt lgkmcnt(0)
	s_cmp_eq_u32 s6, 1
	s_waitcnt vmcnt(1)
	v_sub_co_u32 v0, vcc_lo, v64, s12
	v_subrev_co_ci_u32_e32 v3, vcc_lo, s3, v65, vcc_lo
	s_delay_alu instid0(VALU_DEP_2) | instskip(NEXT) | instid1(VALU_DEP_2)
	v_add_co_u32 v58, vcc_lo, v0, v78
	v_add_co_ci_u32_e32 v59, vcc_lo, 0, v3, vcc_lo
	s_waitcnt vmcnt(0)
	v_sub_co_u32 v60, vcc_lo, v1, s12
	s_delay_alu instid0(VALU_DEP_2) | instskip(SKIP_1) | instid1(VALU_DEP_2)
	v_lshlrev_b64 v[0:1], 7, v[58:59]
	v_subrev_co_ci_u32_e32 v61, vcc_lo, s3, v2, vcc_lo
	v_add_co_u32 v62, vcc_lo, s10, v0
	s_delay_alu instid0(VALU_DEP_2) | instskip(NEXT) | instid1(VALU_DEP_4)
	v_cmp_lt_i64_e64 s2, v[58:59], v[60:61]
	v_add_co_ci_u32_e32 v63, vcc_lo, s11, v1, vcc_lo
	s_cbranch_scc1 .LBB52_33
; %bb.22:
	v_dual_mov_b32 v85, 0 :: v_dual_mov_b32 v84, 0
	v_dual_mov_b32 v83, 0 :: v_dual_mov_b32 v82, 0
	;; [unrolled: 1-line block ×3, first 2 shown]
	v_mov_b32_e32 v80, 0
	s_mov_b32 s6, 0
	s_and_saveexec_b32 s7, s2
	s_cbranch_execz .LBB52_32
; %bb.23:
	v_or_b32_e32 v0, 16, v78
	v_not_b32_e32 v3, v64
	v_not_b32_e32 v2, v65
	v_dual_mov_b32 v84, 0 :: v_dual_mov_b32 v67, v63
	s_delay_alu instid0(VALU_DEP_4) | instskip(NEXT) | instid1(VALU_DEP_1)
	v_sub_co_u32 v0, s10, v0, s12
	v_sub_co_ci_u32_e64 v1, null, 0, s3, s10
	v_sub_co_u32 v4, s10, s12, v78
	s_delay_alu instid0(VALU_DEP_3) | instskip(NEXT) | instid1(VALU_DEP_3)
	v_add_co_u32 v0, vcc_lo, v0, v64
	v_add_co_ci_u32_e32 v1, vcc_lo, v1, v65, vcc_lo
	v_sub_co_ci_u32_e64 v5, null, s3, 0, s10
	v_dual_mov_b32 v80, 0 :: v_dual_mov_b32 v81, 0
	s_delay_alu instid0(VALU_DEP_3)
	v_cmp_gt_i64_e32 vcc_lo, v[0:1], v[60:61]
	v_dual_mov_b32 v86, 0 :: v_dual_mov_b32 v85, 0
	v_dual_mov_b32 v82, 0 :: v_dual_mov_b32 v79, 0
	v_dual_mov_b32 v66, v62 :: v_dual_cndmask_b32 v1, v61, v1
	v_cndmask_b32_e32 v0, v60, v0, vcc_lo
	v_add_co_u32 v3, vcc_lo, v4, v3
	v_add_co_ci_u32_e32 v2, vcc_lo, v5, v2, vcc_lo
	s_mov_b32 s10, exec_lo
	s_delay_alu instid0(VALU_DEP_2) | instskip(NEXT) | instid1(VALU_DEP_2)
	v_add_co_u32 v0, vcc_lo, v3, v0
	v_add_co_ci_u32_e32 v1, vcc_lo, v2, v1, vcc_lo
	v_mov_b32_e32 v83, 0
	s_delay_alu instid0(VALU_DEP_3) | instskip(SKIP_1) | instid1(VALU_DEP_2)
	v_lshrrev_b32_e32 v2, 4, v0
	v_dual_mov_b32 v69, v59 :: v_dual_mov_b32 v68, v58
	v_add_nc_u32_e32 v2, 1, v2
	s_delay_alu instid0(VALU_DEP_1) | instskip(NEXT) | instid1(VALU_DEP_1)
	v_and_b32_e32 v2, 3, v2
	v_cmpx_ne_u32_e32 0, v2
	s_cbranch_execz .LBB52_27
; %bb.24:
	v_lshlrev_b64 v[4:5], 3, v[58:59]
	v_dual_mov_b32 v3, 0 :: v_dual_lshlrev_b32 v2, 3, v2
	v_dual_mov_b32 v69, v59 :: v_dual_mov_b32 v68, v58
	v_dual_mov_b32 v67, v63 :: v_dual_mov_b32 v66, v62
	s_delay_alu instid0(VALU_DEP_4)
	v_add_co_u32 v4, vcc_lo, s8, v4
	v_add_co_ci_u32_e32 v5, vcc_lo, s9, v5, vcc_lo
	v_mov_b32_e32 v79, v3
	v_mov_b32_e32 v85, v3
	;; [unrolled: 1-line block ×8, first 2 shown]
	s_mov_b32 s11, 0
.LBB52_25:                              ; =>This Inner Loop Header: Depth=1
	global_load_b64 v[38:39], v[4:5], off
	s_clause 0x7
	global_load_b128 v[6:9], v[66:67], off offset:48
	global_load_b128 v[10:13], v[66:67], off offset:32
	;; [unrolled: 1-line block ×3, first 2 shown]
	global_load_b128 v[18:21], v[66:67], off
	global_load_b128 v[22:25], v[66:67], off offset:112
	global_load_b128 v[26:29], v[66:67], off offset:96
	;; [unrolled: 1-line block ×4, first 2 shown]
	s_waitcnt vmcnt(8)
	v_sub_co_u32 v38, vcc_lo, v38, s12
	v_subrev_co_ci_u32_e32 v39, vcc_lo, s3, v39, vcc_lo
	s_delay_alu instid0(VALU_DEP_1) | instskip(NEXT) | instid1(VALU_DEP_1)
	v_lshlrev_b64 v[38:39], 5, v[38:39]
	v_add_co_u32 v42, vcc_lo, s4, v38
	s_delay_alu instid0(VALU_DEP_2)
	v_add_co_ci_u32_e32 v43, vcc_lo, s5, v39, vcc_lo
	v_add_co_u32 v66, vcc_lo, 0x800, v66
	v_add_co_ci_u32_e32 v67, vcc_lo, 0, v67, vcc_lo
	s_clause 0x1
	global_load_b128 v[38:41], v[42:43], off
	global_load_b128 v[42:45], v[42:43], off offset:16
	v_add_co_u32 v68, vcc_lo, v68, 16
	v_add_co_ci_u32_e32 v69, vcc_lo, 0, v69, vcc_lo
	v_add_co_u32 v2, vcc_lo, v2, -8
	v_add_co_ci_u32_e32 v3, vcc_lo, -1, v3, vcc_lo
	v_add_co_u32 v4, vcc_lo, 0x80, v4
	v_add_co_ci_u32_e32 v5, vcc_lo, 0, v5, vcc_lo
	s_delay_alu instid0(VALU_DEP_3)
	v_cmp_eq_u64_e32 vcc_lo, 0, v[2:3]
	s_or_b32 s11, vcc_lo, s11
	s_waitcnt vmcnt(1)
	v_fmac_f32_e32 v80, v11, v38
	v_fmac_f32_e32 v79, v19, v38
	;; [unrolled: 1-line block ×4, first 2 shown]
	s_delay_alu instid0(VALU_DEP_4) | instskip(SKIP_3) | instid1(VALU_DEP_4)
	v_fmac_f32_e32 v80, v10, v39
	v_fmac_f32_e32 v85, v18, v38
	;; [unrolled: 1-line block ×4, first 2 shown]
	v_dual_fmac_f32 v81, v26, v39 :: v_dual_fmac_f32 v80, v13, v40
	s_delay_alu instid0(VALU_DEP_4) | instskip(NEXT) | instid1(VALU_DEP_4)
	v_fma_f32 v19, -v19, v39, v85
	v_dual_fmac_f32 v79, v21, v40 :: v_dual_fmac_f32 v86, v10, v38
	s_delay_alu instid0(VALU_DEP_4) | instskip(SKIP_1) | instid1(VALU_DEP_4)
	v_fma_f32 v10, -v35, v39, v84
	v_fmac_f32_e32 v83, v26, v38
	v_dual_fmac_f32 v82, v34, v39 :: v_dual_fmac_f32 v19, v20, v40
	s_delay_alu instid0(VALU_DEP_4) | instskip(NEXT) | instid1(VALU_DEP_4)
	v_fma_f32 v11, -v11, v39, v86
	v_fmac_f32_e32 v10, v36, v40
	s_delay_alu instid0(VALU_DEP_4) | instskip(NEXT) | instid1(VALU_DEP_4)
	v_fma_f32 v18, -v27, v39, v83
	v_dual_fmac_f32 v82, v37, v40 :: v_dual_fmac_f32 v79, v20, v41
	v_dual_fmac_f32 v81, v29, v40 :: v_dual_fmac_f32 v80, v12, v41
	v_fmac_f32_e32 v11, v12, v40
	v_fma_f32 v19, -v21, v41, v19
	v_fmac_f32_e32 v18, v28, v40
	v_fma_f32 v10, -v37, v41, v10
	s_waitcnt vmcnt(0)
	v_dual_fmac_f32 v82, v36, v41 :: v_dual_fmac_f32 v79, v15, v42
	v_fmac_f32_e32 v81, v28, v41
	v_fmac_f32_e32 v19, v14, v42
	;; [unrolled: 1-line block ×3, first 2 shown]
	v_fma_f32 v12, -v29, v41, v18
	v_fmac_f32_e32 v80, v7, v42
	v_fma_f32 v11, -v13, v41, v11
	v_dual_fmac_f32 v82, v31, v42 :: v_dual_fmac_f32 v79, v14, v43
	s_delay_alu instid0(VALU_DEP_3) | instskip(NEXT) | instid1(VALU_DEP_3)
	v_dual_fmac_f32 v81, v23, v42 :: v_dual_fmac_f32 v80, v6, v43
	v_fmac_f32_e32 v11, v6, v42
	v_fma_f32 v13, -v15, v43, v19
	v_fmac_f32_e32 v12, v22, v42
	v_fma_f32 v6, -v31, v43, v10
	v_dual_fmac_f32 v82, v30, v43 :: v_dual_fmac_f32 v79, v17, v44
	v_fmac_f32_e32 v81, v22, v43
	v_fmac_f32_e32 v13, v16, v44
	s_delay_alu instid0(VALU_DEP_4) | instskip(SKIP_4) | instid1(VALU_DEP_4)
	v_fmac_f32_e32 v6, v32, v44
	v_fma_f32 v10, -v23, v43, v12
	v_fmac_f32_e32 v80, v9, v44
	v_fma_f32 v7, -v7, v43, v11
	v_dual_fmac_f32 v82, v33, v44 :: v_dual_fmac_f32 v79, v16, v45
	v_fmac_f32_e32 v10, v24, v44
	s_delay_alu instid0(VALU_DEP_4) | instskip(NEXT) | instid1(VALU_DEP_4)
	v_dual_fmac_f32 v81, v25, v44 :: v_dual_fmac_f32 v80, v8, v45
	v_fmac_f32_e32 v7, v8, v44
	v_fma_f32 v85, -v17, v45, v13
	v_fma_f32 v84, -v33, v45, v6
	v_fmac_f32_e32 v82, v32, v45
	v_fma_f32 v83, -v25, v45, v10
	v_fma_f32 v86, -v9, v45, v7
	v_fmac_f32_e32 v81, v24, v45
	s_and_not1_b32 exec_lo, exec_lo, s11
	s_cbranch_execnz .LBB52_25
; %bb.26:
	s_or_b32 exec_lo, exec_lo, s11
.LBB52_27:
	s_delay_alu instid0(SALU_CYCLE_1) | instskip(NEXT) | instid1(SALU_CYCLE_1)
	s_or_b32 exec_lo, exec_lo, s10
	s_mov_b32 s10, exec_lo
	v_cmpx_lt_u64_e32 47, v[0:1]
	s_cbranch_execz .LBB52_31
; %bb.28:
	v_lshlrev_b64 v[0:1], 3, v[68:69]
	s_mov_b32 s11, 0
	s_delay_alu instid0(VALU_DEP_1) | instskip(NEXT) | instid1(VALU_DEP_2)
	v_add_co_u32 v0, vcc_lo, v0, s8
	v_add_co_ci_u32_e32 v1, vcc_lo, s9, v1, vcc_lo
	s_delay_alu instid0(VALU_DEP_2) | instskip(NEXT) | instid1(VALU_DEP_2)
	v_add_co_u32 v70, vcc_lo, 0x100, v0
	v_add_co_ci_u32_e32 v71, vcc_lo, 0, v1, vcc_lo
.LBB52_29:                              ; =>This Inner Loop Header: Depth=1
	s_clause 0x3
	global_load_b64 v[72:73], v[70:71], off offset:-256
	global_load_b64 v[155:156], v[70:71], off offset:-128
	global_load_b64 v[157:158], v[70:71], off
	global_load_b64 v[159:160], v[70:71], off offset:128
	s_clause 0xb
	global_load_b128 v[87:90], v[66:67], off offset:48
	global_load_b128 v[91:94], v[66:67], off offset:32
	;; [unrolled: 1-line block ×3, first 2 shown]
	global_load_b128 v[99:102], v[66:67], off
	global_load_b128 v[103:106], v[66:67], off offset:112
	global_load_b128 v[107:110], v[66:67], off offset:96
	;; [unrolled: 1-line block ×8, first 2 shown]
	v_add_co_u32 v175, vcc_lo, 0x1000, v66
	v_add_co_ci_u32_e32 v176, vcc_lo, 0, v67, vcc_lo
	s_clause 0x12
	global_load_b128 v[40:43], v[66:67], off offset:2160
	global_load_b128 v[127:130], v[66:67], off offset:2144
	;; [unrolled: 1-line block ×6, first 2 shown]
	global_load_b128 v[24:27], v[175:176], off
	global_load_b128 v[8:11], v[175:176], off offset:16
	global_load_b128 v[16:19], v[175:176], off offset:112
	;; [unrolled: 1-line block ×12, first 2 shown]
	s_waitcnt vmcnt(34)
	v_sub_co_u32 v72, vcc_lo, v72, s12
	v_subrev_co_ci_u32_e32 v73, vcc_lo, s3, v73, vcc_lo
	s_waitcnt vmcnt(33)
	v_sub_co_u32 v155, vcc_lo, v155, s12
	v_subrev_co_ci_u32_e32 v156, vcc_lo, s3, v156, vcc_lo
	s_waitcnt vmcnt(32)
	v_sub_co_u32 v157, vcc_lo, v157, s12
	v_lshlrev_b64 v[72:73], 5, v[72:73]
	v_subrev_co_ci_u32_e32 v158, vcc_lo, s3, v158, vcc_lo
	s_waitcnt vmcnt(31)
	v_sub_co_u32 v159, vcc_lo, v159, s12
	v_lshlrev_b64 v[155:156], 5, v[155:156]
	v_subrev_co_ci_u32_e32 v160, vcc_lo, s3, v160, vcc_lo
	v_lshlrev_b64 v[157:158], 5, v[157:158]
	v_add_co_u32 v72, vcc_lo, s4, v72
	v_add_co_ci_u32_e32 v73, vcc_lo, s5, v73, vcc_lo
	s_delay_alu instid0(VALU_DEP_4)
	v_lshlrev_b64 v[159:160], 5, v[159:160]
	v_add_co_u32 v167, vcc_lo, s4, v155
	v_add_co_ci_u32_e32 v168, vcc_lo, s5, v156, vcc_lo
	v_add_co_u32 v171, vcc_lo, s4, v157
	v_add_co_ci_u32_e32 v172, vcc_lo, s5, v158, vcc_lo
	;; [unrolled: 2-line block ×3, first 2 shown]
	s_clause 0x3
	global_load_b128 v[155:158], v[72:73], off
	global_load_b128 v[159:162], v[72:73], off offset:16
	global_load_b128 v[163:166], v[167:168], off
	global_load_b128 v[167:170], v[167:168], off offset:16
	v_add_co_u32 v68, vcc_lo, v68, 64
	v_add_co_ci_u32_e32 v69, vcc_lo, 0, v69, vcc_lo
	v_add_co_u32 v70, vcc_lo, 0x200, v70
	v_add_co_ci_u32_e32 v71, vcc_lo, 0, v71, vcc_lo
	;; [unrolled: 2-line block ×3, first 2 shown]
	v_cmp_ge_i64_e32 vcc_lo, v[68:69], v[60:61]
	s_or_b32 s11, vcc_lo, s11
	s_waitcnt vmcnt(3)
	v_fmac_f32_e32 v85, v99, v155
	v_fmac_f32_e32 v80, v92, v155
	;; [unrolled: 1-line block ×5, first 2 shown]
	v_fma_f32 v72, -v100, v156, v85
	v_fmac_f32_e32 v80, v91, v156
	v_fmac_f32_e32 v79, v99, v156
	v_fma_f32 v73, -v92, v156, v86
	v_fma_f32 v84, -v116, v156, v84
	v_fmac_f32_e32 v72, v101, v157
	v_fmac_f32_e32 v80, v94, v157
	;; [unrolled: 1-line block ×4, first 2 shown]
	v_dual_fmac_f32 v84, v117, v157 :: v_dual_fmac_f32 v81, v108, v155
	v_fma_f32 v72, -v102, v158, v72
	s_delay_alu instid0(VALU_DEP_4)
	v_fmac_f32_e32 v79, v101, v158
	s_clause 0x1
	global_load_b128 v[99:102], v[171:172], off
	global_load_b128 v[171:174], v[171:172], off offset:16
	v_fma_f32 v73, -v94, v158, v73
	v_dual_fmac_f32 v80, v93, v158 :: v_dual_fmac_f32 v83, v107, v155
	global_load_b128 v[91:94], v[177:178], off
	v_dual_fmac_f32 v82, v116, v155 :: v_dual_fmac_f32 v81, v107, v156
	s_waitcnt vmcnt(5)
	v_fmac_f32_e32 v72, v95, v159
	v_fma_f32 v83, -v108, v156, v83
	v_fma_f32 v84, -v118, v158, v84
	v_dual_fmac_f32 v82, v115, v156 :: v_dual_fmac_f32 v81, v110, v157
	v_fmac_f32_e32 v79, v96, v159
	s_delay_alu instid0(VALU_DEP_4) | instskip(NEXT) | instid1(VALU_DEP_3)
	v_dual_fmac_f32 v83, v109, v157 :: v_dual_fmac_f32 v80, v88, v159
	v_dual_fmac_f32 v82, v118, v157 :: v_dual_fmac_f32 v81, v109, v158
	v_fma_f32 v72, -v96, v160, v72
	s_delay_alu instid0(VALU_DEP_3) | instskip(NEXT) | instid1(VALU_DEP_3)
	v_fma_f32 v83, -v110, v158, v83
	v_dual_fmac_f32 v73, v87, v159 :: v_dual_fmac_f32 v82, v117, v158
	global_load_b128 v[115:118], v[175:176], off offset:2128
	global_load_b128 v[175:178], v[177:178], off offset:16
	v_fmac_f32_e32 v79, v95, v160
	v_fmac_f32_e32 v84, v111, v159
	v_dual_fmac_f32 v81, v104, v159 :: v_dual_fmac_f32 v80, v87, v160
	v_fmac_f32_e32 v82, v112, v159
	v_dual_fmac_f32 v83, v103, v159 :: v_dual_fmac_f32 v72, v97, v161
	v_fma_f32 v73, -v88, v160, v73
	s_delay_alu instid0(VALU_DEP_4) | instskip(NEXT) | instid1(VALU_DEP_4)
	v_dual_fmac_f32 v80, v90, v161 :: v_dual_fmac_f32 v81, v103, v160
	v_fmac_f32_e32 v82, v111, v160
	s_delay_alu instid0(VALU_DEP_4) | instskip(NEXT) | instid1(VALU_DEP_4)
	v_fma_f32 v83, -v104, v160, v83
	v_fmac_f32_e32 v73, v89, v161
	v_fmac_f32_e32 v79, v98, v161
	v_fma_f32 v84, -v112, v160, v84
	v_fmac_f32_e32 v82, v114, v161
	v_dual_fmac_f32 v81, v106, v161 :: v_dual_fmac_f32 v80, v89, v162
	v_fma_f32 v72, -v98, v162, v72
	v_fmac_f32_e32 v83, v105, v161
	v_fmac_f32_e32 v79, v97, v162
	;; [unrolled: 1-line block ×3, first 2 shown]
	v_fma_f32 v73, -v90, v162, v73
	v_fmac_f32_e32 v82, v113, v162
	s_waitcnt vmcnt(6)
	v_dual_fmac_f32 v81, v105, v162 :: v_dual_fmac_f32 v80, v120, v163
	v_fmac_f32_e32 v72, v123, v163
	v_fma_f32 v83, -v106, v162, v83
	v_fmac_f32_e32 v79, v124, v163
	v_fma_f32 v84, -v114, v162, v84
	v_fmac_f32_e32 v73, v119, v163
	v_fmac_f32_e32 v82, v132, v163
	v_dual_fmac_f32 v81, v128, v163 :: v_dual_fmac_f32 v80, v119, v164
	v_fma_f32 v72, -v124, v164, v72
	v_fmac_f32_e32 v83, v127, v163
	v_fmac_f32_e32 v79, v123, v164
	;; [unrolled: 1-line block ×3, first 2 shown]
	v_fma_f32 v73, -v120, v164, v73
	v_fmac_f32_e32 v82, v131, v164
	v_dual_fmac_f32 v81, v127, v164 :: v_dual_fmac_f32 v80, v122, v165
	v_fmac_f32_e32 v72, v125, v165
	v_fma_f32 v83, -v128, v164, v83
	v_fmac_f32_e32 v79, v126, v165
	v_fma_f32 v84, -v132, v164, v84
	v_fmac_f32_e32 v73, v121, v165
	v_fmac_f32_e32 v82, v134, v165
	v_dual_fmac_f32 v81, v130, v165 :: v_dual_fmac_f32 v80, v121, v166
	v_fma_f32 v72, -v126, v166, v72
	v_fmac_f32_e32 v83, v129, v165
	v_fmac_f32_e32 v79, v125, v166
	v_fma_f32 v73, -v122, v166, v73
	v_fmac_f32_e32 v84, v133, v165
	s_waitcnt vmcnt(5)
	v_fmac_f32_e32 v72, v44, v167
	v_fma_f32 v83, -v130, v166, v83
	v_dual_fmac_f32 v82, v133, v166 :: v_dual_fmac_f32 v73, v36, v167
	v_fma_f32 v84, -v134, v166, v84
	v_fmac_f32_e32 v81, v129, v166
	v_fmac_f32_e32 v80, v37, v167
	;; [unrolled: 1-line block ×7, first 2 shown]
	v_fma_f32 v45, -v45, v168, v72
	v_fmac_f32_e32 v80, v36, v168
	v_fmac_f32_e32 v79, v44, v168
	;; [unrolled: 1-line block ×3, first 2 shown]
	v_fma_f32 v36, -v49, v168, v84
	v_dual_fmac_f32 v82, v48, v168 :: v_dual_fmac_f32 v45, v46, v169
	v_fmac_f32_e32 v80, v39, v169
	v_fmac_f32_e32 v79, v47, v169
	v_fma_f32 v37, -v37, v168, v73
	v_fma_f32 v41, -v41, v168, v83
	v_fmac_f32_e32 v81, v43, v169
	v_fmac_f32_e32 v82, v51, v169
	v_fma_f32 v40, -v47, v170, v45
	v_fmac_f32_e32 v80, v38, v170
	v_fmac_f32_e32 v79, v46, v170
	;; [unrolled: 1-line block ×6, first 2 shown]
	s_waitcnt vmcnt(4)
	v_fmac_f32_e32 v80, v21, v99
	v_fmac_f32_e32 v40, v24, v99
	;; [unrolled: 1-line block ×3, first 2 shown]
	v_fma_f32 v36, -v51, v170, v36
	v_fmac_f32_e32 v41, v42, v169
	v_fma_f32 v37, -v39, v170, v37
	v_dual_fmac_f32 v81, v53, v99 :: v_dual_fmac_f32 v80, v20, v100
	s_delay_alu instid0(VALU_DEP_4) | instskip(NEXT) | instid1(VALU_DEP_4)
	v_fmac_f32_e32 v36, v135, v99
	v_fma_f32 v38, -v43, v170, v41
	v_fma_f32 v25, -v25, v100, v40
	v_fmac_f32_e32 v82, v136, v99
	v_dual_fmac_f32 v79, v24, v100 :: v_dual_fmac_f32 v80, v23, v101
	s_delay_alu instid0(VALU_DEP_3) | instskip(NEXT) | instid1(VALU_DEP_3)
	v_dual_fmac_f32 v38, v52, v99 :: v_dual_fmac_f32 v25, v26, v101
	v_dual_fmac_f32 v37, v20, v99 :: v_dual_fmac_f32 v82, v135, v100
	v_fma_f32 v20, -v136, v100, v36
	v_fmac_f32_e32 v81, v52, v100
	v_fmac_f32_e32 v79, v27, v101
	s_delay_alu instid0(VALU_DEP_4)
	v_fma_f32 v21, -v21, v100, v37
	v_fma_f32 v24, -v53, v100, v38
	v_fmac_f32_e32 v20, v137, v101
	v_dual_fmac_f32 v81, v55, v101 :: v_dual_fmac_f32 v80, v22, v102
	v_fma_f32 v25, -v27, v102, v25
	v_fmac_f32_e32 v82, v138, v101
	v_fmac_f32_e32 v79, v26, v102
	v_fma_f32 v20, -v138, v102, v20
	s_waitcnt vmcnt(3)
	v_fmac_f32_e32 v80, v1, v171
	v_dual_fmac_f32 v24, v54, v101 :: v_dual_fmac_f32 v25, v8, v171
	v_fmac_f32_e32 v79, v9, v171
	v_dual_fmac_f32 v21, v22, v101 :: v_dual_fmac_f32 v82, v137, v102
	s_delay_alu instid0(VALU_DEP_3) | instskip(SKIP_1) | instid1(VALU_DEP_3)
	v_fma_f32 v22, -v55, v102, v24
	v_dual_fmac_f32 v81, v54, v102 :: v_dual_fmac_f32 v20, v32, v171
	v_fma_f32 v21, -v23, v102, v21
	s_delay_alu instid0(VALU_DEP_4)
	v_dual_fmac_f32 v82, v33, v171 :: v_dual_fmac_f32 v79, v8, v172
	v_fma_f32 v9, -v9, v172, v25
	v_fmac_f32_e32 v22, v16, v171
	v_dual_fmac_f32 v81, v17, v171 :: v_dual_fmac_f32 v80, v0, v172
	v_fmac_f32_e32 v21, v0, v171
	v_dual_fmac_f32 v82, v32, v172 :: v_dual_fmac_f32 v79, v11, v173
	v_fmac_f32_e32 v9, v10, v173
	v_fma_f32 v0, -v33, v172, v20
	v_fma_f32 v8, -v17, v172, v22
	v_dual_fmac_f32 v81, v16, v172 :: v_dual_fmac_f32 v80, v3, v173
	v_fma_f32 v1, -v1, v172, v21
	s_delay_alu instid0(VALU_DEP_4)
	v_fmac_f32_e32 v0, v34, v173
	v_dual_fmac_f32 v82, v35, v173 :: v_dual_fmac_f32 v79, v10, v174
	v_fma_f32 v9, -v11, v174, v9
	v_fmac_f32_e32 v8, v18, v173
	v_dual_fmac_f32 v81, v19, v173 :: v_dual_fmac_f32 v80, v2, v174
	v_fmac_f32_e32 v1, v2, v173
	s_waitcnt vmcnt(2)
	v_dual_fmac_f32 v82, v34, v174 :: v_dual_fmac_f32 v79, v140, v91
	v_fmac_f32_e32 v9, v139, v91
	v_fma_f32 v0, -v35, v174, v0
	v_fma_f32 v2, -v19, v174, v8
	v_dual_fmac_f32 v81, v18, v174 :: v_dual_fmac_f32 v80, v29, v91
	v_fma_f32 v1, -v3, v174, v1
	s_delay_alu instid0(VALU_DEP_4) | instskip(SKIP_2) | instid1(VALU_DEP_4)
	v_fmac_f32_e32 v0, v151, v91
	v_dual_fmac_f32 v82, v152, v91 :: v_dual_fmac_f32 v79, v139, v92
	v_fma_f32 v3, -v140, v92, v9
	v_fmac_f32_e32 v1, v28, v91
	v_fmac_f32_e32 v2, v147, v91
	s_delay_alu instid0(VALU_DEP_4) | instskip(SKIP_2) | instid1(VALU_DEP_3)
	v_dual_fmac_f32 v80, v28, v92 :: v_dual_fmac_f32 v79, v142, v93
	v_dual_fmac_f32 v81, v148, v91 :: v_dual_fmac_f32 v82, v151, v92
	v_fmac_f32_e32 v3, v141, v93
	v_fmac_f32_e32 v80, v31, v93
	v_fma_f32 v0, -v152, v92, v0
	v_fma_f32 v2, -v148, v92, v2
	v_dual_fmac_f32 v81, v147, v92 :: v_dual_fmac_f32 v82, v154, v93
	v_fmac_f32_e32 v79, v141, v94
	v_fma_f32 v3, -v142, v94, v3
	v_fma_f32 v1, -v29, v92, v1
	v_fmac_f32_e32 v0, v153, v93
	v_fmac_f32_e32 v2, v149, v93
	s_waitcnt vmcnt(0)
	v_dual_fmac_f32 v80, v30, v94 :: v_dual_fmac_f32 v79, v13, v175
	v_fmac_f32_e32 v81, v150, v93
	v_fmac_f32_e32 v3, v12, v175
	v_dual_fmac_f32 v1, v30, v93 :: v_dual_fmac_f32 v82, v153, v94
	v_fma_f32 v0, -v154, v94, v0
	v_fmac_f32_e32 v80, v5, v175
	v_fmac_f32_e32 v81, v149, v94
	v_fma_f32 v3, -v13, v176, v3
	v_fma_f32 v1, -v31, v94, v1
	v_fmac_f32_e32 v0, v115, v175
	v_fma_f32 v2, -v150, v94, v2
	s_delay_alu instid0(VALU_DEP_4) | instskip(SKIP_1) | instid1(VALU_DEP_3)
	v_dual_fmac_f32 v80, v4, v176 :: v_dual_fmac_f32 v3, v14, v177
	v_fmac_f32_e32 v81, v144, v175
	v_dual_fmac_f32 v79, v12, v176 :: v_dual_fmac_f32 v2, v143, v175
	s_delay_alu instid0(VALU_DEP_3) | instskip(NEXT) | instid1(VALU_DEP_3)
	v_fmac_f32_e32 v80, v7, v177
	v_dual_fmac_f32 v82, v116, v175 :: v_dual_fmac_f32 v81, v143, v176
	v_fmac_f32_e32 v1, v4, v175
	v_fma_f32 v0, -v116, v176, v0
	v_fma_f32 v2, -v144, v176, v2
	s_delay_alu instid0(VALU_DEP_4) | instskip(NEXT) | instid1(VALU_DEP_4)
	v_dual_fmac_f32 v82, v115, v176 :: v_dual_fmac_f32 v81, v146, v177
	v_fma_f32 v1, -v5, v176, v1
	v_dual_fmac_f32 v79, v15, v177 :: v_dual_fmac_f32 v80, v6, v178
	v_fmac_f32_e32 v0, v117, v177
	s_delay_alu instid0(VALU_DEP_4) | instskip(NEXT) | instid1(VALU_DEP_4)
	v_dual_fmac_f32 v82, v118, v177 :: v_dual_fmac_f32 v81, v145, v178
	v_fmac_f32_e32 v1, v6, v177
	v_fmac_f32_e32 v2, v145, v177
	v_fma_f32 v85, -v15, v178, v3
	s_delay_alu instid0(VALU_DEP_4)
	v_fmac_f32_e32 v82, v117, v178
	v_fmac_f32_e32 v79, v14, v178
	v_fma_f32 v86, -v7, v178, v1
	v_fma_f32 v84, -v118, v178, v0
	;; [unrolled: 1-line block ×3, first 2 shown]
	s_and_not1_b32 exec_lo, exec_lo, s11
	s_cbranch_execnz .LBB52_29
; %bb.30:
	s_or_b32 exec_lo, exec_lo, s11
.LBB52_31:
	s_delay_alu instid0(SALU_CYCLE_1)
	s_or_b32 exec_lo, exec_lo, s10
.LBB52_32:
	s_delay_alu instid0(SALU_CYCLE_1) | instskip(NEXT) | instid1(SALU_CYCLE_1)
	s_or_b32 exec_lo, exec_lo, s7
	s_and_not1_b32 vcc_lo, exec_lo, s6
	s_cbranch_vccz .LBB52_34
	s_branch .LBB52_45
.LBB52_33:
                                        ; implicit-def: $vgpr79
                                        ; implicit-def: $vgpr85
                                        ; implicit-def: $vgpr83
                                        ; implicit-def: $vgpr81
                                        ; implicit-def: $vgpr84
                                        ; implicit-def: $vgpr82
                                        ; implicit-def: $vgpr86
                                        ; implicit-def: $vgpr80
.LBB52_34:
	v_dual_mov_b32 v79, 0 :: v_dual_mov_b32 v84, 0
	v_dual_mov_b32 v85, 0 :: v_dual_mov_b32 v82, 0
	;; [unrolled: 1-line block ×4, first 2 shown]
	s_and_saveexec_b32 s6, s2
	s_cbranch_execz .LBB52_44
; %bb.35:
	v_or_b32_e32 v0, 16, v78
	v_not_b32_e32 v3, v64
	v_not_b32_e32 v2, v65
	v_dual_mov_b32 v80, 0 :: v_dual_mov_b32 v83, 0
	s_delay_alu instid0(VALU_DEP_4) | instskip(NEXT) | instid1(VALU_DEP_1)
	v_sub_co_u32 v0, s2, v0, s12
	v_sub_co_ci_u32_e64 v1, null, 0, s3, s2
	v_sub_co_u32 v4, s2, s12, v78
	s_delay_alu instid0(VALU_DEP_3) | instskip(NEXT) | instid1(VALU_DEP_3)
	v_add_co_u32 v0, vcc_lo, v0, v64
	v_add_co_ci_u32_e32 v1, vcc_lo, v1, v65, vcc_lo
	v_sub_co_ci_u32_e64 v5, null, s3, 0, s2
	v_dual_mov_b32 v86, 0 :: v_dual_mov_b32 v85, 0
	s_delay_alu instid0(VALU_DEP_3)
	v_cmp_gt_i64_e32 vcc_lo, v[0:1], v[60:61]
	v_dual_mov_b32 v82, 0 :: v_dual_mov_b32 v79, 0
	v_mov_b32_e32 v84, 0
	s_mov_b32 s2, exec_lo
	v_mov_b32_e32 v81, 0
	v_dual_cndmask_b32 v1, v61, v1 :: v_dual_cndmask_b32 v0, v60, v0
	v_add_co_u32 v3, vcc_lo, v4, v3
	v_add_co_ci_u32_e32 v2, vcc_lo, v5, v2, vcc_lo
	s_delay_alu instid0(VALU_DEP_2) | instskip(NEXT) | instid1(VALU_DEP_2)
	v_add_co_u32 v0, vcc_lo, v3, v0
	v_add_co_ci_u32_e32 v1, vcc_lo, v2, v1, vcc_lo
	s_delay_alu instid0(VALU_DEP_2) | instskip(NEXT) | instid1(VALU_DEP_1)
	v_lshrrev_b32_e32 v2, 4, v0
	v_add_nc_u32_e32 v2, 1, v2
	s_delay_alu instid0(VALU_DEP_1) | instskip(NEXT) | instid1(VALU_DEP_1)
	v_and_b32_e32 v2, 3, v2
	v_cmpx_ne_u32_e32 0, v2
	s_cbranch_execz .LBB52_39
; %bb.36:
	v_lshlrev_b64 v[4:5], 3, v[58:59]
	v_dual_mov_b32 v3, 0 :: v_dual_lshlrev_b32 v2, 3, v2
	s_mov_b32 s7, 0
	s_delay_alu instid0(VALU_DEP_1) | instskip(NEXT) | instid1(VALU_DEP_3)
	v_mov_b32_e32 v79, v3
	v_add_co_u32 v4, vcc_lo, s8, v4
	s_delay_alu instid0(VALU_DEP_4)
	v_add_co_ci_u32_e32 v5, vcc_lo, s9, v5, vcc_lo
	v_mov_b32_e32 v85, v3
	v_mov_b32_e32 v83, v3
	;; [unrolled: 1-line block ×7, first 2 shown]
.LBB52_37:                              ; =>This Inner Loop Header: Depth=1
	global_load_b64 v[18:19], v[4:5], off
	s_clause 0x2
	global_load_b128 v[6:9], v[62:63], off offset:32
	global_load_b128 v[10:13], v[62:63], off offset:16
	global_load_b128 v[14:17], v[62:63], off
	s_waitcnt vmcnt(3)
	v_sub_co_u32 v18, vcc_lo, v18, s12
	v_subrev_co_ci_u32_e32 v19, vcc_lo, s3, v19, vcc_lo
	s_delay_alu instid0(VALU_DEP_1) | instskip(NEXT) | instid1(VALU_DEP_1)
	v_lshlrev_b64 v[18:19], 5, v[18:19]
	v_add_co_u32 v22, vcc_lo, s4, v18
	s_delay_alu instid0(VALU_DEP_2)
	v_add_co_ci_u32_e32 v23, vcc_lo, s5, v19, vcc_lo
	s_clause 0x1
	global_load_b128 v[18:21], v[22:23], off
	global_load_b128 v[22:25], v[22:23], off offset:16
	s_clause 0x4
	global_load_b128 v[26:29], v[62:63], off offset:48
	global_load_b128 v[30:33], v[62:63], off offset:64
	;; [unrolled: 1-line block ×5, first 2 shown]
	v_add_co_u32 v62, vcc_lo, 0x800, v62
	v_add_co_ci_u32_e32 v63, vcc_lo, 0, v63, vcc_lo
	v_add_co_u32 v58, vcc_lo, v58, 16
	v_add_co_ci_u32_e32 v59, vcc_lo, 0, v59, vcc_lo
	v_add_co_u32 v2, vcc_lo, v2, -8
	v_add_co_ci_u32_e32 v3, vcc_lo, -1, v3, vcc_lo
	v_add_co_u32 v4, vcc_lo, 0x80, v4
	v_add_co_ci_u32_e32 v5, vcc_lo, 0, v5, vcc_lo
	s_delay_alu instid0(VALU_DEP_3)
	v_cmp_eq_u64_e32 vcc_lo, 0, v[2:3]
	s_or_b32 s7, vcc_lo, s7
	s_waitcnt vmcnt(6)
	v_fmac_f32_e32 v81, v13, v18
	v_fmac_f32_e32 v80, v17, v18
	;; [unrolled: 1-line block ×4, first 2 shown]
	s_delay_alu instid0(VALU_DEP_4) | instskip(NEXT) | instid1(VALU_DEP_4)
	v_fmac_f32_e32 v81, v12, v19
	v_dual_fmac_f32 v85, v14, v18 :: v_dual_fmac_f32 v80, v16, v19
	v_fmac_f32_e32 v83, v12, v18
	s_delay_alu instid0(VALU_DEP_2) | instskip(NEXT) | instid1(VALU_DEP_3)
	v_fma_f32 v15, -v15, v19, v85
	v_fmac_f32_e32 v80, v9, v20
	s_delay_alu instid0(VALU_DEP_2)
	v_fmac_f32_e32 v15, v6, v20
	v_fmac_f32_e32 v82, v10, v19
	v_dual_fmac_f32 v86, v16, v18 :: v_dual_fmac_f32 v79, v14, v19
	v_fmac_f32_e32 v84, v10, v18
	v_fma_f32 v10, -v13, v19, v83
	v_fmac_f32_e32 v80, v8, v21
	s_delay_alu instid0(VALU_DEP_4)
	v_fma_f32 v14, -v17, v19, v86
	v_fmac_f32_e32 v79, v7, v20
	v_fma_f32 v11, -v11, v19, v84
	s_waitcnt vmcnt(4)
	v_fmac_f32_e32 v82, v27, v20
	v_fma_f32 v7, -v7, v21, v15
	v_dual_fmac_f32 v14, v8, v20 :: v_dual_fmac_f32 v79, v6, v21
	v_fmac_f32_e32 v11, v26, v20
	s_delay_alu instid0(VALU_DEP_4) | instskip(NEXT) | instid1(VALU_DEP_3)
	v_dual_fmac_f32 v81, v29, v20 :: v_dual_fmac_f32 v82, v26, v21
	v_fma_f32 v6, -v9, v21, v14
	s_waitcnt vmcnt(3)
	v_fmac_f32_e32 v80, v33, v22
	v_dual_fmac_f32 v10, v28, v20 :: v_dual_fmac_f32 v7, v30, v22
	v_fmac_f32_e32 v81, v28, v21
	s_delay_alu instid0(VALU_DEP_3) | instskip(SKIP_3) | instid1(VALU_DEP_4)
	v_dual_fmac_f32 v79, v31, v22 :: v_dual_fmac_f32 v80, v32, v23
	v_fmac_f32_e32 v6, v32, v22
	v_fma_f32 v8, -v27, v21, v11
	v_fma_f32 v9, -v29, v21, v10
	v_fmac_f32_e32 v79, v30, v23
	v_fma_f32 v7, -v31, v23, v7
	v_fma_f32 v6, -v33, v23, v6
	s_waitcnt vmcnt(2)
	v_fmac_f32_e32 v82, v35, v22
	v_fmac_f32_e32 v81, v37, v22
	s_waitcnt vmcnt(1)
	v_fmac_f32_e32 v80, v41, v24
	v_fmac_f32_e32 v7, v38, v24
	v_dual_fmac_f32 v9, v36, v22 :: v_dual_fmac_f32 v82, v34, v23
	v_fmac_f32_e32 v6, v40, v24
	v_dual_fmac_f32 v8, v34, v22 :: v_dual_fmac_f32 v81, v36, v23
	s_delay_alu instid0(VALU_DEP_3) | instskip(SKIP_1) | instid1(VALU_DEP_3)
	v_fma_f32 v9, -v37, v23, v9
	v_dual_fmac_f32 v79, v39, v24 :: v_dual_fmac_f32 v80, v40, v25
	v_fma_f32 v8, -v35, v23, v8
	s_waitcnt vmcnt(0)
	v_fmac_f32_e32 v82, v43, v24
	v_fmac_f32_e32 v9, v44, v24
	;; [unrolled: 1-line block ×3, first 2 shown]
	v_fma_f32 v85, -v39, v25, v7
	v_fmac_f32_e32 v8, v42, v24
	v_fmac_f32_e32 v79, v38, v25
	v_fma_f32 v86, -v41, v25, v6
	v_fmac_f32_e32 v81, v44, v25
	v_fmac_f32_e32 v82, v42, v25
	v_fma_f32 v84, -v43, v25, v8
	v_fma_f32 v83, -v45, v25, v9
	s_and_not1_b32 exec_lo, exec_lo, s7
	s_cbranch_execnz .LBB52_37
; %bb.38:
	s_or_b32 exec_lo, exec_lo, s7
.LBB52_39:
	s_delay_alu instid0(SALU_CYCLE_1) | instskip(NEXT) | instid1(SALU_CYCLE_1)
	s_or_b32 exec_lo, exec_lo, s2
	s_mov_b32 s2, exec_lo
	v_cmpx_lt_u64_e32 47, v[0:1]
	s_cbranch_execz .LBB52_43
; %bb.40:
	v_lshlrev_b64 v[0:1], 3, v[58:59]
	s_mov_b32 s7, 0
	s_delay_alu instid0(VALU_DEP_1) | instskip(NEXT) | instid1(VALU_DEP_2)
	v_add_co_u32 v0, vcc_lo, v0, s8
	v_add_co_ci_u32_e32 v1, vcc_lo, s9, v1, vcc_lo
	s_delay_alu instid0(VALU_DEP_2) | instskip(NEXT) | instid1(VALU_DEP_2)
	v_add_co_u32 v0, vcc_lo, 0x100, v0
	v_add_co_ci_u32_e32 v1, vcc_lo, 0, v1, vcc_lo
.LBB52_41:                              ; =>This Inner Loop Header: Depth=1
	s_clause 0x3
	global_load_b64 v[2:3], v[0:1], off offset:-256
	global_load_b64 v[72:73], v[0:1], off offset:-128
	global_load_b64 v[135:136], v[0:1], off
	global_load_b64 v[137:138], v[0:1], off offset:128
	s_clause 0xb
	global_load_b128 v[4:7], v[62:63], off offset:48
	global_load_b128 v[8:11], v[62:63], off offset:32
	;; [unrolled: 1-line block ×3, first 2 shown]
	global_load_b128 v[16:19], v[62:63], off
	global_load_b128 v[20:23], v[62:63], off offset:112
	global_load_b128 v[24:27], v[62:63], off offset:96
	;; [unrolled: 1-line block ×8, first 2 shown]
	v_add_co_u32 v143, vcc_lo, 0x1000, v62
	v_add_co_ci_u32_e32 v144, vcc_lo, 0, v63, vcc_lo
	s_clause 0xe
	global_load_b128 v[52:55], v[62:63], off offset:2160
	global_load_b128 v[64:67], v[62:63], off offset:2144
	;; [unrolled: 1-line block ×6, first 2 shown]
	global_load_b128 v[99:102], v[143:144], off
	global_load_b128 v[103:106], v[143:144], off offset:16
	global_load_b128 v[107:110], v[143:144], off offset:112
	;; [unrolled: 1-line block ×8, first 2 shown]
	s_waitcnt vmcnt(30)
	v_sub_co_u32 v2, vcc_lo, v2, s12
	v_subrev_co_ci_u32_e32 v3, vcc_lo, s3, v3, vcc_lo
	s_waitcnt vmcnt(29)
	v_sub_co_u32 v72, vcc_lo, v72, s12
	v_subrev_co_ci_u32_e32 v73, vcc_lo, s3, v73, vcc_lo
	s_waitcnt vmcnt(28)
	v_sub_co_u32 v135, vcc_lo, v135, s12
	v_lshlrev_b64 v[2:3], 5, v[2:3]
	v_subrev_co_ci_u32_e32 v136, vcc_lo, s3, v136, vcc_lo
	s_waitcnt vmcnt(27)
	v_sub_co_u32 v137, vcc_lo, v137, s12
	v_lshlrev_b64 v[72:73], 5, v[72:73]
	v_subrev_co_ci_u32_e32 v138, vcc_lo, s3, v138, vcc_lo
	v_lshlrev_b64 v[135:136], 5, v[135:136]
	v_add_co_u32 v2, vcc_lo, s4, v2
	v_add_co_ci_u32_e32 v3, vcc_lo, s5, v3, vcc_lo
	s_delay_alu instid0(VALU_DEP_4)
	v_lshlrev_b64 v[137:138], 5, v[137:138]
	v_add_co_u32 v72, vcc_lo, s4, v72
	v_add_co_ci_u32_e32 v73, vcc_lo, s5, v73, vcc_lo
	v_add_co_u32 v145, vcc_lo, s4, v135
	v_add_co_ci_u32_e32 v146, vcc_lo, s5, v136, vcc_lo
	v_add_co_u32 v147, vcc_lo, s4, v137
	v_add_co_ci_u32_e32 v148, vcc_lo, s5, v138, vcc_lo
	s_clause 0x1
	global_load_b128 v[135:138], v[2:3], off
	global_load_b128 v[139:142], v[2:3], off offset:16
	v_add_co_u32 v58, vcc_lo, v58, 64
	v_add_co_ci_u32_e32 v59, vcc_lo, 0, v59, vcc_lo
	v_add_co_u32 v0, vcc_lo, 0x200, v0
	v_add_co_ci_u32_e32 v1, vcc_lo, 0, v1, vcc_lo
	;; [unrolled: 2-line block ×3, first 2 shown]
	v_cmp_ge_i64_e32 vcc_lo, v[58:59], v[60:61]
	s_or_b32 s7, vcc_lo, s7
	s_waitcnt vmcnt(1)
	v_fmac_f32_e32 v82, v13, v135
	v_fmac_f32_e32 v81, v15, v135
	;; [unrolled: 1-line block ×4, first 2 shown]
	s_delay_alu instid0(VALU_DEP_4) | instskip(NEXT) | instid1(VALU_DEP_4)
	v_fmac_f32_e32 v82, v12, v136
	v_fmac_f32_e32 v81, v14, v136
	s_delay_alu instid0(VALU_DEP_3) | instskip(SKIP_2) | instid1(VALU_DEP_3)
	v_dual_fmac_f32 v85, v16, v135 :: v_dual_fmac_f32 v80, v18, v136
	v_dual_fmac_f32 v86, v18, v135 :: v_dual_fmac_f32 v79, v16, v136
	v_fmac_f32_e32 v84, v12, v135
	v_fma_f32 v2, -v17, v136, v85
	v_fmac_f32_e32 v83, v14, v135
	s_delay_alu instid0(VALU_DEP_4)
	v_fma_f32 v3, -v19, v136, v86
	v_fmac_f32_e32 v79, v9, v137
	v_fma_f32 v84, -v13, v136, v84
	v_fmac_f32_e32 v2, v8, v137
	;; [unrolled: 2-line block ×3, first 2 shown]
	v_dual_fmac_f32 v80, v11, v137 :: v_dual_fmac_f32 v79, v8, v138
	s_delay_alu instid0(VALU_DEP_4) | instskip(SKIP_1) | instid1(VALU_DEP_4)
	v_fma_f32 v135, -v9, v138, v2
	v_fmac_f32_e32 v82, v5, v137
	v_fma_f32 v136, -v11, v138, v3
	v_fmac_f32_e32 v81, v7, v137
	s_clause 0x1
	global_load_b128 v[16:19], v[143:144], off offset:2048
	global_load_b128 v[12:15], v[143:144], off offset:2112
	s_waitcnt vmcnt(2)
	v_fmac_f32_e32 v135, v32, v139
	v_dual_fmac_f32 v83, v6, v137 :: v_dual_fmac_f32 v82, v4, v138
	v_fmac_f32_e32 v136, v34, v139
	v_dual_fmac_f32 v84, v4, v137 :: v_dual_fmac_f32 v81, v6, v138
	v_fmac_f32_e32 v80, v10, v138
	global_load_b128 v[8:11], v[143:144], off offset:2128
	v_fma_f32 v7, -v7, v138, v83
	v_fma_f32 v149, -v5, v138, v84
	s_clause 0x1
	global_load_b128 v[2:5], v[72:73], off
	global_load_b128 v[83:86], v[72:73], off offset:16
	v_fmac_f32_e32 v80, v35, v139
	v_fmac_f32_e32 v79, v33, v139
	v_fma_f32 v6, -v33, v140, v135
	v_fma_f32 v72, -v35, v140, v136
	s_delay_alu instid0(VALU_DEP_4) | instskip(NEXT) | instid1(VALU_DEP_4)
	v_dual_fmac_f32 v81, v31, v139 :: v_dual_fmac_f32 v80, v34, v140
	v_fmac_f32_e32 v79, v32, v140
	s_delay_alu instid0(VALU_DEP_4)
	v_fmac_f32_e32 v6, v24, v141
	s_clause 0x1
	global_load_b128 v[32:35], v[145:146], off
	global_load_b128 v[135:138], v[145:146], off offset:16
	v_dual_fmac_f32 v149, v28, v139 :: v_dual_fmac_f32 v72, v26, v141
	v_dual_fmac_f32 v82, v29, v139 :: v_dual_fmac_f32 v81, v30, v140
	v_fmac_f32_e32 v7, v30, v139
	s_delay_alu instid0(VALU_DEP_3) | instskip(SKIP_1) | instid1(VALU_DEP_4)
	v_fma_f32 v73, -v29, v140, v149
	v_fmac_f32_e32 v80, v27, v141
	v_dual_fmac_f32 v82, v28, v140 :: v_dual_fmac_f32 v79, v25, v141
	s_delay_alu instid0(VALU_DEP_4)
	v_fma_f32 v7, -v31, v140, v7
	global_load_b128 v[28:31], v[147:148], off
	v_fma_f32 v6, -v25, v142, v6
	v_fma_f32 v72, -v27, v142, v72
	v_fmac_f32_e32 v80, v26, v142
	v_fmac_f32_e32 v79, v24, v142
	global_load_b128 v[24:27], v[147:148], off offset:16
	v_fmac_f32_e32 v81, v23, v141
	s_waitcnt vmcnt(5)
	v_dual_fmac_f32 v73, v20, v141 :: v_dual_fmac_f32 v72, v50, v2
	v_fmac_f32_e32 v6, v48, v2
	s_delay_alu instid0(VALU_DEP_3) | instskip(SKIP_1) | instid1(VALU_DEP_4)
	v_dual_fmac_f32 v82, v21, v141 :: v_dual_fmac_f32 v81, v22, v142
	v_fmac_f32_e32 v7, v22, v141
	v_fma_f32 v73, -v21, v142, v73
	v_fmac_f32_e32 v80, v51, v2
	s_delay_alu instid0(VALU_DEP_4)
	v_fmac_f32_e32 v82, v20, v142
	v_fmac_f32_e32 v79, v49, v2
	v_fma_f32 v7, -v23, v142, v7
	s_clause 0x1
	global_load_b128 v[20:23], v[143:144], off offset:2144
	global_load_b128 v[139:142], v[143:144], off offset:2160
	v_dual_fmac_f32 v80, v50, v3 :: v_dual_fmac_f32 v81, v47, v2
	v_fmac_f32_e32 v73, v44, v2
	v_dual_fmac_f32 v82, v45, v2 :: v_dual_fmac_f32 v79, v48, v3
	s_delay_alu instid0(VALU_DEP_3) | instskip(NEXT) | instid1(VALU_DEP_2)
	v_dual_fmac_f32 v80, v43, v4 :: v_dual_fmac_f32 v81, v46, v3
	v_dual_fmac_f32 v7, v46, v2 :: v_dual_fmac_f32 v82, v44, v3
	v_fma_f32 v2, -v49, v3, v6
	v_fma_f32 v6, -v51, v3, v72
	s_delay_alu instid0(VALU_DEP_4) | instskip(NEXT) | instid1(VALU_DEP_4)
	v_dual_fmac_f32 v79, v41, v4 :: v_dual_fmac_f32 v80, v42, v5
	v_fma_f32 v7, -v47, v3, v7
	s_delay_alu instid0(VALU_DEP_4) | instskip(NEXT) | instid1(VALU_DEP_4)
	v_fmac_f32_e32 v2, v40, v4
	v_fmac_f32_e32 v6, v42, v4
	v_fma_f32 v45, -v45, v3, v73
	s_waitcnt vmcnt(6)
	v_dual_fmac_f32 v81, v39, v4 :: v_dual_fmac_f32 v80, v90, v83
	v_fma_f32 v2, -v41, v5, v2
	v_fmac_f32_e32 v79, v40, v5
	v_fmac_f32_e32 v45, v36, v4
	s_delay_alu instid0(VALU_DEP_4) | instskip(NEXT) | instid1(VALU_DEP_4)
	v_dual_fmac_f32 v82, v37, v4 :: v_dual_fmac_f32 v81, v38, v5
	v_dual_fmac_f32 v7, v38, v4 :: v_dual_fmac_f32 v2, v87, v83
	s_delay_alu instid0(VALU_DEP_3) | instskip(NEXT) | instid1(VALU_DEP_3)
	v_fma_f32 v4, -v37, v5, v45
	v_fmac_f32_e32 v82, v36, v5
	v_dual_fmac_f32 v79, v88, v83 :: v_dual_fmac_f32 v80, v89, v84
	v_fma_f32 v3, -v43, v5, v6
	v_fma_f32 v6, -v39, v5, v7
	s_delay_alu instid0(VALU_DEP_3) | instskip(SKIP_2) | instid1(VALU_DEP_4)
	v_dual_fmac_f32 v4, v68, v83 :: v_dual_fmac_f32 v79, v87, v84
	v_fma_f32 v2, -v88, v84, v2
	v_fmac_f32_e32 v81, v71, v83
	v_fmac_f32_e32 v6, v70, v83
	s_delay_alu instid0(VALU_DEP_4) | instskip(SKIP_4) | instid1(VALU_DEP_4)
	v_fma_f32 v4, -v69, v84, v4
	v_fmac_f32_e32 v79, v65, v85
	v_fmac_f32_e32 v2, v64, v85
	v_dual_fmac_f32 v82, v69, v83 :: v_dual_fmac_f32 v81, v70, v84
	v_dual_fmac_f32 v3, v89, v83 :: v_dual_fmac_f32 v80, v67, v85
	v_fmac_f32_e32 v79, v64, v86
	s_delay_alu instid0(VALU_DEP_3) | instskip(SKIP_1) | instid1(VALU_DEP_4)
	v_fmac_f32_e32 v82, v68, v84
	v_fma_f32 v5, -v71, v84, v6
	v_fma_f32 v3, -v90, v84, v3
	v_dual_fmac_f32 v81, v55, v85 :: v_dual_fmac_f32 v80, v66, v86
	s_waitcnt vmcnt(5)
	v_dual_fmac_f32 v82, v53, v85 :: v_dual_fmac_f32 v79, v100, v32
	s_delay_alu instid0(VALU_DEP_3) | instskip(NEXT) | instid1(VALU_DEP_3)
	v_fmac_f32_e32 v3, v66, v85
	v_dual_fmac_f32 v4, v52, v85 :: v_dual_fmac_f32 v81, v54, v86
	s_delay_alu instid0(VALU_DEP_3) | instskip(SKIP_1) | instid1(VALU_DEP_4)
	v_fmac_f32_e32 v82, v52, v86
	v_fma_f32 v2, -v65, v86, v2
	v_fma_f32 v3, -v67, v86, v3
	v_fmac_f32_e32 v5, v54, v85
	v_dual_fmac_f32 v80, v102, v32 :: v_dual_fmac_f32 v79, v99, v33
	v_fmac_f32_e32 v82, v104, v32
	s_delay_alu instid0(VALU_DEP_4)
	v_fmac_f32_e32 v3, v101, v32
	v_fmac_f32_e32 v2, v99, v32
	v_fma_f32 v5, -v55, v86, v5
	v_dual_fmac_f32 v81, v106, v32 :: v_dual_fmac_f32 v80, v101, v33
	v_fmac_f32_e32 v82, v103, v33
	v_fma_f32 v3, -v102, v33, v3
	v_fma_f32 v4, -v53, v86, v4
	;; [unrolled: 1-line block ×3, first 2 shown]
	v_dual_fmac_f32 v5, v105, v32 :: v_dual_fmac_f32 v80, v98, v34
	v_fmac_f32_e32 v79, v96, v34
	s_delay_alu instid0(VALU_DEP_4) | instskip(NEXT) | instid1(VALU_DEP_4)
	v_dual_fmac_f32 v3, v97, v34 :: v_dual_fmac_f32 v4, v103, v32
	v_dual_fmac_f32 v81, v105, v33 :: v_dual_fmac_f32 v2, v95, v34
	s_delay_alu instid0(VALU_DEP_4) | instskip(NEXT) | instid1(VALU_DEP_3)
	v_fma_f32 v5, -v106, v33, v5
	v_fma_f32 v3, -v98, v35, v3
	v_fmac_f32_e32 v80, v97, v35
	v_fmac_f32_e32 v79, v95, v35
	v_fma_f32 v4, -v104, v33, v4
	s_waitcnt vmcnt(4)
	v_dual_fmac_f32 v82, v92, v34 :: v_dual_fmac_f32 v3, v121, v135
	v_fmac_f32_e32 v5, v93, v34
	v_fma_f32 v2, -v96, v35, v2
	v_fmac_f32_e32 v80, v122, v135
	v_fmac_f32_e32 v79, v120, v135
	v_dual_fmac_f32 v81, v94, v34 :: v_dual_fmac_f32 v82, v91, v35
	s_delay_alu instid0(VALU_DEP_4) | instskip(SKIP_2) | instid1(VALU_DEP_4)
	v_fmac_f32_e32 v2, v119, v135
	v_fmac_f32_e32 v4, v91, v34
	v_fma_f32 v5, -v94, v35, v5
	v_fmac_f32_e32 v81, v93, v35
	v_fma_f32 v3, -v122, v136, v3
	v_fmac_f32_e32 v80, v121, v136
	v_fmac_f32_e32 v79, v119, v136
	v_fma_f32 v4, -v92, v35, v4
	s_delay_alu instid0(VALU_DEP_4)
	v_dual_fmac_f32 v82, v116, v135 :: v_dual_fmac_f32 v3, v113, v137
	v_fmac_f32_e32 v5, v117, v135
	v_fma_f32 v2, -v120, v136, v2
	v_fmac_f32_e32 v80, v114, v137
	v_fmac_f32_e32 v79, v112, v137
	v_dual_fmac_f32 v81, v118, v135 :: v_dual_fmac_f32 v82, v115, v136
	s_delay_alu instid0(VALU_DEP_4) | instskip(SKIP_2) | instid1(VALU_DEP_4)
	v_fmac_f32_e32 v2, v111, v137
	v_fmac_f32_e32 v4, v115, v135
	v_fma_f32 v5, -v118, v136, v5
	v_fmac_f32_e32 v81, v117, v136
	v_fmac_f32_e32 v80, v113, v138
	;; [unrolled: 1-line block ×3, first 2 shown]
	v_fma_f32 v4, -v116, v136, v4
	v_fmac_f32_e32 v82, v108, v137
	v_fma_f32 v2, -v112, v138, v2
	v_fmac_f32_e32 v81, v110, v137
	s_waitcnt vmcnt(3)
	v_fmac_f32_e32 v79, v17, v28
	v_dual_fmac_f32 v5, v109, v137 :: v_dual_fmac_f32 v82, v107, v138
	v_fmac_f32_e32 v2, v16, v28
	v_dual_fmac_f32 v4, v107, v137 :: v_dual_fmac_f32 v81, v109, v138
	s_delay_alu instid0(VALU_DEP_3) | instskip(SKIP_2) | instid1(VALU_DEP_4)
	v_fma_f32 v5, -v110, v138, v5
	v_dual_fmac_f32 v80, v19, v28 :: v_dual_fmac_f32 v79, v16, v29
	v_fma_f32 v3, -v114, v138, v3
	v_fma_f32 v4, -v108, v138, v4
	s_delay_alu instid0(VALU_DEP_3)
	v_dual_fmac_f32 v5, v133, v28 :: v_dual_fmac_f32 v80, v18, v29
	v_fma_f32 v2, -v17, v29, v2
	v_fmac_f32_e32 v82, v132, v28
	v_fmac_f32_e32 v3, v18, v28
	;; [unrolled: 1-line block ×5, first 2 shown]
	v_dual_fmac_f32 v4, v131, v28 :: v_dual_fmac_f32 v79, v128, v30
	v_fmac_f32_e32 v82, v131, v29
	s_delay_alu instid0(VALU_DEP_4)
	v_fmac_f32_e32 v80, v129, v31
	v_fma_f32 v3, -v19, v29, v3
	v_fma_f32 v5, -v134, v29, v5
	v_fmac_f32_e32 v81, v133, v29
	v_fma_f32 v4, -v132, v29, v4
	v_fma_f32 v2, -v128, v31, v2
	v_fmac_f32_e32 v79, v127, v31
	v_fmac_f32_e32 v3, v129, v30
	;; [unrolled: 1-line block ×3, first 2 shown]
	s_waitcnt vmcnt(2)
	v_dual_fmac_f32 v81, v126, v30 :: v_dual_fmac_f32 v2, v12, v24
	v_dual_fmac_f32 v4, v123, v30 :: v_dual_fmac_f32 v79, v13, v24
	s_delay_alu instid0(VALU_DEP_3) | instskip(SKIP_1) | instid1(VALU_DEP_4)
	v_dual_fmac_f32 v5, v125, v30 :: v_dual_fmac_f32 v82, v123, v31
	v_fma_f32 v3, -v130, v31, v3
	v_fmac_f32_e32 v81, v125, v31
	s_delay_alu instid0(VALU_DEP_4) | instskip(NEXT) | instid1(VALU_DEP_4)
	v_fma_f32 v4, -v124, v31, v4
	v_fma_f32 v5, -v126, v31, v5
	v_dual_fmac_f32 v80, v15, v24 :: v_dual_fmac_f32 v79, v12, v25
	v_fmac_f32_e32 v82, v9, v24
	v_fmac_f32_e32 v3, v14, v24
	s_delay_alu instid0(VALU_DEP_3)
	v_dual_fmac_f32 v81, v11, v24 :: v_dual_fmac_f32 v80, v14, v25
	v_fmac_f32_e32 v4, v8, v24
	v_fma_f32 v2, -v13, v25, v2
	v_dual_fmac_f32 v5, v10, v24 :: v_dual_fmac_f32 v82, v8, v25
	v_fma_f32 v3, -v15, v25, v3
	v_fmac_f32_e32 v81, v10, v25
	v_fma_f32 v4, -v9, v25, v4
	s_waitcnt vmcnt(1)
	v_fmac_f32_e32 v2, v20, v26
	v_fma_f32 v5, -v11, v25, v5
	v_fmac_f32_e32 v3, v22, v26
	v_fmac_f32_e32 v80, v23, v26
	;; [unrolled: 1-line block ×3, first 2 shown]
	s_waitcnt vmcnt(0)
	v_fmac_f32_e32 v82, v140, v26
	v_fmac_f32_e32 v5, v141, v26
	;; [unrolled: 1-line block ×4, first 2 shown]
	v_fma_f32 v85, -v21, v27, v2
	v_fma_f32 v86, -v23, v27, v3
	v_fmac_f32_e32 v80, v22, v27
	v_fmac_f32_e32 v81, v141, v27
	;; [unrolled: 1-line block ×3, first 2 shown]
	v_fma_f32 v84, -v140, v27, v4
	v_fmac_f32_e32 v82, v139, v27
	v_fma_f32 v83, -v142, v27, v5
	s_and_not1_b32 exec_lo, exec_lo, s7
	s_cbranch_execnz .LBB52_41
; %bb.42:
	s_or_b32 exec_lo, exec_lo, s7
.LBB52_43:
	s_delay_alu instid0(SALU_CYCLE_1)
	s_or_b32 exec_lo, exec_lo, s2
.LBB52_44:
	s_delay_alu instid0(SALU_CYCLE_1)
	s_or_b32 exec_lo, exec_lo, s6
.LBB52_45:
	v_mbcnt_lo_u32_b32 v0, -1, 0
	s_delay_alu instid0(VALU_DEP_1) | instskip(SKIP_2) | instid1(VALU_DEP_3)
	v_xor_b32_e32 v1, 8, v0
	v_xor_b32_e32 v9, 4, v0
	;; [unrolled: 1-line block ×3, first 2 shown]
	v_cmp_gt_i32_e32 vcc_lo, 32, v1
	v_cndmask_b32_e32 v1, v0, v1, vcc_lo
	s_delay_alu instid0(VALU_DEP_4) | instskip(NEXT) | instid1(VALU_DEP_2)
	v_cmp_gt_i32_e32 vcc_lo, 32, v9
	v_lshlrev_b32_e32 v1, 2, v1
	ds_bpermute_b32 v4, v1, v86
	s_waitcnt lgkmcnt(0)
	v_add_f32_e32 v4, v86, v4
	ds_bpermute_b32 v2, v1, v85
	ds_bpermute_b32 v6, v1, v84
	;; [unrolled: 1-line block ×3, first 2 shown]
	v_cndmask_b32_e32 v9, v0, v9, vcc_lo
	ds_bpermute_b32 v3, v1, v79
	ds_bpermute_b32 v5, v1, v80
	;; [unrolled: 1-line block ×4, first 2 shown]
	v_cmp_gt_i32_e32 vcc_lo, 32, v17
	s_waitcnt lgkmcnt(6)
	v_dual_cndmask_b32 v17, v0, v17 :: v_dual_add_f32 v2, v85, v2
	s_waitcnt lgkmcnt(5)
	v_add_f32_e32 v6, v84, v6
	s_waitcnt lgkmcnt(4)
	v_dual_add_f32 v8, v83, v8 :: v_dual_lshlrev_b32 v9, 2, v9
	ds_bpermute_b32 v10, v9, v2
	ds_bpermute_b32 v12, v9, v4
	;; [unrolled: 1-line block ×4, first 2 shown]
	s_waitcnt lgkmcnt(7)
	v_add_f32_e32 v3, v79, v3
	s_waitcnt lgkmcnt(6)
	v_add_f32_e32 v5, v80, v5
	;; [unrolled: 2-line block ×3, first 2 shown]
	s_waitcnt lgkmcnt(3)
	v_dual_add_f32 v1, v81, v1 :: v_dual_add_f32 v2, v2, v10
	ds_bpermute_b32 v11, v9, v3
	s_waitcnt lgkmcnt(3)
	v_add_f32_e32 v4, v4, v12
	s_waitcnt lgkmcnt(1)
	v_add_f32_e32 v8, v8, v16
	ds_bpermute_b32 v15, v9, v7
	v_add_f32_e32 v6, v6, v14
	ds_bpermute_b32 v13, v9, v5
	ds_bpermute_b32 v9, v9, v1
	v_lshlrev_b32_e32 v17, 2, v17
	s_waitcnt lgkmcnt(3)
	v_add_f32_e32 v3, v3, v11
	ds_bpermute_b32 v11, v17, v4
	ds_bpermute_b32 v10, v17, v3
	s_waitcnt lgkmcnt(2)
	v_add_f32_e32 v9, v1, v9
	ds_bpermute_b32 v1, v17, v2
	v_add_f32_e32 v7, v7, v15
	ds_bpermute_b32 v15, v17, v8
	;; [unrolled: 2-line block ×3, first 2 shown]
	ds_bpermute_b32 v16, v17, v9
	ds_bpermute_b32 v14, v17, v7
	ds_bpermute_b32 v12, v17, v5
	v_xor_b32_e32 v17, 1, v0
	s_delay_alu instid0(VALU_DEP_1) | instskip(SKIP_3) | instid1(VALU_DEP_2)
	v_cmp_gt_i32_e32 vcc_lo, 32, v17
	v_cndmask_b32_e32 v0, v0, v17, vcc_lo
	v_cmp_eq_u32_e32 vcc_lo, 15, v78
	s_waitcnt lgkmcnt(5)
	v_dual_add_f32 v0, v2, v1 :: v_dual_lshlrev_b32 v17, 2, v0
	v_dual_add_f32 v1, v3, v10 :: v_dual_add_f32 v2, v4, v11
	s_waitcnt lgkmcnt(3)
	v_add_f32_e32 v4, v6, v13
	s_waitcnt lgkmcnt(0)
	v_dual_add_f32 v6, v8, v15 :: v_dual_add_f32 v3, v5, v12
	v_add_f32_e32 v5, v7, v14
	v_add_f32_e32 v7, v9, v16
	ds_bpermute_b32 v8, v17, v0
	ds_bpermute_b32 v9, v17, v1
	;; [unrolled: 1-line block ×8, first 2 shown]
	s_and_b32 exec_lo, exec_lo, vcc_lo
	s_cbranch_execz .LBB52_13
; %bb.46:
	s_load_b64 s[2:3], s[0:1], 0x58
	s_waitcnt lgkmcnt(0)
	v_add_f32_e32 v8, v0, v8
	v_add_f32_e32 v0, v1, v9
	v_dual_add_f32 v10, v2, v10 :: v_dual_add_f32 v1, v3, v11
	v_add_f32_e32 v3, v7, v15
	v_dual_add_f32 v11, v4, v12 :: v_dual_add_f32 v2, v5, v13
	s_delay_alu instid0(VALU_DEP_4)
	v_mul_f32_e32 v5, v0, v76
	v_mul_f32_e64 v4, v0, -v77
	v_dual_add_f32 v12, v6, v14 :: v_dual_mul_f32 v7, v1, v76
	v_mul_f32_e64 v6, v1, -v77
	v_mul_f32_e64 v0, v2, -v77
	v_mul_f32_e32 v1, v2, v76
	v_mul_f32_e64 v2, v3, -v77
	v_mul_f32_e32 v3, v3, v76
	v_cmp_eq_f32_e32 vcc_lo, 0, v74
	v_fmac_f32_e32 v0, v76, v11
	v_cmp_eq_f32_e64 s0, 0, v75
	v_dual_fmac_f32 v4, v76, v8 :: v_dual_fmac_f32 v7, v77, v10
	v_fmac_f32_e32 v5, v77, v8
	v_lshlrev_b64 v[8:9], 5, v[56:57]
	v_dual_fmac_f32 v6, v76, v10 :: v_dual_fmac_f32 v1, v77, v11
	v_fmac_f32_e32 v2, v76, v12
	v_fmac_f32_e32 v3, v77, v12
	s_and_b32 s0, vcc_lo, s0
	s_delay_alu instid0(SALU_CYCLE_1) | instskip(NEXT) | instid1(SALU_CYCLE_1)
	s_and_saveexec_b32 s1, s0
	s_xor_b32 s0, exec_lo, s1
; %bb.47:
	v_add_co_u32 v8, vcc_lo, s2, v8
	v_add_co_ci_u32_e32 v9, vcc_lo, s3, v9, vcc_lo
                                        ; implicit-def: $vgpr74
                                        ; implicit-def: $vgpr75
	s_clause 0x1
	global_store_b128 v[8:9], v[4:7], off
	global_store_b128 v[8:9], v[0:3], off offset:16
                                        ; implicit-def: $vgpr4
                                        ; implicit-def: $vgpr8_vgpr9
                                        ; implicit-def: $vgpr0
; %bb.48:
	s_and_not1_saveexec_b32 s0, s0
	s_cbranch_execz .LBB52_13
; %bb.49:
	v_add_co_u32 v16, vcc_lo, s2, v8
	v_add_co_ci_u32_e32 v17, vcc_lo, s3, v9, vcc_lo
	s_clause 0x1
	global_load_b128 v[8:11], v[16:17], off
	global_load_b128 v[12:15], v[16:17], off offset:16
	s_waitcnt vmcnt(1)
	v_dual_fmac_f32 v4, v74, v8 :: v_dual_fmac_f32 v7, v75, v10
	v_dual_fmac_f32 v5, v75, v8 :: v_dual_fmac_f32 v6, v74, v10
	s_waitcnt vmcnt(0)
	v_dual_fmac_f32 v0, v74, v12 :: v_dual_fmac_f32 v3, v75, v14
	v_dual_fmac_f32 v1, v75, v12 :: v_dual_fmac_f32 v2, v74, v14
	v_fma_f32 v4, -v75, v9, v4
	v_fmac_f32_e32 v5, v74, v9
	v_fma_f32 v6, -v75, v11, v6
	v_fmac_f32_e32 v7, v74, v11
	;; [unrolled: 2-line block ×4, first 2 shown]
	s_clause 0x1
	global_store_b128 v[16:17], v[4:7], off
	global_store_b128 v[16:17], v[0:3], off offset:16
	s_nop 0
	s_sendmsg sendmsg(MSG_DEALLOC_VGPRS)
	s_endpgm
	.section	.rodata,"a",@progbits
	.p2align	6, 0x0
	.amdhsa_kernel _ZN9rocsparseL18bsrxmvn_4x4_kernelILj128ELj16E21rocsparse_complex_numIfEllS2_S2_S2_EEvT3_20rocsparse_direction_NS_24const_host_device_scalarIT1_EES3_PKS3_PKT2_SC_S9_PKT4_PKT5_S7_PT6_21rocsparse_index_base_b
		.amdhsa_group_segment_fixed_size 0
		.amdhsa_private_segment_fixed_size 0
		.amdhsa_kernarg_size 104
		.amdhsa_user_sgpr_count 15
		.amdhsa_user_sgpr_dispatch_ptr 0
		.amdhsa_user_sgpr_queue_ptr 0
		.amdhsa_user_sgpr_kernarg_segment_ptr 1
		.amdhsa_user_sgpr_dispatch_id 0
		.amdhsa_user_sgpr_private_segment_size 0
		.amdhsa_wavefront_size32 1
		.amdhsa_uses_dynamic_stack 0
		.amdhsa_enable_private_segment 0
		.amdhsa_system_sgpr_workgroup_id_x 1
		.amdhsa_system_sgpr_workgroup_id_y 0
		.amdhsa_system_sgpr_workgroup_id_z 0
		.amdhsa_system_sgpr_workgroup_info 0
		.amdhsa_system_vgpr_workitem_id 0
		.amdhsa_next_free_vgpr 179
		.amdhsa_next_free_sgpr 16
		.amdhsa_reserve_vcc 1
		.amdhsa_float_round_mode_32 0
		.amdhsa_float_round_mode_16_64 0
		.amdhsa_float_denorm_mode_32 3
		.amdhsa_float_denorm_mode_16_64 3
		.amdhsa_dx10_clamp 1
		.amdhsa_ieee_mode 1
		.amdhsa_fp16_overflow 0
		.amdhsa_workgroup_processor_mode 1
		.amdhsa_memory_ordered 1
		.amdhsa_forward_progress 0
		.amdhsa_shared_vgpr_count 0
		.amdhsa_exception_fp_ieee_invalid_op 0
		.amdhsa_exception_fp_denorm_src 0
		.amdhsa_exception_fp_ieee_div_zero 0
		.amdhsa_exception_fp_ieee_overflow 0
		.amdhsa_exception_fp_ieee_underflow 0
		.amdhsa_exception_fp_ieee_inexact 0
		.amdhsa_exception_int_div_zero 0
	.end_amdhsa_kernel
	.section	.text._ZN9rocsparseL18bsrxmvn_4x4_kernelILj128ELj16E21rocsparse_complex_numIfEllS2_S2_S2_EEvT3_20rocsparse_direction_NS_24const_host_device_scalarIT1_EES3_PKS3_PKT2_SC_S9_PKT4_PKT5_S7_PT6_21rocsparse_index_base_b,"axG",@progbits,_ZN9rocsparseL18bsrxmvn_4x4_kernelILj128ELj16E21rocsparse_complex_numIfEllS2_S2_S2_EEvT3_20rocsparse_direction_NS_24const_host_device_scalarIT1_EES3_PKS3_PKT2_SC_S9_PKT4_PKT5_S7_PT6_21rocsparse_index_base_b,comdat
.Lfunc_end52:
	.size	_ZN9rocsparseL18bsrxmvn_4x4_kernelILj128ELj16E21rocsparse_complex_numIfEllS2_S2_S2_EEvT3_20rocsparse_direction_NS_24const_host_device_scalarIT1_EES3_PKS3_PKT2_SC_S9_PKT4_PKT5_S7_PT6_21rocsparse_index_base_b, .Lfunc_end52-_ZN9rocsparseL18bsrxmvn_4x4_kernelILj128ELj16E21rocsparse_complex_numIfEllS2_S2_S2_EEvT3_20rocsparse_direction_NS_24const_host_device_scalarIT1_EES3_PKS3_PKT2_SC_S9_PKT4_PKT5_S7_PT6_21rocsparse_index_base_b
                                        ; -- End function
	.section	.AMDGPU.csdata,"",@progbits
; Kernel info:
; codeLenInByte = 7588
; NumSgprs: 18
; NumVgprs: 179
; ScratchSize: 0
; MemoryBound: 0
; FloatMode: 240
; IeeeMode: 1
; LDSByteSize: 0 bytes/workgroup (compile time only)
; SGPRBlocks: 2
; VGPRBlocks: 22
; NumSGPRsForWavesPerEU: 18
; NumVGPRsForWavesPerEU: 179
; Occupancy: 8
; WaveLimiterHint : 1
; COMPUTE_PGM_RSRC2:SCRATCH_EN: 0
; COMPUTE_PGM_RSRC2:USER_SGPR: 15
; COMPUTE_PGM_RSRC2:TRAP_HANDLER: 0
; COMPUTE_PGM_RSRC2:TGID_X_EN: 1
; COMPUTE_PGM_RSRC2:TGID_Y_EN: 0
; COMPUTE_PGM_RSRC2:TGID_Z_EN: 0
; COMPUTE_PGM_RSRC2:TIDIG_COMP_CNT: 0
	.section	.text._ZN9rocsparseL18bsrxmvn_4x4_kernelILj128ELj32E21rocsparse_complex_numIfEllS2_S2_S2_EEvT3_20rocsparse_direction_NS_24const_host_device_scalarIT1_EES3_PKS3_PKT2_SC_S9_PKT4_PKT5_S7_PT6_21rocsparse_index_base_b,"axG",@progbits,_ZN9rocsparseL18bsrxmvn_4x4_kernelILj128ELj32E21rocsparse_complex_numIfEllS2_S2_S2_EEvT3_20rocsparse_direction_NS_24const_host_device_scalarIT1_EES3_PKS3_PKT2_SC_S9_PKT4_PKT5_S7_PT6_21rocsparse_index_base_b,comdat
	.globl	_ZN9rocsparseL18bsrxmvn_4x4_kernelILj128ELj32E21rocsparse_complex_numIfEllS2_S2_S2_EEvT3_20rocsparse_direction_NS_24const_host_device_scalarIT1_EES3_PKS3_PKT2_SC_S9_PKT4_PKT5_S7_PT6_21rocsparse_index_base_b ; -- Begin function _ZN9rocsparseL18bsrxmvn_4x4_kernelILj128ELj32E21rocsparse_complex_numIfEllS2_S2_S2_EEvT3_20rocsparse_direction_NS_24const_host_device_scalarIT1_EES3_PKS3_PKT2_SC_S9_PKT4_PKT5_S7_PT6_21rocsparse_index_base_b
	.p2align	8
	.type	_ZN9rocsparseL18bsrxmvn_4x4_kernelILj128ELj32E21rocsparse_complex_numIfEllS2_S2_S2_EEvT3_20rocsparse_direction_NS_24const_host_device_scalarIT1_EES3_PKS3_PKT2_SC_S9_PKT4_PKT5_S7_PT6_21rocsparse_index_base_b,@function
_ZN9rocsparseL18bsrxmvn_4x4_kernelILj128ELj32E21rocsparse_complex_numIfEllS2_S2_S2_EEvT3_20rocsparse_direction_NS_24const_host_device_scalarIT1_EES3_PKS3_PKT2_SC_S9_PKT4_PKT5_S7_PT6_21rocsparse_index_base_b: ; @_ZN9rocsparseL18bsrxmvn_4x4_kernelILj128ELj32E21rocsparse_complex_numIfEllS2_S2_S2_EEvT3_20rocsparse_direction_NS_24const_host_device_scalarIT1_EES3_PKS3_PKT2_SC_S9_PKT4_PKT5_S7_PT6_21rocsparse_index_base_b
; %bb.0:
	s_clause 0x2
	s_load_b64 s[12:13], s[0:1], 0x60
	s_load_b128 s[4:7], s[0:1], 0x10
	s_load_b64 s[2:3], s[0:1], 0x50
	s_waitcnt lgkmcnt(0)
	s_bitcmp1_b32 s13, 0
	v_mov_b32_e32 v48, s4
	s_cselect_b32 s8, -1, 0
	s_delay_alu instid0(SALU_CYCLE_1)
	s_and_b32 vcc_lo, exec_lo, s8
	s_xor_b32 s8, s8, -1
	s_cbranch_vccz .LBB53_14
; %bb.1:
	v_cndmask_b32_e64 v1, 0, 1, s8
	v_mov_b32_e32 v49, s5
	s_and_not1_b32 vcc_lo, exec_lo, s8
	s_cbranch_vccz .LBB53_15
.LBB53_2:
	s_delay_alu instid0(VALU_DEP_2)
	v_cmp_ne_u32_e32 vcc_lo, 1, v1
	v_mov_b32_e32 v46, s2
	s_cbranch_vccz .LBB53_16
.LBB53_3:
	v_cmp_ne_u32_e32 vcc_lo, 1, v1
	v_mov_b32_e32 v47, s3
	s_cbranch_vccnz .LBB53_5
.LBB53_4:
	v_dual_mov_b32 v1, s2 :: v_dual_mov_b32 v2, s3
	flat_load_b32 v47, v[1:2] offset:4
.LBB53_5:
	s_waitcnt vmcnt(0) lgkmcnt(0)
	v_cmp_eq_f32_e32 vcc_lo, 0, v48
	v_cmp_eq_f32_e64 s2, 0, v49
	s_delay_alu instid0(VALU_DEP_1)
	s_and_b32 s4, vcc_lo, s2
	s_mov_b32 s2, -1
	s_and_saveexec_b32 s3, s4
; %bb.6:
	v_cmp_neq_f32_e32 vcc_lo, 1.0, v46
	v_cmp_neq_f32_e64 s2, 0, v47
	s_delay_alu instid0(VALU_DEP_1) | instskip(NEXT) | instid1(SALU_CYCLE_1)
	s_or_b32 s2, vcc_lo, s2
	s_or_not1_b32 s2, s2, exec_lo
; %bb.7:
	s_or_b32 exec_lo, exec_lo, s3
	s_and_saveexec_b32 s3, s2
	s_cbranch_execz .LBB53_13
; %bb.8:
	s_load_b64 s[4:5], s[0:1], 0x20
	v_lshrrev_b32_e32 v1, 5, v0
	v_mov_b32_e32 v2, 0
	s_mov_b32 s8, 0
	s_delay_alu instid0(VALU_DEP_2)
	v_lshl_or_b32 v1, s15, 2, v1
	s_waitcnt lgkmcnt(0)
	s_cmp_lg_u64 s[4:5], 0
	s_cbranch_scc0 .LBB53_17
; %bb.9:
	s_delay_alu instid0(VALU_DEP_1) | instskip(SKIP_2) | instid1(SALU_CYCLE_1)
	v_cmp_gt_i64_e32 vcc_lo, s[6:7], v[1:2]
	s_mov_b32 s6, 0
                                        ; implicit-def: $vgpr28_vgpr29
	s_and_saveexec_b32 s2, vcc_lo
	s_xor_b32 s7, exec_lo, s2
                                        ; implicit-def: $sgpr2_sgpr3
	s_cbranch_execz .LBB53_11
; %bb.10:
	v_lshlrev_b64 v[3:4], 3, v[1:2]
	s_mov_b32 s8, exec_lo
	s_mov_b32 s3, 0
	s_delay_alu instid0(VALU_DEP_1) | instskip(NEXT) | instid1(VALU_DEP_2)
	v_add_co_u32 v3, vcc_lo, s4, v3
	v_add_co_ci_u32_e32 v4, vcc_lo, s5, v4, vcc_lo
	global_load_b64 v[3:4], v[3:4], off
	s_waitcnt vmcnt(0)
	v_sub_co_u32 v28, vcc_lo, v3, s12
	v_subrev_co_ci_u32_e32 v29, vcc_lo, 0, v4, vcc_lo
.LBB53_11:
	s_or_b32 exec_lo, exec_lo, s7
	s_delay_alu instid0(SALU_CYCLE_1)
	s_and_b32 vcc_lo, exec_lo, s6
	s_cbranch_vccnz .LBB53_18
.LBB53_12:
	s_and_b32 exec_lo, exec_lo, s8
	s_cbranch_execnz .LBB53_21
.LBB53_13:
	s_nop 0
	s_sendmsg sendmsg(MSG_DEALLOC_VGPRS)
	s_endpgm
.LBB53_14:
	v_dual_mov_b32 v1, s4 :: v_dual_mov_b32 v2, s5
	flat_load_b32 v48, v[1:2]
	v_cndmask_b32_e64 v1, 0, 1, s8
	v_mov_b32_e32 v49, s5
	s_and_not1_b32 vcc_lo, exec_lo, s8
	s_cbranch_vccnz .LBB53_2
.LBB53_15:
	v_dual_mov_b32 v2, s4 :: v_dual_mov_b32 v3, s5
	flat_load_b32 v49, v[2:3] offset:4
	v_cmp_ne_u32_e32 vcc_lo, 1, v1
	v_mov_b32_e32 v46, s2
	s_cbranch_vccnz .LBB53_3
.LBB53_16:
	v_dual_mov_b32 v2, s2 :: v_dual_mov_b32 v3, s3
	flat_load_b32 v46, v[2:3]
	v_cmp_ne_u32_e32 vcc_lo, 1, v1
	v_mov_b32_e32 v47, s3
	s_cbranch_vccz .LBB53_4
	s_branch .LBB53_5
.LBB53_17:
                                        ; implicit-def: $vgpr28_vgpr29
                                        ; implicit-def: $sgpr2_sgpr3
	s_cbranch_execz .LBB53_12
.LBB53_18:
	s_load_b64 s[2:3], s[0:1], 0x0
	s_mov_b32 s4, exec_lo
                                        ; implicit-def: $vgpr28_vgpr29
	s_waitcnt lgkmcnt(0)
	v_cmpx_gt_i64_e64 s[2:3], v[1:2]
                                        ; implicit-def: $sgpr2_sgpr3
; %bb.19:
	v_dual_mov_b32 v29, v2 :: v_dual_mov_b32 v28, v1
	s_mov_b32 s3, 0
	s_or_b32 s8, s8, exec_lo
; %bb.20:
	s_or_b32 exec_lo, exec_lo, s4
	s_delay_alu instid0(SALU_CYCLE_1)
	s_and_b32 exec_lo, exec_lo, s8
	s_cbranch_execz .LBB53_13
.LBB53_21:
	s_load_b256 s[4:11], s[0:1], 0x28
	v_lshlrev_b64 v[1:2], 3, v[28:29]
	v_dual_mov_b32 v51, 0 :: v_dual_and_b32 v50, 31, v0
	s_waitcnt lgkmcnt(0)
	s_delay_alu instid0(VALU_DEP_2) | instskip(NEXT) | instid1(VALU_DEP_3)
	v_add_co_u32 v3, vcc_lo, s4, v1
	v_add_co_ci_u32_e32 v4, vcc_lo, s5, v2, vcc_lo
	v_add_co_u32 v1, vcc_lo, s6, v1
	v_add_co_ci_u32_e32 v2, vcc_lo, s7, v2, vcc_lo
	s_delay_alu instid0(VALU_DEP_4)
	v_add_co_u32 v5, vcc_lo, v3, 8
	global_load_b64 v[36:37], v[3:4], off
	v_add_co_ci_u32_e32 v6, vcc_lo, 0, v4, vcc_lo
	s_cmp_eq_u64 s[6:7], 0
	s_clause 0x1
	s_load_b32 s6, s[0:1], 0x8
	s_load_b64 s[4:5], s[0:1], 0x48
	s_cselect_b32 vcc_lo, -1, 0
	v_dual_cndmask_b32 v2, v2, v6 :: v_dual_cndmask_b32 v1, v1, v5
	global_load_b64 v[1:2], v[1:2], off
	s_waitcnt lgkmcnt(0)
	s_cmp_eq_u32 s6, 1
	s_waitcnt vmcnt(1)
	v_sub_co_u32 v0, vcc_lo, v36, s12
	v_subrev_co_ci_u32_e32 v3, vcc_lo, s3, v37, vcc_lo
	s_delay_alu instid0(VALU_DEP_2) | instskip(NEXT) | instid1(VALU_DEP_2)
	v_add_co_u32 v30, vcc_lo, v0, v50
	v_add_co_ci_u32_e32 v31, vcc_lo, 0, v3, vcc_lo
	s_waitcnt vmcnt(0)
	v_sub_co_u32 v32, vcc_lo, v1, s12
	s_delay_alu instid0(VALU_DEP_2) | instskip(SKIP_1) | instid1(VALU_DEP_2)
	v_lshlrev_b64 v[0:1], 7, v[30:31]
	v_subrev_co_ci_u32_e32 v33, vcc_lo, s3, v2, vcc_lo
	v_add_co_u32 v34, vcc_lo, s10, v0
	s_delay_alu instid0(VALU_DEP_2) | instskip(NEXT) | instid1(VALU_DEP_4)
	v_cmp_lt_i64_e64 s2, v[30:31], v[32:33]
	v_add_co_ci_u32_e32 v35, vcc_lo, s11, v1, vcc_lo
	s_cbranch_scc1 .LBB53_33
; %bb.22:
	v_dual_mov_b32 v57, 0 :: v_dual_mov_b32 v56, 0
	v_dual_mov_b32 v55, 0 :: v_dual_mov_b32 v54, 0
	;; [unrolled: 1-line block ×3, first 2 shown]
	v_mov_b32_e32 v52, 0
	s_mov_b32 s6, 0
	s_and_saveexec_b32 s7, s2
	s_cbranch_execz .LBB53_32
; %bb.23:
	v_or_b32_e32 v0, 32, v50
	v_not_b32_e32 v3, v36
	v_not_b32_e32 v2, v37
	v_dual_mov_b32 v56, 0 :: v_dual_mov_b32 v39, v35
	s_delay_alu instid0(VALU_DEP_4) | instskip(NEXT) | instid1(VALU_DEP_1)
	v_sub_co_u32 v0, s10, v0, s12
	v_sub_co_ci_u32_e64 v1, null, 0, s3, s10
	v_sub_co_u32 v4, s10, s12, v50
	s_delay_alu instid0(VALU_DEP_3) | instskip(NEXT) | instid1(VALU_DEP_3)
	v_add_co_u32 v0, vcc_lo, v0, v36
	v_add_co_ci_u32_e32 v1, vcc_lo, v1, v37, vcc_lo
	v_sub_co_ci_u32_e64 v5, null, s3, 0, s10
	v_dual_mov_b32 v52, 0 :: v_dual_mov_b32 v53, 0
	s_delay_alu instid0(VALU_DEP_3)
	v_cmp_gt_i64_e32 vcc_lo, v[0:1], v[32:33]
	v_dual_mov_b32 v58, 0 :: v_dual_mov_b32 v57, 0
	v_dual_mov_b32 v54, 0 :: v_dual_mov_b32 v51, 0
	v_dual_mov_b32 v38, v34 :: v_dual_cndmask_b32 v1, v33, v1
	v_cndmask_b32_e32 v0, v32, v0, vcc_lo
	v_add_co_u32 v3, vcc_lo, v4, v3
	v_add_co_ci_u32_e32 v2, vcc_lo, v5, v2, vcc_lo
	s_mov_b32 s10, exec_lo
	s_delay_alu instid0(VALU_DEP_2) | instskip(NEXT) | instid1(VALU_DEP_2)
	v_add_co_u32 v0, vcc_lo, v3, v0
	v_add_co_ci_u32_e32 v1, vcc_lo, v2, v1, vcc_lo
	v_mov_b32_e32 v55, 0
	s_delay_alu instid0(VALU_DEP_3) | instskip(SKIP_1) | instid1(VALU_DEP_2)
	v_lshrrev_b32_e32 v2, 5, v0
	v_dual_mov_b32 v41, v31 :: v_dual_mov_b32 v40, v30
	v_add_nc_u32_e32 v2, 1, v2
	s_delay_alu instid0(VALU_DEP_1) | instskip(NEXT) | instid1(VALU_DEP_1)
	v_and_b32_e32 v2, 3, v2
	v_cmpx_ne_u32_e32 0, v2
	s_cbranch_execz .LBB53_27
; %bb.24:
	v_lshlrev_b64 v[4:5], 3, v[30:31]
	v_dual_mov_b32 v3, 0 :: v_dual_lshlrev_b32 v2, 3, v2
	v_dual_mov_b32 v41, v31 :: v_dual_mov_b32 v40, v30
	v_dual_mov_b32 v39, v35 :: v_dual_mov_b32 v38, v34
	s_delay_alu instid0(VALU_DEP_4)
	v_add_co_u32 v4, vcc_lo, s8, v4
	v_add_co_ci_u32_e32 v5, vcc_lo, s9, v5, vcc_lo
	v_mov_b32_e32 v51, v3
	v_mov_b32_e32 v57, v3
	;; [unrolled: 1-line block ×8, first 2 shown]
	s_mov_b32 s11, 0
.LBB53_25:                              ; =>This Inner Loop Header: Depth=1
	global_load_b64 v[26:27], v[4:5], off
	s_clause 0x7
	global_load_b128 v[6:9], v[38:39], off offset:48
	global_load_b128 v[10:13], v[38:39], off offset:32
	global_load_b128 v[14:17], v[38:39], off offset:16
	global_load_b128 v[18:21], v[38:39], off
	global_load_b128 v[22:25], v[38:39], off offset:112
	global_load_b128 v[42:45], v[38:39], off offset:96
	;; [unrolled: 1-line block ×4, first 2 shown]
	s_waitcnt vmcnt(8)
	v_sub_co_u32 v26, vcc_lo, v26, s12
	v_subrev_co_ci_u32_e32 v27, vcc_lo, s3, v27, vcc_lo
	s_delay_alu instid0(VALU_DEP_1) | instskip(NEXT) | instid1(VALU_DEP_1)
	v_lshlrev_b64 v[26:27], 5, v[26:27]
	v_add_co_u32 v26, vcc_lo, s4, v26
	s_delay_alu instid0(VALU_DEP_2)
	v_add_co_ci_u32_e32 v27, vcc_lo, s5, v27, vcc_lo
	v_add_co_u32 v38, vcc_lo, 0x1000, v38
	v_add_co_ci_u32_e32 v39, vcc_lo, 0, v39, vcc_lo
	s_clause 0x1
	global_load_b128 v[67:70], v[26:27], off
	global_load_b128 v[71:74], v[26:27], off offset:16
	v_add_co_u32 v40, vcc_lo, v40, 32
	v_add_co_ci_u32_e32 v41, vcc_lo, 0, v41, vcc_lo
	v_add_co_u32 v2, vcc_lo, v2, -8
	v_add_co_ci_u32_e32 v3, vcc_lo, -1, v3, vcc_lo
	v_add_co_u32 v4, vcc_lo, 0x100, v4
	v_add_co_ci_u32_e32 v5, vcc_lo, 0, v5, vcc_lo
	s_delay_alu instid0(VALU_DEP_3)
	v_cmp_eq_u64_e32 vcc_lo, 0, v[2:3]
	s_or_b32 s11, vcc_lo, s11
	s_waitcnt vmcnt(1)
	v_fmac_f32_e32 v52, v11, v67
	v_fmac_f32_e32 v51, v19, v67
	;; [unrolled: 1-line block ×4, first 2 shown]
	s_delay_alu instid0(VALU_DEP_4) | instskip(NEXT) | instid1(VALU_DEP_4)
	v_fmac_f32_e32 v52, v10, v68
	v_fmac_f32_e32 v51, v18, v68
	s_delay_alu instid0(VALU_DEP_4) | instskip(NEXT) | instid1(VALU_DEP_3)
	v_dual_fmac_f32 v53, v42, v68 :: v_dual_fmac_f32 v54, v64, v67
	v_dual_fmac_f32 v55, v42, v67 :: v_dual_fmac_f32 v52, v13, v69
	s_delay_alu instid0(VALU_DEP_3) | instskip(NEXT) | instid1(VALU_DEP_3)
	v_fmac_f32_e32 v51, v21, v69
	v_dual_fmac_f32 v57, v18, v67 :: v_dual_fmac_f32 v54, v63, v68
	s_delay_alu instid0(VALU_DEP_3) | instskip(NEXT) | instid1(VALU_DEP_4)
	v_fma_f32 v18, -v43, v68, v55
	v_dual_fmac_f32 v53, v45, v69 :: v_dual_fmac_f32 v52, v12, v70
	s_delay_alu instid0(VALU_DEP_3) | instskip(SKIP_3) | instid1(VALU_DEP_4)
	v_fma_f32 v19, -v19, v68, v57
	v_fmac_f32_e32 v58, v10, v67
	v_fma_f32 v10, -v64, v68, v56
	v_dual_fmac_f32 v54, v66, v69 :: v_dual_fmac_f32 v51, v20, v70
	v_fmac_f32_e32 v19, v20, v69
	s_delay_alu instid0(VALU_DEP_4) | instskip(NEXT) | instid1(VALU_DEP_4)
	v_fma_f32 v11, -v11, v68, v58
	v_dual_fmac_f32 v10, v65, v69 :: v_dual_fmac_f32 v53, v44, v70
	s_waitcnt vmcnt(0)
	v_fmac_f32_e32 v52, v7, v71
	v_fma_f32 v19, -v21, v70, v19
	v_dual_fmac_f32 v11, v12, v69 :: v_dual_fmac_f32 v54, v65, v70
	v_fmac_f32_e32 v18, v44, v69
	v_fma_f32 v10, -v66, v70, v10
	s_delay_alu instid0(VALU_DEP_4) | instskip(NEXT) | instid1(VALU_DEP_4)
	v_fmac_f32_e32 v19, v14, v71
	v_fma_f32 v11, -v13, v70, v11
	v_dual_fmac_f32 v51, v15, v71 :: v_dual_fmac_f32 v52, v6, v72
	v_fma_f32 v12, -v45, v70, v18
	v_fmac_f32_e32 v53, v23, v71
	s_delay_alu instid0(VALU_DEP_3) | instskip(SKIP_1) | instid1(VALU_DEP_4)
	v_dual_fmac_f32 v10, v59, v71 :: v_dual_fmac_f32 v51, v14, v72
	v_fma_f32 v13, -v15, v72, v19
	v_fmac_f32_e32 v12, v22, v71
	v_fmac_f32_e32 v52, v9, v73
	v_dual_fmac_f32 v54, v60, v71 :: v_dual_fmac_f32 v53, v22, v72
	v_fmac_f32_e32 v11, v6, v71
	v_fma_f32 v6, -v60, v72, v10
	s_delay_alu instid0(VALU_DEP_3) | instskip(SKIP_1) | instid1(VALU_DEP_4)
	v_dual_fmac_f32 v13, v16, v73 :: v_dual_fmac_f32 v54, v59, v72
	v_fma_f32 v10, -v23, v72, v12
	v_fma_f32 v7, -v7, v72, v11
	v_fmac_f32_e32 v53, v25, v73
	v_dual_fmac_f32 v51, v17, v73 :: v_dual_fmac_f32 v52, v8, v74
	v_fmac_f32_e32 v6, v61, v73
	s_delay_alu instid0(VALU_DEP_3) | instskip(SKIP_3) | instid1(VALU_DEP_4)
	v_dual_fmac_f32 v54, v62, v73 :: v_dual_fmac_f32 v53, v24, v74
	v_fmac_f32_e32 v7, v8, v73
	v_fmac_f32_e32 v10, v24, v73
	v_fma_f32 v57, -v17, v74, v13
	v_fmac_f32_e32 v54, v61, v74
	v_fmac_f32_e32 v51, v16, v74
	v_fma_f32 v58, -v9, v74, v7
	v_fma_f32 v56, -v62, v74, v6
	;; [unrolled: 1-line block ×3, first 2 shown]
	s_and_not1_b32 exec_lo, exec_lo, s11
	s_cbranch_execnz .LBB53_25
; %bb.26:
	s_or_b32 exec_lo, exec_lo, s11
.LBB53_27:
	s_delay_alu instid0(SALU_CYCLE_1) | instskip(NEXT) | instid1(SALU_CYCLE_1)
	s_or_b32 exec_lo, exec_lo, s10
	s_mov_b32 s10, exec_lo
	v_cmpx_lt_u64_e32 0x5f, v[0:1]
	s_cbranch_execz .LBB53_31
; %bb.28:
	v_lshlrev_b64 v[0:1], 3, v[40:41]
	s_mov_b32 s11, 0
	s_delay_alu instid0(VALU_DEP_1) | instskip(NEXT) | instid1(VALU_DEP_2)
	v_add_co_u32 v0, vcc_lo, v0, s8
	v_add_co_ci_u32_e32 v1, vcc_lo, s9, v1, vcc_lo
	s_delay_alu instid0(VALU_DEP_2) | instskip(NEXT) | instid1(VALU_DEP_2)
	v_add_co_u32 v42, vcc_lo, 0x200, v0
	v_add_co_ci_u32_e32 v43, vcc_lo, 0, v1, vcc_lo
.LBB53_29:                              ; =>This Inner Loop Header: Depth=1
	s_clause 0x3
	global_load_b64 v[44:45], v[42:43], off offset:-512
	global_load_b64 v[155:156], v[42:43], off offset:-256
	global_load_b64 v[157:158], v[42:43], off
	global_load_b64 v[159:160], v[42:43], off offset:256
	s_clause 0x7
	global_load_b128 v[59:62], v[38:39], off offset:48
	global_load_b128 v[63:66], v[38:39], off offset:32
	global_load_b128 v[67:70], v[38:39], off offset:16
	global_load_b128 v[71:74], v[38:39], off
	global_load_b128 v[75:78], v[38:39], off offset:112
	global_load_b128 v[79:82], v[38:39], off offset:96
	;; [unrolled: 1-line block ×4, first 2 shown]
	v_add_co_u32 v0, vcc_lo, 0x1000, v38
	v_add_co_ci_u32_e32 v1, vcc_lo, 0, v39, vcc_lo
	v_add_co_u32 v2, vcc_lo, v38, 0x2000
	v_add_co_ci_u32_e32 v3, vcc_lo, 0, v39, vcc_lo
	;; [unrolled: 2-line block ×4, first 2 shown]
	s_clause 0x16
	global_load_b128 v[91:94], v[0:1], off offset:32
	global_load_b128 v[95:98], v[0:1], off offset:16
	;; [unrolled: 1-line block ×7, first 2 shown]
	global_load_b128 v[119:122], v[2:3], off offset:-4096
	global_load_b128 v[16:19], v[2:3], off
	global_load_b128 v[12:15], v[4:5], off offset:32
	global_load_b128 v[0:3], v[4:5], off offset:16
	global_load_b128 v[8:11], v[4:5], off offset:112
	global_load_b128 v[123:126], v[4:5], off offset:96
	global_load_b128 v[24:27], v[4:5], off offset:80
	global_load_b128 v[127:130], v[4:5], off offset:48
	global_load_b128 v[131:134], v[4:5], off offset:64
	global_load_b128 v[20:23], v[175:176], off
	global_load_b128 v[4:7], v[175:176], off offset:48
	global_load_b128 v[135:138], v[175:176], off offset:32
	;; [unrolled: 1-line block ×6, first 2 shown]
	s_waitcnt vmcnt(34)
	v_sub_co_u32 v44, vcc_lo, v44, s12
	v_subrev_co_ci_u32_e32 v45, vcc_lo, s3, v45, vcc_lo
	s_waitcnt vmcnt(33)
	v_sub_co_u32 v155, vcc_lo, v155, s12
	v_subrev_co_ci_u32_e32 v156, vcc_lo, s3, v156, vcc_lo
	s_waitcnt vmcnt(32)
	v_sub_co_u32 v157, vcc_lo, v157, s12
	v_lshlrev_b64 v[44:45], 5, v[44:45]
	v_subrev_co_ci_u32_e32 v158, vcc_lo, s3, v158, vcc_lo
	s_waitcnt vmcnt(31)
	v_sub_co_u32 v159, vcc_lo, v159, s12
	v_lshlrev_b64 v[155:156], 5, v[155:156]
	v_subrev_co_ci_u32_e32 v160, vcc_lo, s3, v160, vcc_lo
	v_lshlrev_b64 v[157:158], 5, v[157:158]
	v_add_co_u32 v44, vcc_lo, s4, v44
	v_add_co_ci_u32_e32 v45, vcc_lo, s5, v45, vcc_lo
	s_delay_alu instid0(VALU_DEP_4)
	v_lshlrev_b64 v[159:160], 5, v[159:160]
	v_add_co_u32 v167, vcc_lo, s4, v155
	v_add_co_ci_u32_e32 v168, vcc_lo, s5, v156, vcc_lo
	v_add_co_u32 v171, vcc_lo, s4, v157
	v_add_co_ci_u32_e32 v172, vcc_lo, s5, v158, vcc_lo
	v_add_co_u32 v177, vcc_lo, s4, v159
	v_add_co_ci_u32_e32 v178, vcc_lo, s5, v160, vcc_lo
	s_clause 0x3
	global_load_b128 v[155:158], v[44:45], off
	global_load_b128 v[159:162], v[44:45], off offset:16
	global_load_b128 v[163:166], v[167:168], off
	global_load_b128 v[167:170], v[167:168], off offset:16
	v_add_co_u32 v40, vcc_lo, 0x80, v40
	v_add_co_ci_u32_e32 v41, vcc_lo, 0, v41, vcc_lo
	v_add_co_u32 v42, vcc_lo, 0x400, v42
	v_add_co_ci_u32_e32 v43, vcc_lo, 0, v43, vcc_lo
	;; [unrolled: 2-line block ×3, first 2 shown]
	v_cmp_ge_i64_e32 vcc_lo, v[40:41], v[32:33]
	s_or_b32 s11, vcc_lo, s11
	s_waitcnt vmcnt(3)
	v_fmac_f32_e32 v57, v71, v155
	v_fmac_f32_e32 v52, v64, v155
	;; [unrolled: 1-line block ×5, first 2 shown]
	v_fma_f32 v44, -v72, v156, v57
	v_fmac_f32_e32 v52, v63, v156
	v_fmac_f32_e32 v51, v71, v156
	v_fma_f32 v45, -v64, v156, v58
	v_fma_f32 v56, -v88, v156, v56
	v_fmac_f32_e32 v44, v73, v157
	v_fmac_f32_e32 v52, v66, v157
	;; [unrolled: 1-line block ×4, first 2 shown]
	v_dual_fmac_f32 v56, v89, v157 :: v_dual_fmac_f32 v53, v80, v155
	v_fma_f32 v44, -v74, v158, v44
	s_delay_alu instid0(VALU_DEP_4)
	v_fmac_f32_e32 v51, v73, v158
	s_clause 0x1
	global_load_b128 v[71:74], v[171:172], off
	global_load_b128 v[171:174], v[171:172], off offset:16
	v_fma_f32 v45, -v66, v158, v45
	v_dual_fmac_f32 v52, v65, v158 :: v_dual_fmac_f32 v55, v79, v155
	global_load_b128 v[63:66], v[177:178], off
	v_dual_fmac_f32 v54, v88, v155 :: v_dual_fmac_f32 v53, v79, v156
	s_waitcnt vmcnt(5)
	v_fmac_f32_e32 v44, v67, v159
	v_fma_f32 v55, -v80, v156, v55
	v_fma_f32 v56, -v90, v158, v56
	v_dual_fmac_f32 v54, v87, v156 :: v_dual_fmac_f32 v53, v82, v157
	v_fmac_f32_e32 v51, v68, v159
	s_delay_alu instid0(VALU_DEP_4) | instskip(NEXT) | instid1(VALU_DEP_3)
	v_dual_fmac_f32 v55, v81, v157 :: v_dual_fmac_f32 v52, v60, v159
	v_dual_fmac_f32 v54, v90, v157 :: v_dual_fmac_f32 v53, v81, v158
	v_fma_f32 v44, -v68, v160, v44
	v_fmac_f32_e32 v45, v59, v159
	s_delay_alu instid0(VALU_DEP_4) | instskip(NEXT) | instid1(VALU_DEP_4)
	v_fma_f32 v55, -v82, v158, v55
	v_fmac_f32_e32 v54, v89, v158
	global_load_b128 v[87:90], v[175:176], off offset:16
	global_load_b128 v[175:178], v[177:178], off offset:16
	v_fmac_f32_e32 v51, v67, v160
	v_fmac_f32_e32 v56, v83, v159
	v_dual_fmac_f32 v53, v76, v159 :: v_dual_fmac_f32 v52, v59, v160
	v_fmac_f32_e32 v54, v84, v159
	v_fmac_f32_e32 v44, v69, v161
	v_fma_f32 v45, -v60, v160, v45
	s_delay_alu instid0(VALU_DEP_4) | instskip(SKIP_1) | instid1(VALU_DEP_3)
	v_fmac_f32_e32 v53, v75, v160
	v_dual_fmac_f32 v55, v75, v159 :: v_dual_fmac_f32 v52, v62, v161
	v_dual_fmac_f32 v54, v83, v160 :: v_dual_fmac_f32 v45, v61, v161
	v_fmac_f32_e32 v51, v70, v161
	v_fma_f32 v56, -v84, v160, v56
	s_delay_alu instid0(VALU_DEP_4) | instskip(NEXT) | instid1(VALU_DEP_4)
	v_fma_f32 v55, -v76, v160, v55
	v_fmac_f32_e32 v54, v86, v161
	v_dual_fmac_f32 v53, v78, v161 :: v_dual_fmac_f32 v52, v61, v162
	v_fmac_f32_e32 v51, v69, v162
	v_fmac_f32_e32 v56, v85, v161
	v_fma_f32 v45, -v62, v162, v45
	v_fma_f32 v44, -v70, v162, v44
	v_fmac_f32_e32 v55, v77, v161
	v_fmac_f32_e32 v54, v85, v162
	s_waitcnt vmcnt(6)
	v_dual_fmac_f32 v53, v77, v162 :: v_dual_fmac_f32 v52, v92, v163
	v_fmac_f32_e32 v51, v120, v163
	v_fma_f32 v56, -v86, v162, v56
	v_fmac_f32_e32 v45, v91, v163
	v_fmac_f32_e32 v44, v119, v163
	v_fma_f32 v55, -v78, v162, v55
	v_dual_fmac_f32 v54, v116, v163 :: v_dual_fmac_f32 v51, v119, v164
	v_fmac_f32_e32 v56, v115, v163
	v_dual_fmac_f32 v53, v104, v163 :: v_dual_fmac_f32 v52, v91, v164
	v_fma_f32 v45, -v92, v164, v45
	v_fma_f32 v44, -v120, v164, v44
	v_fmac_f32_e32 v55, v103, v163
	v_fmac_f32_e32 v54, v115, v164
	v_dual_fmac_f32 v53, v103, v164 :: v_dual_fmac_f32 v52, v94, v165
	v_fmac_f32_e32 v51, v122, v165
	v_fma_f32 v56, -v116, v164, v56
	v_fmac_f32_e32 v45, v93, v165
	v_fmac_f32_e32 v44, v121, v165
	v_fma_f32 v55, -v104, v164, v55
	v_dual_fmac_f32 v54, v118, v165 :: v_dual_fmac_f32 v51, v121, v166
	v_fmac_f32_e32 v56, v117, v165
	v_dual_fmac_f32 v53, v106, v165 :: v_dual_fmac_f32 v52, v93, v166
	v_fma_f32 v45, -v94, v166, v45
	v_fma_f32 v44, -v122, v166, v44
	v_fmac_f32_e32 v55, v105, v165
	v_fmac_f32_e32 v54, v117, v166
	s_waitcnt vmcnt(5)
	v_dual_fmac_f32 v53, v105, v166 :: v_dual_fmac_f32 v52, v112, v167
	v_fmac_f32_e32 v51, v96, v167
	v_fma_f32 v56, -v118, v166, v56
	v_fmac_f32_e32 v45, v111, v167
	v_fmac_f32_e32 v44, v95, v167
	v_fma_f32 v55, -v106, v166, v55
	v_dual_fmac_f32 v54, v108, v167 :: v_dual_fmac_f32 v51, v95, v168
	v_fmac_f32_e32 v56, v107, v167
	v_dual_fmac_f32 v53, v100, v167 :: v_dual_fmac_f32 v52, v111, v168
	v_fma_f32 v45, -v112, v168, v45
	v_fma_f32 v44, -v96, v168, v44
	v_fmac_f32_e32 v55, v99, v167
	v_fmac_f32_e32 v54, v107, v168
	v_dual_fmac_f32 v53, v99, v168 :: v_dual_fmac_f32 v52, v114, v169
	v_fmac_f32_e32 v51, v98, v169
	v_fma_f32 v56, -v108, v168, v56
	v_fmac_f32_e32 v45, v113, v169
	v_fmac_f32_e32 v44, v97, v169
	v_fma_f32 v55, -v100, v168, v55
	v_dual_fmac_f32 v53, v102, v169 :: v_dual_fmac_f32 v52, v113, v170
	s_delay_alu instid0(VALU_DEP_4) | instskip(SKIP_4) | instid1(VALU_DEP_1)
	v_fma_f32 v45, -v114, v170, v45
	v_fmac_f32_e32 v56, v109, v169
	v_dual_fmac_f32 v54, v110, v169 :: v_dual_fmac_f32 v51, v97, v170
	v_fma_f32 v44, -v98, v170, v44
	s_waitcnt vmcnt(4)
	v_dual_fmac_f32 v55, v101, v169 :: v_dual_fmac_f32 v44, v16, v71
	v_fmac_f32_e32 v45, v12, v71
	v_fma_f32 v56, -v110, v170, v56
	v_fmac_f32_e32 v53, v101, v170
	s_delay_alu instid0(VALU_DEP_4)
	v_fma_f32 v55, -v102, v170, v55
	v_fmac_f32_e32 v54, v109, v170
	v_fmac_f32_e32 v52, v13, v71
	;; [unrolled: 1-line block ×6, first 2 shown]
	v_dual_fmac_f32 v51, v17, v71 :: v_dual_fmac_f32 v52, v12, v72
	s_delay_alu instid0(VALU_DEP_4) | instskip(SKIP_1) | instid1(VALU_DEP_4)
	v_fmac_f32_e32 v53, v123, v72
	v_fma_f32 v17, -v17, v72, v44
	v_fmac_f32_e32 v54, v131, v72
	s_delay_alu instid0(VALU_DEP_4)
	v_fmac_f32_e32 v51, v16, v72
	v_fma_f32 v13, -v13, v72, v45
	v_fmac_f32_e32 v53, v126, v73
	v_fmac_f32_e32 v52, v15, v73
	;; [unrolled: 1-line block ×3, first 2 shown]
	v_fma_f32 v12, -v132, v72, v56
	v_fma_f32 v16, -v124, v72, v55
	v_fmac_f32_e32 v53, v125, v74
	s_delay_alu instid0(VALU_DEP_4) | instskip(SKIP_2) | instid1(VALU_DEP_3)
	v_dual_fmac_f32 v17, v18, v73 :: v_dual_fmac_f32 v54, v133, v74
	v_dual_fmac_f32 v51, v19, v73 :: v_dual_fmac_f32 v52, v14, v74
	v_fmac_f32_e32 v13, v14, v73
	v_fma_f32 v17, -v19, v74, v17
	s_delay_alu instid0(VALU_DEP_3) | instskip(SKIP_4) | instid1(VALU_DEP_3)
	v_dual_fmac_f32 v12, v133, v73 :: v_dual_fmac_f32 v51, v18, v74
	s_waitcnt vmcnt(3)
	v_fmac_f32_e32 v52, v128, v171
	v_fma_f32 v13, -v15, v74, v13
	v_dual_fmac_f32 v17, v0, v171 :: v_dual_fmac_f32 v16, v125, v73
	v_dual_fmac_f32 v51, v1, v171 :: v_dual_fmac_f32 v52, v127, v172
	s_delay_alu instid0(VALU_DEP_3) | instskip(NEXT) | instid1(VALU_DEP_3)
	v_fmac_f32_e32 v13, v127, v171
	v_fma_f32 v1, -v1, v172, v17
	s_delay_alu instid0(VALU_DEP_4) | instskip(NEXT) | instid1(VALU_DEP_4)
	v_fma_f32 v14, -v126, v74, v16
	v_dual_fmac_f32 v54, v25, v171 :: v_dual_fmac_f32 v51, v0, v172
	v_fmac_f32_e32 v53, v9, v171
	s_delay_alu instid0(VALU_DEP_3) | instskip(SKIP_1) | instid1(VALU_DEP_4)
	v_dual_fmac_f32 v1, v2, v173 :: v_dual_fmac_f32 v14, v8, v171
	v_fma_f32 v0, -v128, v172, v13
	v_fmac_f32_e32 v54, v24, v172
	s_delay_alu instid0(VALU_DEP_4) | instskip(NEXT) | instid1(VALU_DEP_4)
	v_fmac_f32_e32 v53, v8, v172
	v_fma_f32 v1, -v3, v174, v1
	v_fmac_f32_e32 v52, v130, v173
	v_fma_f32 v12, -v134, v74, v12
	;; [unrolled: 2-line block ×3, first 2 shown]
	s_waitcnt vmcnt(2)
	v_fmac_f32_e32 v1, v20, v63
	v_dual_fmac_f32 v51, v3, v173 :: v_dual_fmac_f32 v52, v129, v174
	v_fmac_f32_e32 v54, v27, v173
	v_fmac_f32_e32 v12, v24, v171
	v_fma_f32 v0, -v130, v174, v0
	s_delay_alu instid0(VALU_DEP_4) | instskip(NEXT) | instid1(VALU_DEP_4)
	v_fmac_f32_e32 v51, v2, v174
	v_dual_fmac_f32 v53, v11, v173 :: v_dual_fmac_f32 v54, v26, v174
	v_fmac_f32_e32 v52, v136, v63
	v_fma_f32 v12, -v25, v172, v12
	v_dual_fmac_f32 v9, v10, v173 :: v_dual_fmac_f32 v0, v135, v63
	s_delay_alu instid0(VALU_DEP_4) | instskip(SKIP_3) | instid1(VALU_DEP_4)
	v_fmac_f32_e32 v53, v10, v174
	v_fma_f32 v1, -v21, v64, v1
	v_fmac_f32_e32 v52, v135, v64
	v_dual_fmac_f32 v12, v26, v173 :: v_dual_fmac_f32 v51, v21, v63
	v_fmac_f32_e32 v53, v144, v63
	v_fmac_f32_e32 v54, v152, v63
	v_fma_f32 v3, -v11, v174, v9
	v_fma_f32 v0, -v136, v64, v0
	v_fmac_f32_e32 v1, v22, v65
	v_fmac_f32_e32 v53, v143, v64
	;; [unrolled: 1-line block ×3, first 2 shown]
	v_fma_f32 v2, -v27, v174, v12
	v_dual_fmac_f32 v3, v143, v63 :: v_dual_fmac_f32 v0, v137, v65
	v_fma_f32 v1, -v23, v66, v1
	s_delay_alu instid0(VALU_DEP_3) | instskip(NEXT) | instid1(VALU_DEP_3)
	v_dual_fmac_f32 v51, v20, v64 :: v_dual_fmac_f32 v2, v151, v63
	v_fma_f32 v3, -v144, v64, v3
	s_waitcnt vmcnt(0)
	s_delay_alu instid0(VALU_DEP_3) | instskip(SKIP_3) | instid1(VALU_DEP_4)
	v_dual_fmac_f32 v54, v154, v65 :: v_dual_fmac_f32 v1, v87, v175
	v_fmac_f32_e32 v53, v146, v65
	v_fma_f32 v0, -v138, v66, v0
	v_fma_f32 v2, -v152, v64, v2
	v_fmac_f32_e32 v54, v153, v66
	s_delay_alu instid0(VALU_DEP_4) | instskip(SKIP_2) | instid1(VALU_DEP_3)
	v_dual_fmac_f32 v52, v138, v65 :: v_dual_fmac_f32 v53, v145, v66
	v_fmac_f32_e32 v51, v23, v65
	v_dual_fmac_f32 v3, v145, v65 :: v_dual_fmac_f32 v0, v4, v175
	v_fmac_f32_e32 v52, v137, v66
	s_delay_alu instid0(VALU_DEP_3) | instskip(NEXT) | instid1(VALU_DEP_3)
	v_dual_fmac_f32 v2, v153, v65 :: v_dual_fmac_f32 v51, v22, v66
	v_fma_f32 v3, -v146, v66, v3
	s_delay_alu instid0(VALU_DEP_4) | instskip(SKIP_1) | instid1(VALU_DEP_4)
	v_fma_f32 v0, -v5, v176, v0
	v_fmac_f32_e32 v53, v140, v175
	v_fma_f32 v2, -v154, v66, v2
	v_fma_f32 v1, -v88, v176, v1
	s_delay_alu instid0(VALU_DEP_4) | instskip(NEXT) | instid1(VALU_DEP_4)
	v_fmac_f32_e32 v0, v6, v177
	v_dual_fmac_f32 v54, v148, v175 :: v_dual_fmac_f32 v53, v139, v176
	v_fmac_f32_e32 v51, v88, v175
	s_delay_alu instid0(VALU_DEP_4) | instskip(NEXT) | instid1(VALU_DEP_3)
	v_dual_fmac_f32 v2, v147, v175 :: v_dual_fmac_f32 v1, v89, v177
	v_fmac_f32_e32 v54, v147, v176
	s_delay_alu instid0(VALU_DEP_3) | instskip(SKIP_3) | instid1(VALU_DEP_4)
	v_dual_fmac_f32 v52, v5, v175 :: v_dual_fmac_f32 v51, v87, v176
	v_fmac_f32_e32 v3, v139, v175
	v_fmac_f32_e32 v53, v142, v177
	v_fma_f32 v2, -v148, v176, v2
	v_fmac_f32_e32 v52, v4, v176
	v_fmac_f32_e32 v54, v150, v177
	v_fma_f32 v3, -v140, v176, v3
	v_fmac_f32_e32 v53, v141, v178
	v_fmac_f32_e32 v51, v90, v177
	;; [unrolled: 1-line block ×5, first 2 shown]
	v_fma_f32 v57, -v90, v178, v1
	v_fmac_f32_e32 v51, v89, v178
	v_fmac_f32_e32 v3, v141, v177
	v_fma_f32 v58, -v7, v178, v0
	v_fmac_f32_e32 v52, v6, v178
	v_fma_f32 v56, -v150, v178, v2
	s_delay_alu instid0(VALU_DEP_4)
	v_fma_f32 v55, -v142, v178, v3
	s_and_not1_b32 exec_lo, exec_lo, s11
	s_cbranch_execnz .LBB53_29
; %bb.30:
	s_or_b32 exec_lo, exec_lo, s11
.LBB53_31:
	s_delay_alu instid0(SALU_CYCLE_1)
	s_or_b32 exec_lo, exec_lo, s10
.LBB53_32:
	s_delay_alu instid0(SALU_CYCLE_1) | instskip(NEXT) | instid1(SALU_CYCLE_1)
	s_or_b32 exec_lo, exec_lo, s7
	s_and_not1_b32 vcc_lo, exec_lo, s6
	s_cbranch_vccz .LBB53_34
	s_branch .LBB53_45
.LBB53_33:
                                        ; implicit-def: $vgpr51
                                        ; implicit-def: $vgpr57
                                        ; implicit-def: $vgpr55
                                        ; implicit-def: $vgpr53
                                        ; implicit-def: $vgpr56
                                        ; implicit-def: $vgpr54
                                        ; implicit-def: $vgpr58
                                        ; implicit-def: $vgpr52
.LBB53_34:
	v_dual_mov_b32 v51, 0 :: v_dual_mov_b32 v56, 0
	v_dual_mov_b32 v57, 0 :: v_dual_mov_b32 v54, 0
	;; [unrolled: 1-line block ×4, first 2 shown]
	s_and_saveexec_b32 s6, s2
	s_cbranch_execz .LBB53_44
; %bb.35:
	v_or_b32_e32 v0, 32, v50
	v_not_b32_e32 v3, v36
	v_not_b32_e32 v2, v37
	v_dual_mov_b32 v52, 0 :: v_dual_mov_b32 v55, 0
	s_delay_alu instid0(VALU_DEP_4) | instskip(NEXT) | instid1(VALU_DEP_1)
	v_sub_co_u32 v0, s2, v0, s12
	v_sub_co_ci_u32_e64 v1, null, 0, s3, s2
	v_sub_co_u32 v4, s2, s12, v50
	s_delay_alu instid0(VALU_DEP_3) | instskip(NEXT) | instid1(VALU_DEP_3)
	v_add_co_u32 v0, vcc_lo, v0, v36
	v_add_co_ci_u32_e32 v1, vcc_lo, v1, v37, vcc_lo
	v_sub_co_ci_u32_e64 v5, null, s3, 0, s2
	v_dual_mov_b32 v58, 0 :: v_dual_mov_b32 v57, 0
	s_delay_alu instid0(VALU_DEP_3)
	v_cmp_gt_i64_e32 vcc_lo, v[0:1], v[32:33]
	v_dual_mov_b32 v54, 0 :: v_dual_mov_b32 v51, 0
	v_mov_b32_e32 v56, 0
	s_mov_b32 s2, exec_lo
	v_mov_b32_e32 v53, 0
	v_dual_cndmask_b32 v1, v33, v1 :: v_dual_cndmask_b32 v0, v32, v0
	v_add_co_u32 v3, vcc_lo, v4, v3
	v_add_co_ci_u32_e32 v2, vcc_lo, v5, v2, vcc_lo
	s_delay_alu instid0(VALU_DEP_2) | instskip(NEXT) | instid1(VALU_DEP_2)
	v_add_co_u32 v0, vcc_lo, v3, v0
	v_add_co_ci_u32_e32 v1, vcc_lo, v2, v1, vcc_lo
	s_delay_alu instid0(VALU_DEP_2) | instskip(NEXT) | instid1(VALU_DEP_1)
	v_lshrrev_b32_e32 v2, 5, v0
	v_add_nc_u32_e32 v2, 1, v2
	s_delay_alu instid0(VALU_DEP_1) | instskip(NEXT) | instid1(VALU_DEP_1)
	v_and_b32_e32 v2, 3, v2
	v_cmpx_ne_u32_e32 0, v2
	s_cbranch_execz .LBB53_39
; %bb.36:
	v_lshlrev_b64 v[4:5], 3, v[30:31]
	v_dual_mov_b32 v3, 0 :: v_dual_lshlrev_b32 v2, 3, v2
	s_mov_b32 s7, 0
	s_delay_alu instid0(VALU_DEP_1) | instskip(NEXT) | instid1(VALU_DEP_3)
	v_mov_b32_e32 v51, v3
	v_add_co_u32 v4, vcc_lo, s8, v4
	s_delay_alu instid0(VALU_DEP_4)
	v_add_co_ci_u32_e32 v5, vcc_lo, s9, v5, vcc_lo
	v_mov_b32_e32 v57, v3
	v_mov_b32_e32 v55, v3
	;; [unrolled: 1-line block ×7, first 2 shown]
.LBB53_37:                              ; =>This Inner Loop Header: Depth=1
	global_load_b64 v[18:19], v[4:5], off
	s_clause 0x2
	global_load_b128 v[6:9], v[34:35], off offset:32
	global_load_b128 v[10:13], v[34:35], off offset:16
	global_load_b128 v[14:17], v[34:35], off
	s_waitcnt vmcnt(3)
	v_sub_co_u32 v18, vcc_lo, v18, s12
	v_subrev_co_ci_u32_e32 v19, vcc_lo, s3, v19, vcc_lo
	s_delay_alu instid0(VALU_DEP_1) | instskip(NEXT) | instid1(VALU_DEP_1)
	v_lshlrev_b64 v[18:19], 5, v[18:19]
	v_add_co_u32 v22, vcc_lo, s4, v18
	s_delay_alu instid0(VALU_DEP_2)
	v_add_co_ci_u32_e32 v23, vcc_lo, s5, v19, vcc_lo
	s_clause 0x1
	global_load_b128 v[18:21], v[22:23], off
	global_load_b128 v[22:25], v[22:23], off offset:16
	s_clause 0x4
	global_load_b128 v[36:39], v[34:35], off offset:48
	global_load_b128 v[40:43], v[34:35], off offset:64
	global_load_b128 v[59:62], v[34:35], off offset:80
	global_load_b128 v[63:66], v[34:35], off offset:96
	global_load_b128 v[67:70], v[34:35], off offset:112
	v_add_co_u32 v34, vcc_lo, 0x1000, v34
	v_add_co_ci_u32_e32 v35, vcc_lo, 0, v35, vcc_lo
	v_add_co_u32 v30, vcc_lo, v30, 32
	v_add_co_ci_u32_e32 v31, vcc_lo, 0, v31, vcc_lo
	v_add_co_u32 v2, vcc_lo, v2, -8
	v_add_co_ci_u32_e32 v3, vcc_lo, -1, v3, vcc_lo
	v_add_co_u32 v4, vcc_lo, 0x100, v4
	v_add_co_ci_u32_e32 v5, vcc_lo, 0, v5, vcc_lo
	s_delay_alu instid0(VALU_DEP_3)
	v_cmp_eq_u64_e32 vcc_lo, 0, v[2:3]
	s_or_b32 s7, vcc_lo, s7
	s_waitcnt vmcnt(6)
	v_fmac_f32_e32 v53, v13, v18
	v_fmac_f32_e32 v52, v17, v18
	;; [unrolled: 1-line block ×4, first 2 shown]
	s_delay_alu instid0(VALU_DEP_4) | instskip(NEXT) | instid1(VALU_DEP_4)
	v_fmac_f32_e32 v53, v12, v19
	v_dual_fmac_f32 v57, v14, v18 :: v_dual_fmac_f32 v52, v16, v19
	v_fmac_f32_e32 v55, v12, v18
	s_delay_alu instid0(VALU_DEP_2) | instskip(NEXT) | instid1(VALU_DEP_3)
	v_fma_f32 v15, -v15, v19, v57
	v_fmac_f32_e32 v52, v9, v20
	s_waitcnt vmcnt(4)
	v_fmac_f32_e32 v53, v39, v20
	s_delay_alu instid0(VALU_DEP_2)
	v_dual_fmac_f32 v15, v6, v20 :: v_dual_fmac_f32 v52, v8, v21
	v_fmac_f32_e32 v54, v10, v19
	v_dual_fmac_f32 v58, v16, v18 :: v_dual_fmac_f32 v51, v14, v19
	v_fmac_f32_e32 v56, v10, v18
	v_fma_f32 v10, -v13, v19, v55
	s_waitcnt vmcnt(3)
	v_dual_fmac_f32 v53, v38, v21 :: v_dual_fmac_f32 v52, v43, v22
	v_fma_f32 v14, -v17, v19, v58
	v_fmac_f32_e32 v51, v7, v20
	v_fma_f32 v11, -v11, v19, v56
	v_fmac_f32_e32 v54, v37, v20
	v_fma_f32 v7, -v7, v21, v15
	s_delay_alu instid0(VALU_DEP_4) | instskip(SKIP_1) | instid1(VALU_DEP_4)
	v_dual_fmac_f32 v14, v8, v20 :: v_dual_fmac_f32 v51, v6, v21
	v_fmac_f32_e32 v10, v38, v20
	v_fmac_f32_e32 v54, v36, v21
	s_delay_alu instid0(VALU_DEP_4) | instskip(NEXT) | instid1(VALU_DEP_4)
	v_fmac_f32_e32 v7, v40, v22
	v_fma_f32 v6, -v9, v21, v14
	v_fmac_f32_e32 v51, v41, v22
	v_fmac_f32_e32 v11, v36, v20
	v_fma_f32 v9, -v39, v21, v10
	s_waitcnt vmcnt(2)
	v_fmac_f32_e32 v53, v62, v22
	v_fmac_f32_e32 v6, v42, v22
	;; [unrolled: 1-line block ×3, first 2 shown]
	v_fma_f32 v8, -v37, v21, v11
	v_dual_fmac_f32 v9, v61, v22 :: v_dual_fmac_f32 v52, v42, v23
	v_fmac_f32_e32 v53, v61, v23
	s_delay_alu instid0(VALU_DEP_4) | instskip(NEXT) | instid1(VALU_DEP_4)
	v_fmac_f32_e32 v54, v59, v23
	v_dual_fmac_f32 v8, v59, v22 :: v_dual_fmac_f32 v51, v40, v23
	v_fma_f32 v7, -v41, v23, v7
	v_fma_f32 v6, -v43, v23, v6
	;; [unrolled: 1-line block ×3, first 2 shown]
	s_delay_alu instid0(VALU_DEP_4)
	v_fma_f32 v8, -v60, v23, v8
	s_waitcnt vmcnt(0)
	v_fmac_f32_e32 v54, v68, v24
	v_fmac_f32_e32 v53, v70, v24
	;; [unrolled: 1-line block ×7, first 2 shown]
	s_delay_alu instid0(VALU_DEP_4) | instskip(SKIP_2) | instid1(VALU_DEP_3)
	v_dual_fmac_f32 v7, v63, v24 :: v_dual_fmac_f32 v52, v65, v25
	v_fmac_f32_e32 v54, v67, v25
	v_dual_fmac_f32 v6, v65, v24 :: v_dual_fmac_f32 v51, v63, v25
	v_fma_f32 v57, -v64, v25, v7
	v_fma_f32 v56, -v68, v25, v8
	;; [unrolled: 1-line block ×3, first 2 shown]
	s_delay_alu instid0(VALU_DEP_4)
	v_fma_f32 v58, -v66, v25, v6
	s_and_not1_b32 exec_lo, exec_lo, s7
	s_cbranch_execnz .LBB53_37
; %bb.38:
	s_or_b32 exec_lo, exec_lo, s7
.LBB53_39:
	s_delay_alu instid0(SALU_CYCLE_1) | instskip(NEXT) | instid1(SALU_CYCLE_1)
	s_or_b32 exec_lo, exec_lo, s2
	s_mov_b32 s2, exec_lo
	v_cmpx_lt_u64_e32 0x5f, v[0:1]
	s_cbranch_execz .LBB53_43
; %bb.40:
	v_lshlrev_b64 v[0:1], 3, v[30:31]
	s_mov_b32 s7, 0
	s_delay_alu instid0(VALU_DEP_1) | instskip(NEXT) | instid1(VALU_DEP_2)
	v_add_co_u32 v0, vcc_lo, v0, s8
	v_add_co_ci_u32_e32 v1, vcc_lo, s9, v1, vcc_lo
	s_delay_alu instid0(VALU_DEP_2) | instskip(NEXT) | instid1(VALU_DEP_2)
	v_add_co_u32 v0, vcc_lo, 0x200, v0
	v_add_co_ci_u32_e32 v1, vcc_lo, 0, v1, vcc_lo
.LBB53_41:                              ; =>This Inner Loop Header: Depth=1
	s_clause 0x3
	global_load_b64 v[2:3], v[0:1], off offset:-512
	global_load_b64 v[44:45], v[0:1], off offset:-256
	global_load_b64 v[135:136], v[0:1], off
	global_load_b64 v[137:138], v[0:1], off offset:256
	s_clause 0x7
	global_load_b128 v[4:7], v[34:35], off offset:48
	global_load_b128 v[8:11], v[34:35], off offset:32
	;; [unrolled: 1-line block ×3, first 2 shown]
	global_load_b128 v[16:19], v[34:35], off
	global_load_b128 v[20:23], v[34:35], off offset:112
	global_load_b128 v[24:27], v[34:35], off offset:96
	;; [unrolled: 1-line block ×4, first 2 shown]
	v_add_co_u32 v83, vcc_lo, 0x1000, v34
	v_add_co_ci_u32_e32 v84, vcc_lo, 0, v35, vcc_lo
	v_add_co_u32 v91, vcc_lo, v34, 0x2000
	v_add_co_ci_u32_e32 v92, vcc_lo, 0, v35, vcc_lo
	;; [unrolled: 2-line block ×4, first 2 shown]
	s_clause 0x12
	global_load_b128 v[59:62], v[83:84], off offset:32
	global_load_b128 v[63:66], v[83:84], off offset:16
	;; [unrolled: 1-line block ×7, first 2 shown]
	global_load_b128 v[87:90], v[91:92], off offset:-4096
	global_load_b128 v[91:94], v[91:92], off
	global_load_b128 v[95:98], v[119:120], off offset:32
	global_load_b128 v[99:102], v[119:120], off offset:16
	;; [unrolled: 1-line block ×7, first 2 shown]
	global_load_b128 v[123:126], v[143:144], off
	global_load_b128 v[127:130], v[143:144], off offset:48
	global_load_b128 v[131:134], v[143:144], off offset:32
	s_waitcnt vmcnt(30)
	v_sub_co_u32 v2, vcc_lo, v2, s12
	v_subrev_co_ci_u32_e32 v3, vcc_lo, s3, v3, vcc_lo
	s_waitcnt vmcnt(29)
	v_sub_co_u32 v44, vcc_lo, v44, s12
	v_subrev_co_ci_u32_e32 v45, vcc_lo, s3, v45, vcc_lo
	s_waitcnt vmcnt(28)
	v_sub_co_u32 v135, vcc_lo, v135, s12
	v_lshlrev_b64 v[2:3], 5, v[2:3]
	v_subrev_co_ci_u32_e32 v136, vcc_lo, s3, v136, vcc_lo
	s_waitcnt vmcnt(27)
	v_sub_co_u32 v137, vcc_lo, v137, s12
	v_lshlrev_b64 v[44:45], 5, v[44:45]
	v_subrev_co_ci_u32_e32 v138, vcc_lo, s3, v138, vcc_lo
	v_lshlrev_b64 v[135:136], 5, v[135:136]
	v_add_co_u32 v2, vcc_lo, s4, v2
	v_add_co_ci_u32_e32 v3, vcc_lo, s5, v3, vcc_lo
	s_delay_alu instid0(VALU_DEP_4)
	v_lshlrev_b64 v[137:138], 5, v[137:138]
	v_add_co_u32 v44, vcc_lo, s4, v44
	v_add_co_ci_u32_e32 v45, vcc_lo, s5, v45, vcc_lo
	v_add_co_u32 v145, vcc_lo, s4, v135
	v_add_co_ci_u32_e32 v146, vcc_lo, s5, v136, vcc_lo
	v_add_co_u32 v147, vcc_lo, s4, v137
	v_add_co_ci_u32_e32 v148, vcc_lo, s5, v138, vcc_lo
	s_clause 0x1
	global_load_b128 v[135:138], v[2:3], off
	global_load_b128 v[139:142], v[2:3], off offset:16
	v_add_co_u32 v30, vcc_lo, 0x80, v30
	v_add_co_ci_u32_e32 v31, vcc_lo, 0, v31, vcc_lo
	v_add_co_u32 v0, vcc_lo, 0x400, v0
	v_add_co_ci_u32_e32 v1, vcc_lo, 0, v1, vcc_lo
	;; [unrolled: 2-line block ×3, first 2 shown]
	v_cmp_ge_i64_e32 vcc_lo, v[30:31], v[32:33]
	s_or_b32 s7, vcc_lo, s7
	s_waitcnt vmcnt(1)
	v_fmac_f32_e32 v54, v13, v135
	v_fmac_f32_e32 v53, v15, v135
	;; [unrolled: 1-line block ×4, first 2 shown]
	s_delay_alu instid0(VALU_DEP_4) | instskip(NEXT) | instid1(VALU_DEP_4)
	v_fmac_f32_e32 v54, v12, v136
	v_fmac_f32_e32 v53, v14, v136
	s_delay_alu instid0(VALU_DEP_3) | instskip(SKIP_2) | instid1(VALU_DEP_3)
	v_dual_fmac_f32 v57, v16, v135 :: v_dual_fmac_f32 v52, v18, v136
	v_dual_fmac_f32 v58, v18, v135 :: v_dual_fmac_f32 v51, v16, v136
	v_fmac_f32_e32 v56, v12, v135
	v_fma_f32 v2, -v17, v136, v57
	v_fmac_f32_e32 v55, v14, v135
	s_delay_alu instid0(VALU_DEP_4)
	v_fma_f32 v3, -v19, v136, v58
	v_fmac_f32_e32 v51, v9, v137
	v_fma_f32 v56, -v13, v136, v56
	v_fmac_f32_e32 v2, v8, v137
	;; [unrolled: 2-line block ×3, first 2 shown]
	v_dual_fmac_f32 v52, v11, v137 :: v_dual_fmac_f32 v51, v8, v138
	s_delay_alu instid0(VALU_DEP_4) | instskip(SKIP_1) | instid1(VALU_DEP_4)
	v_fma_f32 v135, -v9, v138, v2
	v_fmac_f32_e32 v54, v5, v137
	v_fma_f32 v136, -v11, v138, v3
	v_fmac_f32_e32 v53, v7, v137
	s_clause 0x1
	global_load_b128 v[16:19], v[143:144], off offset:16
	global_load_b128 v[12:15], v[143:144], off offset:64
	s_waitcnt vmcnt(2)
	v_fmac_f32_e32 v135, v40, v139
	v_dual_fmac_f32 v55, v6, v137 :: v_dual_fmac_f32 v54, v4, v138
	v_fmac_f32_e32 v136, v42, v139
	v_dual_fmac_f32 v56, v4, v137 :: v_dual_fmac_f32 v53, v6, v138
	v_fmac_f32_e32 v52, v10, v138
	global_load_b128 v[8:11], v[143:144], off offset:80
	v_fma_f32 v7, -v7, v138, v55
	v_fma_f32 v149, -v5, v138, v56
	s_clause 0x1
	global_load_b128 v[2:5], v[44:45], off
	global_load_b128 v[55:58], v[44:45], off offset:16
	v_fmac_f32_e32 v52, v43, v139
	v_fmac_f32_e32 v51, v41, v139
	v_fma_f32 v6, -v41, v140, v135
	v_fma_f32 v44, -v43, v140, v136
	s_delay_alu instid0(VALU_DEP_4) | instskip(NEXT) | instid1(VALU_DEP_4)
	v_dual_fmac_f32 v53, v39, v139 :: v_dual_fmac_f32 v52, v42, v140
	v_fmac_f32_e32 v51, v40, v140
	s_delay_alu instid0(VALU_DEP_4)
	v_fmac_f32_e32 v6, v24, v141
	s_clause 0x1
	global_load_b128 v[40:43], v[145:146], off
	global_load_b128 v[135:138], v[145:146], off offset:16
	v_dual_fmac_f32 v149, v36, v139 :: v_dual_fmac_f32 v44, v26, v141
	v_dual_fmac_f32 v54, v37, v139 :: v_dual_fmac_f32 v53, v38, v140
	v_fmac_f32_e32 v7, v38, v139
	s_delay_alu instid0(VALU_DEP_3) | instskip(SKIP_1) | instid1(VALU_DEP_4)
	v_fma_f32 v45, -v37, v140, v149
	v_fmac_f32_e32 v52, v27, v141
	v_dual_fmac_f32 v54, v36, v140 :: v_dual_fmac_f32 v51, v25, v141
	s_delay_alu instid0(VALU_DEP_4)
	v_fma_f32 v7, -v39, v140, v7
	global_load_b128 v[36:39], v[147:148], off
	v_fma_f32 v6, -v25, v142, v6
	v_fma_f32 v44, -v27, v142, v44
	v_fmac_f32_e32 v52, v26, v142
	v_fmac_f32_e32 v51, v24, v142
	global_load_b128 v[24:27], v[147:148], off offset:16
	v_fmac_f32_e32 v53, v23, v141
	s_waitcnt vmcnt(5)
	v_dual_fmac_f32 v45, v20, v141 :: v_dual_fmac_f32 v6, v87, v2
	v_fmac_f32_e32 v44, v89, v2
	s_delay_alu instid0(VALU_DEP_3) | instskip(SKIP_1) | instid1(VALU_DEP_4)
	v_dual_fmac_f32 v54, v21, v141 :: v_dual_fmac_f32 v53, v22, v142
	v_fmac_f32_e32 v7, v22, v141
	v_fma_f32 v45, -v21, v142, v45
	v_fmac_f32_e32 v52, v90, v2
	s_delay_alu instid0(VALU_DEP_4)
	v_fmac_f32_e32 v54, v20, v142
	v_fmac_f32_e32 v51, v88, v2
	v_fma_f32 v7, -v23, v142, v7
	s_clause 0x1
	global_load_b128 v[20:23], v[143:144], off offset:96
	global_load_b128 v[139:142], v[143:144], off offset:112
	v_dual_fmac_f32 v52, v89, v3 :: v_dual_fmac_f32 v53, v66, v2
	v_fmac_f32_e32 v45, v63, v2
	v_dual_fmac_f32 v54, v64, v2 :: v_dual_fmac_f32 v51, v87, v3
	s_delay_alu instid0(VALU_DEP_3) | instskip(NEXT) | instid1(VALU_DEP_2)
	v_dual_fmac_f32 v52, v62, v4 :: v_dual_fmac_f32 v53, v65, v3
	v_dual_fmac_f32 v7, v65, v2 :: v_dual_fmac_f32 v54, v63, v3
	v_fma_f32 v2, -v88, v3, v6
	v_fma_f32 v6, -v90, v3, v44
	s_delay_alu instid0(VALU_DEP_4) | instskip(NEXT) | instid1(VALU_DEP_4)
	v_dual_fmac_f32 v51, v60, v4 :: v_dual_fmac_f32 v52, v61, v5
	v_fma_f32 v7, -v66, v3, v7
	s_delay_alu instid0(VALU_DEP_4) | instskip(NEXT) | instid1(VALU_DEP_4)
	v_fmac_f32_e32 v2, v59, v4
	v_fmac_f32_e32 v6, v61, v4
	v_fma_f32 v44, -v64, v3, v45
	s_waitcnt vmcnt(6)
	v_dual_fmac_f32 v51, v59, v5 :: v_dual_fmac_f32 v52, v86, v55
	v_fma_f32 v2, -v60, v5, v2
	v_fma_f32 v3, -v62, v5, v6
	v_fmac_f32_e32 v54, v80, v4
	v_fmac_f32_e32 v53, v82, v4
	v_dual_fmac_f32 v51, v84, v55 :: v_dual_fmac_f32 v52, v85, v56
	v_fmac_f32_e32 v2, v83, v55
	s_delay_alu instid0(VALU_DEP_3) | instskip(SKIP_2) | instid1(VALU_DEP_3)
	v_dual_fmac_f32 v44, v79, v4 :: v_dual_fmac_f32 v53, v81, v5
	v_fmac_f32_e32 v3, v85, v55
	v_dual_fmac_f32 v7, v81, v4 :: v_dual_fmac_f32 v54, v79, v5
	v_fma_f32 v4, -v80, v5, v44
	v_fmac_f32_e32 v51, v83, v56
	s_delay_alu instid0(VALU_DEP_4) | instskip(NEXT) | instid1(VALU_DEP_4)
	v_fma_f32 v3, -v86, v56, v3
	v_fma_f32 v6, -v82, v5, v7
	v_fmac_f32_e32 v54, v76, v55
	v_fma_f32 v2, -v84, v56, v2
	v_fmac_f32_e32 v51, v72, v57
	v_fmac_f32_e32 v3, v73, v57
	;; [unrolled: 1-line block ×3, first 2 shown]
	v_dual_fmac_f32 v53, v78, v55 :: v_dual_fmac_f32 v54, v75, v56
	v_fmac_f32_e32 v4, v75, v55
	v_dual_fmac_f32 v52, v74, v57 :: v_dual_fmac_f32 v51, v71, v58
	s_delay_alu instid0(VALU_DEP_4) | instskip(NEXT) | instid1(VALU_DEP_4)
	v_fma_f32 v5, -v78, v56, v6
	v_fmac_f32_e32 v53, v77, v56
	s_delay_alu instid0(VALU_DEP_4) | instskip(SKIP_2) | instid1(VALU_DEP_4)
	v_fma_f32 v4, -v76, v56, v4
	v_fma_f32 v3, -v74, v58, v3
	v_fmac_f32_e32 v54, v68, v57
	v_dual_fmac_f32 v52, v73, v58 :: v_dual_fmac_f32 v53, v70, v57
	v_fmac_f32_e32 v2, v71, v57
	s_waitcnt vmcnt(5)
	v_dual_fmac_f32 v4, v67, v57 :: v_dual_fmac_f32 v51, v92, v40
	v_fmac_f32_e32 v3, v93, v40
	v_dual_fmac_f32 v5, v69, v57 :: v_dual_fmac_f32 v54, v67, v58
	s_delay_alu instid0(VALU_DEP_3) | instskip(SKIP_2) | instid1(VALU_DEP_4)
	v_fma_f32 v4, -v68, v58, v4
	v_fmac_f32_e32 v53, v69, v58
	v_fma_f32 v2, -v72, v58, v2
	v_fma_f32 v5, -v70, v58, v5
	v_dual_fmac_f32 v52, v94, v40 :: v_dual_fmac_f32 v51, v91, v41
	v_fma_f32 v3, -v94, v41, v3
	v_fmac_f32_e32 v54, v100, v40
	v_fmac_f32_e32 v4, v99, v40
	s_delay_alu instid0(VALU_DEP_4) | instskip(SKIP_2) | instid1(VALU_DEP_3)
	v_dual_fmac_f32 v53, v102, v40 :: v_dual_fmac_f32 v52, v93, v41
	v_dual_fmac_f32 v2, v91, v40 :: v_dual_fmac_f32 v51, v96, v42
	v_fmac_f32_e32 v3, v97, v42
	v_fmac_f32_e32 v53, v101, v41
	v_dual_fmac_f32 v5, v101, v40 :: v_dual_fmac_f32 v54, v99, v41
	s_delay_alu instid0(VALU_DEP_4) | instskip(SKIP_2) | instid1(VALU_DEP_4)
	v_fma_f32 v2, -v92, v41, v2
	v_fma_f32 v4, -v100, v41, v4
	v_dual_fmac_f32 v52, v98, v42 :: v_dual_fmac_f32 v51, v95, v43
	v_fma_f32 v5, -v102, v41, v5
	v_fma_f32 v3, -v98, v43, v3
	v_fmac_f32_e32 v54, v116, v42
	s_waitcnt vmcnt(4)
	v_dual_fmac_f32 v4, v115, v42 :: v_dual_fmac_f32 v51, v120, v135
	v_dual_fmac_f32 v53, v118, v42 :: v_dual_fmac_f32 v52, v97, v43
	;; [unrolled: 1-line block ×4, first 2 shown]
	s_delay_alu instid0(VALU_DEP_4) | instskip(NEXT) | instid1(VALU_DEP_4)
	v_fma_f32 v4, -v116, v43, v4
	v_fmac_f32_e32 v53, v117, v43
	s_delay_alu instid0(VALU_DEP_4) | instskip(NEXT) | instid1(VALU_DEP_4)
	v_fma_f32 v2, -v96, v43, v2
	v_fma_f32 v5, -v118, v43, v5
	v_dual_fmac_f32 v52, v122, v135 :: v_dual_fmac_f32 v51, v119, v136
	v_fma_f32 v3, -v122, v136, v3
	v_fmac_f32_e32 v54, v112, v135
	v_fmac_f32_e32 v4, v111, v135
	s_delay_alu instid0(VALU_DEP_4) | instskip(SKIP_2) | instid1(VALU_DEP_3)
	v_dual_fmac_f32 v53, v114, v135 :: v_dual_fmac_f32 v52, v121, v136
	v_dual_fmac_f32 v2, v119, v135 :: v_dual_fmac_f32 v51, v108, v137
	v_fmac_f32_e32 v3, v109, v137
	v_fmac_f32_e32 v53, v113, v136
	v_dual_fmac_f32 v5, v113, v135 :: v_dual_fmac_f32 v54, v111, v136
	s_delay_alu instid0(VALU_DEP_4) | instskip(SKIP_2) | instid1(VALU_DEP_4)
	v_fma_f32 v2, -v120, v136, v2
	v_fma_f32 v4, -v112, v136, v4
	v_dual_fmac_f32 v52, v110, v137 :: v_dual_fmac_f32 v51, v107, v138
	v_fma_f32 v5, -v114, v136, v5
	v_fma_f32 v3, -v110, v138, v3
	v_fmac_f32_e32 v54, v104, v137
	s_waitcnt vmcnt(3)
	v_dual_fmac_f32 v4, v103, v137 :: v_dual_fmac_f32 v51, v124, v36
	v_dual_fmac_f32 v53, v106, v137 :: v_dual_fmac_f32 v52, v109, v138
	;; [unrolled: 1-line block ×4, first 2 shown]
	s_delay_alu instid0(VALU_DEP_4) | instskip(NEXT) | instid1(VALU_DEP_4)
	v_fma_f32 v4, -v104, v138, v4
	v_fmac_f32_e32 v53, v105, v138
	s_delay_alu instid0(VALU_DEP_4) | instskip(NEXT) | instid1(VALU_DEP_4)
	v_fma_f32 v2, -v108, v138, v2
	v_fma_f32 v5, -v106, v138, v5
	v_dual_fmac_f32 v52, v126, v36 :: v_dual_fmac_f32 v51, v123, v37
	v_fmac_f32_e32 v54, v17, v36
	v_fma_f32 v3, -v126, v37, v3
	v_fmac_f32_e32 v4, v16, v36
	s_delay_alu instid0(VALU_DEP_4) | instskip(SKIP_4) | instid1(VALU_DEP_3)
	v_dual_fmac_f32 v5, v18, v36 :: v_dual_fmac_f32 v52, v125, v37
	v_fmac_f32_e32 v51, v132, v38
	v_dual_fmac_f32 v53, v19, v36 :: v_dual_fmac_f32 v54, v16, v37
	v_dual_fmac_f32 v2, v123, v36 :: v_dual_fmac_f32 v3, v133, v38
	v_fma_f32 v4, -v17, v37, v4
	v_fmac_f32_e32 v53, v18, v37
	v_fma_f32 v5, -v19, v37, v5
	s_delay_alu instid0(VALU_DEP_4) | instskip(SKIP_4) | instid1(VALU_DEP_4)
	v_fma_f32 v2, -v124, v37, v2
	v_dual_fmac_f32 v52, v134, v38 :: v_dual_fmac_f32 v51, v131, v39
	v_fma_f32 v3, -v134, v39, v3
	v_fmac_f32_e32 v54, v128, v38
	v_fmac_f32_e32 v4, v127, v38
	v_dual_fmac_f32 v53, v130, v38 :: v_dual_fmac_f32 v52, v133, v39
	s_waitcnt vmcnt(2)
	v_dual_fmac_f32 v2, v131, v38 :: v_dual_fmac_f32 v3, v14, v24
	v_dual_fmac_f32 v5, v129, v38 :: v_dual_fmac_f32 v54, v127, v39
	s_delay_alu instid0(VALU_DEP_3) | instskip(NEXT) | instid1(VALU_DEP_3)
	v_fmac_f32_e32 v53, v129, v39
	v_fma_f32 v2, -v132, v39, v2
	v_fmac_f32_e32 v51, v13, v24
	v_fma_f32 v4, -v128, v39, v4
	v_fma_f32 v5, -v130, v39, v5
	v_fmac_f32_e32 v52, v15, v24
	v_fma_f32 v3, -v15, v25, v3
	v_dual_fmac_f32 v51, v12, v25 :: v_dual_fmac_f32 v54, v9, v24
	v_fmac_f32_e32 v4, v8, v24
	s_delay_alu instid0(VALU_DEP_4) | instskip(NEXT) | instid1(VALU_DEP_1)
	v_dual_fmac_f32 v53, v11, v24 :: v_dual_fmac_f32 v52, v14, v25
	v_dual_fmac_f32 v2, v12, v24 :: v_dual_fmac_f32 v53, v10, v25
	s_delay_alu instid0(VALU_DEP_1)
	v_fma_f32 v2, -v13, v25, v2
	s_waitcnt vmcnt(1)
	v_fmac_f32_e32 v3, v22, v26
	v_dual_fmac_f32 v5, v10, v24 :: v_dual_fmac_f32 v54, v8, v25
	v_fmac_f32_e32 v51, v21, v26
	v_fma_f32 v4, -v9, v25, v4
	v_fmac_f32_e32 v52, v23, v26
	s_delay_alu instid0(VALU_DEP_4)
	v_fma_f32 v5, -v11, v25, v5
	s_waitcnt vmcnt(0)
	v_fmac_f32_e32 v54, v140, v26
	v_dual_fmac_f32 v51, v20, v27 :: v_dual_fmac_f32 v4, v139, v26
	v_fmac_f32_e32 v53, v142, v26
	v_dual_fmac_f32 v5, v141, v26 :: v_dual_fmac_f32 v52, v22, v27
	s_delay_alu instid0(VALU_DEP_4) | instskip(NEXT) | instid1(VALU_DEP_3)
	v_fmac_f32_e32 v54, v139, v27
	v_dual_fmac_f32 v2, v20, v26 :: v_dual_fmac_f32 v53, v141, v27
	v_fma_f32 v58, -v23, v27, v3
	v_fma_f32 v56, -v140, v27, v4
	v_fma_f32 v55, -v142, v27, v5
	s_delay_alu instid0(VALU_DEP_4)
	v_fma_f32 v57, -v21, v27, v2
	s_and_not1_b32 exec_lo, exec_lo, s7
	s_cbranch_execnz .LBB53_41
; %bb.42:
	s_or_b32 exec_lo, exec_lo, s7
.LBB53_43:
	s_delay_alu instid0(SALU_CYCLE_1)
	s_or_b32 exec_lo, exec_lo, s2
.LBB53_44:
	s_delay_alu instid0(SALU_CYCLE_1)
	s_or_b32 exec_lo, exec_lo, s6
.LBB53_45:
	v_mbcnt_lo_u32_b32 v0, -1, 0
	s_delay_alu instid0(VALU_DEP_1) | instskip(SKIP_2) | instid1(VALU_DEP_3)
	v_xor_b32_e32 v1, 16, v0
	v_xor_b32_e32 v9, 8, v0
	;; [unrolled: 1-line block ×3, first 2 shown]
	v_cmp_gt_i32_e32 vcc_lo, 32, v1
	v_cndmask_b32_e32 v1, v0, v1, vcc_lo
	s_delay_alu instid0(VALU_DEP_4) | instskip(NEXT) | instid1(VALU_DEP_2)
	v_cmp_gt_i32_e32 vcc_lo, 32, v9
	v_lshlrev_b32_e32 v1, 2, v1
	ds_bpermute_b32 v4, v1, v58
	s_waitcnt lgkmcnt(0)
	v_add_f32_e32 v4, v58, v4
	ds_bpermute_b32 v2, v1, v57
	ds_bpermute_b32 v8, v1, v55
	;; [unrolled: 1-line block ×3, first 2 shown]
	v_cndmask_b32_e32 v9, v0, v9, vcc_lo
	ds_bpermute_b32 v3, v1, v51
	ds_bpermute_b32 v5, v1, v52
	;; [unrolled: 1-line block ×4, first 2 shown]
	v_cmp_gt_i32_e32 vcc_lo, 32, v17
	s_waitcnt lgkmcnt(6)
	v_dual_cndmask_b32 v17, v0, v17 :: v_dual_add_f32 v2, v57, v2
	s_waitcnt lgkmcnt(5)
	v_dual_add_f32 v8, v55, v8 :: v_dual_lshlrev_b32 v9, 2, v9
	s_waitcnt lgkmcnt(4)
	v_add_f32_e32 v6, v56, v6
	ds_bpermute_b32 v10, v9, v2
	s_waitcnt lgkmcnt(4)
	v_add_f32_e32 v3, v51, v3
	ds_bpermute_b32 v12, v9, v4
	ds_bpermute_b32 v14, v9, v6
	;; [unrolled: 1-line block ×3, first 2 shown]
	s_waitcnt lgkmcnt(6)
	v_add_f32_e32 v5, v52, v5
	s_waitcnt lgkmcnt(5)
	v_add_f32_e32 v7, v54, v7
	s_waitcnt lgkmcnt(3)
	v_dual_add_f32 v1, v53, v1 :: v_dual_add_f32 v2, v2, v10
	ds_bpermute_b32 v11, v9, v3
	s_waitcnt lgkmcnt(3)
	v_dual_add_f32 v4, v4, v12 :: v_dual_lshlrev_b32 v17, 2, v17
	ds_bpermute_b32 v15, v9, v7
	s_waitcnt lgkmcnt(3)
	v_add_f32_e32 v6, v6, v14
	ds_bpermute_b32 v13, v9, v5
	s_waitcnt lgkmcnt(3)
	v_add_f32_e32 v8, v8, v16
	;; [unrolled: 3-line block ×4, first 2 shown]
	s_waitcnt lgkmcnt(0)
	v_dual_add_f32 v4, v4, v11 :: v_dual_add_f32 v1, v1, v9
	ds_bpermute_b32 v9, v17, v2
	ds_bpermute_b32 v15, v17, v8
	v_add_f32_e32 v5, v5, v13
	ds_bpermute_b32 v13, v17, v6
	ds_bpermute_b32 v16, v17, v1
	s_waitcnt lgkmcnt(3)
	v_add_f32_e32 v2, v2, v9
	s_waitcnt lgkmcnt(2)
	v_add_f32_e32 v8, v8, v15
	ds_bpermute_b32 v10, v17, v3
	ds_bpermute_b32 v12, v17, v5
	s_waitcnt lgkmcnt(3)
	v_add_f32_e32 v6, v6, v13
	ds_bpermute_b32 v14, v17, v7
	v_xor_b32_e32 v17, 2, v0
	s_waitcnt lgkmcnt(3)
	v_add_f32_e32 v9, v1, v16
	s_delay_alu instid0(VALU_DEP_2) | instskip(SKIP_1) | instid1(VALU_DEP_1)
	v_cmp_gt_i32_e32 vcc_lo, 32, v17
	v_cndmask_b32_e32 v17, v0, v17, vcc_lo
	v_lshlrev_b32_e32 v17, 2, v17
	s_waitcnt lgkmcnt(2)
	v_add_f32_e32 v3, v3, v10
	ds_bpermute_b32 v1, v17, v2
	s_waitcnt lgkmcnt(2)
	v_add_f32_e32 v5, v5, v12
	ds_bpermute_b32 v13, v17, v6
	;; [unrolled: 3-line block ×3, first 2 shown]
	ds_bpermute_b32 v11, v17, v4
	ds_bpermute_b32 v12, v17, v5
	;; [unrolled: 1-line block ×5, first 2 shown]
	v_xor_b32_e32 v17, 1, v0
	s_delay_alu instid0(VALU_DEP_1) | instskip(SKIP_3) | instid1(VALU_DEP_2)
	v_cmp_gt_i32_e32 vcc_lo, 32, v17
	v_cndmask_b32_e32 v0, v0, v17, vcc_lo
	v_cmp_eq_u32_e32 vcc_lo, 31, v50
	s_waitcnt lgkmcnt(7)
	v_dual_add_f32 v0, v2, v1 :: v_dual_lshlrev_b32 v17, 2, v0
	s_waitcnt lgkmcnt(4)
	v_dual_add_f32 v1, v3, v10 :: v_dual_add_f32 v2, v4, v11
	s_waitcnt lgkmcnt(3)
	v_dual_add_f32 v4, v6, v13 :: v_dual_add_f32 v3, v5, v12
	;; [unrolled: 2-line block ×3, first 2 shown]
	s_waitcnt lgkmcnt(0)
	v_add_f32_e32 v7, v9, v16
	ds_bpermute_b32 v8, v17, v0
	ds_bpermute_b32 v9, v17, v1
	;; [unrolled: 1-line block ×8, first 2 shown]
	s_and_b32 exec_lo, exec_lo, vcc_lo
	s_cbranch_execz .LBB53_13
; %bb.46:
	s_load_b64 s[2:3], s[0:1], 0x58
	s_waitcnt lgkmcnt(0)
	v_add_f32_e32 v8, v0, v8
	v_add_f32_e32 v0, v1, v9
	v_dual_add_f32 v10, v2, v10 :: v_dual_add_f32 v1, v3, v11
	v_add_f32_e32 v3, v7, v15
	v_dual_add_f32 v11, v4, v12 :: v_dual_add_f32 v2, v5, v13
	s_delay_alu instid0(VALU_DEP_4)
	v_mul_f32_e32 v5, v0, v48
	v_mul_f32_e64 v4, v0, -v49
	v_dual_add_f32 v12, v6, v14 :: v_dual_mul_f32 v7, v1, v48
	v_mul_f32_e64 v6, v1, -v49
	v_mul_f32_e64 v0, v2, -v49
	v_mul_f32_e32 v1, v2, v48
	v_mul_f32_e64 v2, v3, -v49
	v_mul_f32_e32 v3, v3, v48
	v_cmp_eq_f32_e32 vcc_lo, 0, v46
	v_fmac_f32_e32 v0, v48, v11
	v_cmp_eq_f32_e64 s0, 0, v47
	v_dual_fmac_f32 v4, v48, v8 :: v_dual_fmac_f32 v7, v49, v10
	v_fmac_f32_e32 v5, v49, v8
	v_lshlrev_b64 v[8:9], 5, v[28:29]
	v_dual_fmac_f32 v6, v48, v10 :: v_dual_fmac_f32 v1, v49, v11
	v_fmac_f32_e32 v2, v48, v12
	v_fmac_f32_e32 v3, v49, v12
	s_and_b32 s0, vcc_lo, s0
	s_delay_alu instid0(SALU_CYCLE_1) | instskip(NEXT) | instid1(SALU_CYCLE_1)
	s_and_saveexec_b32 s1, s0
	s_xor_b32 s0, exec_lo, s1
; %bb.47:
	v_add_co_u32 v8, vcc_lo, s2, v8
	v_add_co_ci_u32_e32 v9, vcc_lo, s3, v9, vcc_lo
                                        ; implicit-def: $vgpr46
                                        ; implicit-def: $vgpr47
	s_clause 0x1
	global_store_b128 v[8:9], v[4:7], off
	global_store_b128 v[8:9], v[0:3], off offset:16
                                        ; implicit-def: $vgpr4
                                        ; implicit-def: $vgpr8_vgpr9
                                        ; implicit-def: $vgpr0
; %bb.48:
	s_and_not1_saveexec_b32 s0, s0
	s_cbranch_execz .LBB53_13
; %bb.49:
	v_add_co_u32 v16, vcc_lo, s2, v8
	v_add_co_ci_u32_e32 v17, vcc_lo, s3, v9, vcc_lo
	s_clause 0x1
	global_load_b128 v[8:11], v[16:17], off
	global_load_b128 v[12:15], v[16:17], off offset:16
	s_waitcnt vmcnt(1)
	v_dual_fmac_f32 v4, v46, v8 :: v_dual_fmac_f32 v7, v47, v10
	v_dual_fmac_f32 v5, v47, v8 :: v_dual_fmac_f32 v6, v46, v10
	s_waitcnt vmcnt(0)
	v_dual_fmac_f32 v0, v46, v12 :: v_dual_fmac_f32 v3, v47, v14
	v_dual_fmac_f32 v1, v47, v12 :: v_dual_fmac_f32 v2, v46, v14
	v_fma_f32 v4, -v47, v9, v4
	v_fmac_f32_e32 v5, v46, v9
	v_fma_f32 v6, -v47, v11, v6
	v_fmac_f32_e32 v7, v46, v11
	;; [unrolled: 2-line block ×4, first 2 shown]
	s_clause 0x1
	global_store_b128 v[16:17], v[4:7], off
	global_store_b128 v[16:17], v[0:3], off offset:16
	s_nop 0
	s_sendmsg sendmsg(MSG_DEALLOC_VGPRS)
	s_endpgm
	.section	.rodata,"a",@progbits
	.p2align	6, 0x0
	.amdhsa_kernel _ZN9rocsparseL18bsrxmvn_4x4_kernelILj128ELj32E21rocsparse_complex_numIfEllS2_S2_S2_EEvT3_20rocsparse_direction_NS_24const_host_device_scalarIT1_EES3_PKS3_PKT2_SC_S9_PKT4_PKT5_S7_PT6_21rocsparse_index_base_b
		.amdhsa_group_segment_fixed_size 0
		.amdhsa_private_segment_fixed_size 0
		.amdhsa_kernarg_size 104
		.amdhsa_user_sgpr_count 15
		.amdhsa_user_sgpr_dispatch_ptr 0
		.amdhsa_user_sgpr_queue_ptr 0
		.amdhsa_user_sgpr_kernarg_segment_ptr 1
		.amdhsa_user_sgpr_dispatch_id 0
		.amdhsa_user_sgpr_private_segment_size 0
		.amdhsa_wavefront_size32 1
		.amdhsa_uses_dynamic_stack 0
		.amdhsa_enable_private_segment 0
		.amdhsa_system_sgpr_workgroup_id_x 1
		.amdhsa_system_sgpr_workgroup_id_y 0
		.amdhsa_system_sgpr_workgroup_id_z 0
		.amdhsa_system_sgpr_workgroup_info 0
		.amdhsa_system_vgpr_workitem_id 0
		.amdhsa_next_free_vgpr 179
		.amdhsa_next_free_sgpr 16
		.amdhsa_reserve_vcc 1
		.amdhsa_float_round_mode_32 0
		.amdhsa_float_round_mode_16_64 0
		.amdhsa_float_denorm_mode_32 3
		.amdhsa_float_denorm_mode_16_64 3
		.amdhsa_dx10_clamp 1
		.amdhsa_ieee_mode 1
		.amdhsa_fp16_overflow 0
		.amdhsa_workgroup_processor_mode 1
		.amdhsa_memory_ordered 1
		.amdhsa_forward_progress 0
		.amdhsa_shared_vgpr_count 0
		.amdhsa_exception_fp_ieee_invalid_op 0
		.amdhsa_exception_fp_denorm_src 0
		.amdhsa_exception_fp_ieee_div_zero 0
		.amdhsa_exception_fp_ieee_overflow 0
		.amdhsa_exception_fp_ieee_underflow 0
		.amdhsa_exception_fp_ieee_inexact 0
		.amdhsa_exception_int_div_zero 0
	.end_amdhsa_kernel
	.section	.text._ZN9rocsparseL18bsrxmvn_4x4_kernelILj128ELj32E21rocsparse_complex_numIfEllS2_S2_S2_EEvT3_20rocsparse_direction_NS_24const_host_device_scalarIT1_EES3_PKS3_PKT2_SC_S9_PKT4_PKT5_S7_PT6_21rocsparse_index_base_b,"axG",@progbits,_ZN9rocsparseL18bsrxmvn_4x4_kernelILj128ELj32E21rocsparse_complex_numIfEllS2_S2_S2_EEvT3_20rocsparse_direction_NS_24const_host_device_scalarIT1_EES3_PKS3_PKT2_SC_S9_PKT4_PKT5_S7_PT6_21rocsparse_index_base_b,comdat
.Lfunc_end53:
	.size	_ZN9rocsparseL18bsrxmvn_4x4_kernelILj128ELj32E21rocsparse_complex_numIfEllS2_S2_S2_EEvT3_20rocsparse_direction_NS_24const_host_device_scalarIT1_EES3_PKS3_PKT2_SC_S9_PKT4_PKT5_S7_PT6_21rocsparse_index_base_b, .Lfunc_end53-_ZN9rocsparseL18bsrxmvn_4x4_kernelILj128ELj32E21rocsparse_complex_numIfEllS2_S2_S2_EEvT3_20rocsparse_direction_NS_24const_host_device_scalarIT1_EES3_PKS3_PKT2_SC_S9_PKT4_PKT5_S7_PT6_21rocsparse_index_base_b
                                        ; -- End function
	.section	.AMDGPU.csdata,"",@progbits
; Kernel info:
; codeLenInByte = 7912
; NumSgprs: 18
; NumVgprs: 179
; ScratchSize: 0
; MemoryBound: 0
; FloatMode: 240
; IeeeMode: 1
; LDSByteSize: 0 bytes/workgroup (compile time only)
; SGPRBlocks: 2
; VGPRBlocks: 22
; NumSGPRsForWavesPerEU: 18
; NumVGPRsForWavesPerEU: 179
; Occupancy: 8
; WaveLimiterHint : 1
; COMPUTE_PGM_RSRC2:SCRATCH_EN: 0
; COMPUTE_PGM_RSRC2:USER_SGPR: 15
; COMPUTE_PGM_RSRC2:TRAP_HANDLER: 0
; COMPUTE_PGM_RSRC2:TGID_X_EN: 1
; COMPUTE_PGM_RSRC2:TGID_Y_EN: 0
; COMPUTE_PGM_RSRC2:TGID_Z_EN: 0
; COMPUTE_PGM_RSRC2:TIDIG_COMP_CNT: 0
	.section	.text._ZN9rocsparseL18bsrxmvn_4x4_kernelILj128ELj64E21rocsparse_complex_numIfEllS2_S2_S2_EEvT3_20rocsparse_direction_NS_24const_host_device_scalarIT1_EES3_PKS3_PKT2_SC_S9_PKT4_PKT5_S7_PT6_21rocsparse_index_base_b,"axG",@progbits,_ZN9rocsparseL18bsrxmvn_4x4_kernelILj128ELj64E21rocsparse_complex_numIfEllS2_S2_S2_EEvT3_20rocsparse_direction_NS_24const_host_device_scalarIT1_EES3_PKS3_PKT2_SC_S9_PKT4_PKT5_S7_PT6_21rocsparse_index_base_b,comdat
	.globl	_ZN9rocsparseL18bsrxmvn_4x4_kernelILj128ELj64E21rocsparse_complex_numIfEllS2_S2_S2_EEvT3_20rocsparse_direction_NS_24const_host_device_scalarIT1_EES3_PKS3_PKT2_SC_S9_PKT4_PKT5_S7_PT6_21rocsparse_index_base_b ; -- Begin function _ZN9rocsparseL18bsrxmvn_4x4_kernelILj128ELj64E21rocsparse_complex_numIfEllS2_S2_S2_EEvT3_20rocsparse_direction_NS_24const_host_device_scalarIT1_EES3_PKS3_PKT2_SC_S9_PKT4_PKT5_S7_PT6_21rocsparse_index_base_b
	.p2align	8
	.type	_ZN9rocsparseL18bsrxmvn_4x4_kernelILj128ELj64E21rocsparse_complex_numIfEllS2_S2_S2_EEvT3_20rocsparse_direction_NS_24const_host_device_scalarIT1_EES3_PKS3_PKT2_SC_S9_PKT4_PKT5_S7_PT6_21rocsparse_index_base_b,@function
_ZN9rocsparseL18bsrxmvn_4x4_kernelILj128ELj64E21rocsparse_complex_numIfEllS2_S2_S2_EEvT3_20rocsparse_direction_NS_24const_host_device_scalarIT1_EES3_PKS3_PKT2_SC_S9_PKT4_PKT5_S7_PT6_21rocsparse_index_base_b: ; @_ZN9rocsparseL18bsrxmvn_4x4_kernelILj128ELj64E21rocsparse_complex_numIfEllS2_S2_S2_EEvT3_20rocsparse_direction_NS_24const_host_device_scalarIT1_EES3_PKS3_PKT2_SC_S9_PKT4_PKT5_S7_PT6_21rocsparse_index_base_b
; %bb.0:
	s_clause 0x2
	s_load_b64 s[12:13], s[0:1], 0x60
	s_load_b128 s[4:7], s[0:1], 0x10
	s_load_b64 s[2:3], s[0:1], 0x50
	s_waitcnt lgkmcnt(0)
	s_bitcmp1_b32 s13, 0
	v_mov_b32_e32 v48, s4
	s_cselect_b32 s8, -1, 0
	s_delay_alu instid0(SALU_CYCLE_1)
	s_and_b32 vcc_lo, exec_lo, s8
	s_xor_b32 s8, s8, -1
	s_cbranch_vccz .LBB54_14
; %bb.1:
	v_cndmask_b32_e64 v1, 0, 1, s8
	v_mov_b32_e32 v49, s5
	s_and_not1_b32 vcc_lo, exec_lo, s8
	s_cbranch_vccz .LBB54_15
.LBB54_2:
	s_delay_alu instid0(VALU_DEP_2)
	v_cmp_ne_u32_e32 vcc_lo, 1, v1
	v_mov_b32_e32 v46, s2
	s_cbranch_vccz .LBB54_16
.LBB54_3:
	v_cmp_ne_u32_e32 vcc_lo, 1, v1
	v_mov_b32_e32 v47, s3
	s_cbranch_vccnz .LBB54_5
.LBB54_4:
	v_dual_mov_b32 v1, s2 :: v_dual_mov_b32 v2, s3
	flat_load_b32 v47, v[1:2] offset:4
.LBB54_5:
	s_waitcnt vmcnt(0) lgkmcnt(0)
	v_cmp_eq_f32_e32 vcc_lo, 0, v48
	v_cmp_eq_f32_e64 s2, 0, v49
	s_delay_alu instid0(VALU_DEP_1)
	s_and_b32 s4, vcc_lo, s2
	s_mov_b32 s2, -1
	s_and_saveexec_b32 s3, s4
; %bb.6:
	v_cmp_neq_f32_e32 vcc_lo, 1.0, v46
	v_cmp_neq_f32_e64 s2, 0, v47
	s_delay_alu instid0(VALU_DEP_1) | instskip(NEXT) | instid1(SALU_CYCLE_1)
	s_or_b32 s2, vcc_lo, s2
	s_or_not1_b32 s2, s2, exec_lo
; %bb.7:
	s_or_b32 exec_lo, exec_lo, s3
	s_and_saveexec_b32 s3, s2
	s_cbranch_execz .LBB54_13
; %bb.8:
	s_load_b64 s[4:5], s[0:1], 0x20
	v_lshrrev_b32_e32 v1, 6, v0
	v_mov_b32_e32 v2, 0
	s_mov_b32 s8, 0
	s_delay_alu instid0(VALU_DEP_2)
	v_lshl_or_b32 v1, s15, 1, v1
	s_waitcnt lgkmcnt(0)
	s_cmp_lg_u64 s[4:5], 0
	s_cbranch_scc0 .LBB54_17
; %bb.9:
	s_delay_alu instid0(VALU_DEP_1) | instskip(SKIP_2) | instid1(SALU_CYCLE_1)
	v_cmp_gt_i64_e32 vcc_lo, s[6:7], v[1:2]
	s_mov_b32 s6, 0
                                        ; implicit-def: $vgpr28_vgpr29
	s_and_saveexec_b32 s2, vcc_lo
	s_xor_b32 s7, exec_lo, s2
                                        ; implicit-def: $sgpr2_sgpr3
	s_cbranch_execz .LBB54_11
; %bb.10:
	v_lshlrev_b64 v[3:4], 3, v[1:2]
	s_mov_b32 s8, exec_lo
	s_mov_b32 s3, 0
	s_delay_alu instid0(VALU_DEP_1) | instskip(NEXT) | instid1(VALU_DEP_2)
	v_add_co_u32 v3, vcc_lo, s4, v3
	v_add_co_ci_u32_e32 v4, vcc_lo, s5, v4, vcc_lo
	global_load_b64 v[3:4], v[3:4], off
	s_waitcnt vmcnt(0)
	v_sub_co_u32 v28, vcc_lo, v3, s12
	v_subrev_co_ci_u32_e32 v29, vcc_lo, 0, v4, vcc_lo
.LBB54_11:
	s_or_b32 exec_lo, exec_lo, s7
	s_delay_alu instid0(SALU_CYCLE_1)
	s_and_b32 vcc_lo, exec_lo, s6
	s_cbranch_vccnz .LBB54_18
.LBB54_12:
	s_and_b32 exec_lo, exec_lo, s8
	s_cbranch_execnz .LBB54_21
.LBB54_13:
	s_nop 0
	s_sendmsg sendmsg(MSG_DEALLOC_VGPRS)
	s_endpgm
.LBB54_14:
	v_dual_mov_b32 v1, s4 :: v_dual_mov_b32 v2, s5
	flat_load_b32 v48, v[1:2]
	v_cndmask_b32_e64 v1, 0, 1, s8
	v_mov_b32_e32 v49, s5
	s_and_not1_b32 vcc_lo, exec_lo, s8
	s_cbranch_vccnz .LBB54_2
.LBB54_15:
	v_dual_mov_b32 v2, s4 :: v_dual_mov_b32 v3, s5
	flat_load_b32 v49, v[2:3] offset:4
	v_cmp_ne_u32_e32 vcc_lo, 1, v1
	v_mov_b32_e32 v46, s2
	s_cbranch_vccnz .LBB54_3
.LBB54_16:
	v_dual_mov_b32 v2, s2 :: v_dual_mov_b32 v3, s3
	flat_load_b32 v46, v[2:3]
	v_cmp_ne_u32_e32 vcc_lo, 1, v1
	v_mov_b32_e32 v47, s3
	s_cbranch_vccz .LBB54_4
	s_branch .LBB54_5
.LBB54_17:
                                        ; implicit-def: $vgpr28_vgpr29
                                        ; implicit-def: $sgpr2_sgpr3
	s_cbranch_execz .LBB54_12
.LBB54_18:
	s_load_b64 s[2:3], s[0:1], 0x0
	s_mov_b32 s4, exec_lo
                                        ; implicit-def: $vgpr28_vgpr29
	s_waitcnt lgkmcnt(0)
	v_cmpx_gt_i64_e64 s[2:3], v[1:2]
                                        ; implicit-def: $sgpr2_sgpr3
; %bb.19:
	v_dual_mov_b32 v29, v2 :: v_dual_mov_b32 v28, v1
	s_mov_b32 s3, 0
	s_or_b32 s8, s8, exec_lo
; %bb.20:
	s_or_b32 exec_lo, exec_lo, s4
	s_delay_alu instid0(SALU_CYCLE_1)
	s_and_b32 exec_lo, exec_lo, s8
	s_cbranch_execz .LBB54_13
.LBB54_21:
	s_load_b256 s[4:11], s[0:1], 0x28
	v_lshlrev_b64 v[1:2], 3, v[28:29]
	v_dual_mov_b32 v51, 0 :: v_dual_and_b32 v50, 63, v0
	s_waitcnt lgkmcnt(0)
	s_delay_alu instid0(VALU_DEP_2) | instskip(NEXT) | instid1(VALU_DEP_3)
	v_add_co_u32 v3, vcc_lo, s4, v1
	v_add_co_ci_u32_e32 v4, vcc_lo, s5, v2, vcc_lo
	v_add_co_u32 v1, vcc_lo, s6, v1
	v_add_co_ci_u32_e32 v2, vcc_lo, s7, v2, vcc_lo
	s_delay_alu instid0(VALU_DEP_4)
	v_add_co_u32 v5, vcc_lo, v3, 8
	global_load_b64 v[36:37], v[3:4], off
	v_add_co_ci_u32_e32 v6, vcc_lo, 0, v4, vcc_lo
	s_cmp_eq_u64 s[6:7], 0
	s_clause 0x1
	s_load_b32 s6, s[0:1], 0x8
	s_load_b64 s[4:5], s[0:1], 0x48
	s_cselect_b32 vcc_lo, -1, 0
	v_dual_cndmask_b32 v2, v2, v6 :: v_dual_cndmask_b32 v1, v1, v5
	global_load_b64 v[1:2], v[1:2], off
	s_waitcnt lgkmcnt(0)
	s_cmp_eq_u32 s6, 1
	s_waitcnt vmcnt(1)
	v_sub_co_u32 v0, vcc_lo, v36, s12
	v_subrev_co_ci_u32_e32 v3, vcc_lo, s3, v37, vcc_lo
	s_delay_alu instid0(VALU_DEP_2) | instskip(NEXT) | instid1(VALU_DEP_2)
	v_add_co_u32 v30, vcc_lo, v0, v50
	v_add_co_ci_u32_e32 v31, vcc_lo, 0, v3, vcc_lo
	s_waitcnt vmcnt(0)
	v_sub_co_u32 v32, vcc_lo, v1, s12
	s_delay_alu instid0(VALU_DEP_2) | instskip(SKIP_1) | instid1(VALU_DEP_2)
	v_lshlrev_b64 v[0:1], 7, v[30:31]
	v_subrev_co_ci_u32_e32 v33, vcc_lo, s3, v2, vcc_lo
	v_add_co_u32 v34, vcc_lo, s10, v0
	s_delay_alu instid0(VALU_DEP_2) | instskip(NEXT) | instid1(VALU_DEP_4)
	v_cmp_lt_i64_e64 s2, v[30:31], v[32:33]
	v_add_co_ci_u32_e32 v35, vcc_lo, s11, v1, vcc_lo
	s_cbranch_scc1 .LBB54_33
; %bb.22:
	v_dual_mov_b32 v57, 0 :: v_dual_mov_b32 v56, 0
	v_dual_mov_b32 v55, 0 :: v_dual_mov_b32 v54, 0
	;; [unrolled: 1-line block ×3, first 2 shown]
	v_mov_b32_e32 v52, 0
	s_mov_b32 s6, 0
	s_and_saveexec_b32 s7, s2
	s_cbranch_execz .LBB54_32
; %bb.23:
	v_or_b32_e32 v0, 64, v50
	v_not_b32_e32 v3, v36
	v_not_b32_e32 v2, v37
	v_dual_mov_b32 v56, 0 :: v_dual_mov_b32 v39, v35
	s_delay_alu instid0(VALU_DEP_4) | instskip(NEXT) | instid1(VALU_DEP_1)
	v_sub_co_u32 v0, s10, v0, s12
	v_sub_co_ci_u32_e64 v1, null, 0, s3, s10
	v_sub_co_u32 v4, s10, s12, v50
	s_delay_alu instid0(VALU_DEP_3) | instskip(NEXT) | instid1(VALU_DEP_3)
	v_add_co_u32 v0, vcc_lo, v0, v36
	v_add_co_ci_u32_e32 v1, vcc_lo, v1, v37, vcc_lo
	v_sub_co_ci_u32_e64 v5, null, s3, 0, s10
	v_dual_mov_b32 v52, 0 :: v_dual_mov_b32 v53, 0
	s_delay_alu instid0(VALU_DEP_3)
	v_cmp_gt_i64_e32 vcc_lo, v[0:1], v[32:33]
	v_dual_mov_b32 v58, 0 :: v_dual_mov_b32 v57, 0
	v_dual_mov_b32 v54, 0 :: v_dual_mov_b32 v51, 0
	v_dual_mov_b32 v38, v34 :: v_dual_cndmask_b32 v1, v33, v1
	v_cndmask_b32_e32 v0, v32, v0, vcc_lo
	v_add_co_u32 v3, vcc_lo, v4, v3
	v_add_co_ci_u32_e32 v2, vcc_lo, v5, v2, vcc_lo
	s_mov_b32 s10, exec_lo
	s_delay_alu instid0(VALU_DEP_2) | instskip(NEXT) | instid1(VALU_DEP_2)
	v_add_co_u32 v0, vcc_lo, v3, v0
	v_add_co_ci_u32_e32 v1, vcc_lo, v2, v1, vcc_lo
	v_mov_b32_e32 v55, 0
	s_delay_alu instid0(VALU_DEP_3) | instskip(SKIP_1) | instid1(VALU_DEP_2)
	v_lshrrev_b32_e32 v2, 6, v0
	v_dual_mov_b32 v41, v31 :: v_dual_mov_b32 v40, v30
	v_add_nc_u32_e32 v2, 1, v2
	s_delay_alu instid0(VALU_DEP_1) | instskip(NEXT) | instid1(VALU_DEP_1)
	v_and_b32_e32 v2, 3, v2
	v_cmpx_ne_u32_e32 0, v2
	s_cbranch_execz .LBB54_27
; %bb.24:
	v_lshlrev_b64 v[4:5], 3, v[30:31]
	v_dual_mov_b32 v3, 0 :: v_dual_lshlrev_b32 v2, 3, v2
	v_dual_mov_b32 v41, v31 :: v_dual_mov_b32 v40, v30
	v_dual_mov_b32 v39, v35 :: v_dual_mov_b32 v38, v34
	s_delay_alu instid0(VALU_DEP_4)
	v_add_co_u32 v4, vcc_lo, s8, v4
	v_add_co_ci_u32_e32 v5, vcc_lo, s9, v5, vcc_lo
	v_mov_b32_e32 v51, v3
	v_mov_b32_e32 v57, v3
	;; [unrolled: 1-line block ×8, first 2 shown]
	s_mov_b32 s11, 0
.LBB54_25:                              ; =>This Inner Loop Header: Depth=1
	global_load_b64 v[26:27], v[4:5], off
	s_clause 0x7
	global_load_b128 v[6:9], v[38:39], off offset:48
	global_load_b128 v[10:13], v[38:39], off offset:32
	;; [unrolled: 1-line block ×3, first 2 shown]
	global_load_b128 v[18:21], v[38:39], off
	global_load_b128 v[22:25], v[38:39], off offset:112
	global_load_b128 v[42:45], v[38:39], off offset:96
	;; [unrolled: 1-line block ×4, first 2 shown]
	s_waitcnt vmcnt(8)
	v_sub_co_u32 v26, vcc_lo, v26, s12
	v_subrev_co_ci_u32_e32 v27, vcc_lo, s3, v27, vcc_lo
	s_delay_alu instid0(VALU_DEP_1) | instskip(NEXT) | instid1(VALU_DEP_1)
	v_lshlrev_b64 v[26:27], 5, v[26:27]
	v_add_co_u32 v26, vcc_lo, s4, v26
	s_delay_alu instid0(VALU_DEP_2)
	v_add_co_ci_u32_e32 v27, vcc_lo, s5, v27, vcc_lo
	v_add_co_u32 v38, vcc_lo, 0x2000, v38
	v_add_co_ci_u32_e32 v39, vcc_lo, 0, v39, vcc_lo
	s_clause 0x1
	global_load_b128 v[67:70], v[26:27], off
	global_load_b128 v[71:74], v[26:27], off offset:16
	v_add_co_u32 v40, vcc_lo, v40, 64
	v_add_co_ci_u32_e32 v41, vcc_lo, 0, v41, vcc_lo
	v_add_co_u32 v2, vcc_lo, v2, -8
	v_add_co_ci_u32_e32 v3, vcc_lo, -1, v3, vcc_lo
	v_add_co_u32 v4, vcc_lo, 0x200, v4
	v_add_co_ci_u32_e32 v5, vcc_lo, 0, v5, vcc_lo
	s_delay_alu instid0(VALU_DEP_3)
	v_cmp_eq_u64_e32 vcc_lo, 0, v[2:3]
	s_or_b32 s11, vcc_lo, s11
	s_waitcnt vmcnt(1)
	v_fmac_f32_e32 v52, v11, v67
	v_fmac_f32_e32 v51, v19, v67
	;; [unrolled: 1-line block ×4, first 2 shown]
	s_delay_alu instid0(VALU_DEP_4) | instskip(NEXT) | instid1(VALU_DEP_4)
	v_fmac_f32_e32 v52, v10, v68
	v_fmac_f32_e32 v51, v18, v68
	s_delay_alu instid0(VALU_DEP_4) | instskip(NEXT) | instid1(VALU_DEP_3)
	v_dual_fmac_f32 v53, v42, v68 :: v_dual_fmac_f32 v54, v64, v67
	v_dual_fmac_f32 v55, v42, v67 :: v_dual_fmac_f32 v52, v13, v69
	s_delay_alu instid0(VALU_DEP_3) | instskip(NEXT) | instid1(VALU_DEP_3)
	v_fmac_f32_e32 v51, v21, v69
	v_dual_fmac_f32 v57, v18, v67 :: v_dual_fmac_f32 v54, v63, v68
	s_delay_alu instid0(VALU_DEP_3) | instskip(NEXT) | instid1(VALU_DEP_4)
	v_fma_f32 v18, -v43, v68, v55
	v_dual_fmac_f32 v53, v45, v69 :: v_dual_fmac_f32 v52, v12, v70
	s_delay_alu instid0(VALU_DEP_3) | instskip(SKIP_3) | instid1(VALU_DEP_4)
	v_fma_f32 v19, -v19, v68, v57
	v_fmac_f32_e32 v58, v10, v67
	v_fma_f32 v10, -v64, v68, v56
	v_dual_fmac_f32 v54, v66, v69 :: v_dual_fmac_f32 v51, v20, v70
	v_fmac_f32_e32 v19, v20, v69
	s_delay_alu instid0(VALU_DEP_4) | instskip(NEXT) | instid1(VALU_DEP_4)
	v_fma_f32 v11, -v11, v68, v58
	v_dual_fmac_f32 v10, v65, v69 :: v_dual_fmac_f32 v53, v44, v70
	s_waitcnt vmcnt(0)
	v_fmac_f32_e32 v52, v7, v71
	v_fma_f32 v19, -v21, v70, v19
	v_dual_fmac_f32 v11, v12, v69 :: v_dual_fmac_f32 v54, v65, v70
	v_fmac_f32_e32 v18, v44, v69
	v_fma_f32 v10, -v66, v70, v10
	s_delay_alu instid0(VALU_DEP_4) | instskip(NEXT) | instid1(VALU_DEP_4)
	v_fmac_f32_e32 v19, v14, v71
	v_fma_f32 v11, -v13, v70, v11
	v_dual_fmac_f32 v51, v15, v71 :: v_dual_fmac_f32 v52, v6, v72
	v_fma_f32 v12, -v45, v70, v18
	v_fmac_f32_e32 v53, v23, v71
	s_delay_alu instid0(VALU_DEP_3) | instskip(SKIP_1) | instid1(VALU_DEP_4)
	v_dual_fmac_f32 v10, v59, v71 :: v_dual_fmac_f32 v51, v14, v72
	v_fma_f32 v13, -v15, v72, v19
	v_fmac_f32_e32 v12, v22, v71
	v_fmac_f32_e32 v52, v9, v73
	v_dual_fmac_f32 v54, v60, v71 :: v_dual_fmac_f32 v53, v22, v72
	v_fmac_f32_e32 v11, v6, v71
	v_fma_f32 v6, -v60, v72, v10
	s_delay_alu instid0(VALU_DEP_3) | instskip(SKIP_1) | instid1(VALU_DEP_4)
	v_dual_fmac_f32 v13, v16, v73 :: v_dual_fmac_f32 v54, v59, v72
	v_fma_f32 v10, -v23, v72, v12
	v_fma_f32 v7, -v7, v72, v11
	v_fmac_f32_e32 v53, v25, v73
	v_dual_fmac_f32 v51, v17, v73 :: v_dual_fmac_f32 v52, v8, v74
	v_fmac_f32_e32 v6, v61, v73
	s_delay_alu instid0(VALU_DEP_3) | instskip(SKIP_3) | instid1(VALU_DEP_4)
	v_dual_fmac_f32 v54, v62, v73 :: v_dual_fmac_f32 v53, v24, v74
	v_fmac_f32_e32 v7, v8, v73
	v_fmac_f32_e32 v10, v24, v73
	v_fma_f32 v57, -v17, v74, v13
	v_fmac_f32_e32 v54, v61, v74
	v_fmac_f32_e32 v51, v16, v74
	v_fma_f32 v58, -v9, v74, v7
	v_fma_f32 v56, -v62, v74, v6
	;; [unrolled: 1-line block ×3, first 2 shown]
	s_and_not1_b32 exec_lo, exec_lo, s11
	s_cbranch_execnz .LBB54_25
; %bb.26:
	s_or_b32 exec_lo, exec_lo, s11
.LBB54_27:
	s_delay_alu instid0(SALU_CYCLE_1) | instskip(NEXT) | instid1(SALU_CYCLE_1)
	s_or_b32 exec_lo, exec_lo, s10
	s_mov_b32 s10, exec_lo
	v_cmpx_lt_u64_e32 0xbf, v[0:1]
	s_cbranch_execz .LBB54_31
; %bb.28:
	v_lshlrev_b64 v[0:1], 3, v[40:41]
	s_mov_b32 s11, 0
	s_delay_alu instid0(VALU_DEP_1) | instskip(NEXT) | instid1(VALU_DEP_2)
	v_add_co_u32 v0, vcc_lo, v0, s8
	v_add_co_ci_u32_e32 v1, vcc_lo, s9, v1, vcc_lo
	s_delay_alu instid0(VALU_DEP_2) | instskip(NEXT) | instid1(VALU_DEP_2)
	v_add_co_u32 v42, vcc_lo, 0x400, v0
	v_add_co_ci_u32_e32 v43, vcc_lo, 0, v1, vcc_lo
.LBB54_29:                              ; =>This Inner Loop Header: Depth=1
	s_clause 0x3
	global_load_b64 v[44:45], v[42:43], off offset:-1024
	global_load_b64 v[155:156], v[42:43], off offset:-512
	global_load_b64 v[157:158], v[42:43], off
	global_load_b64 v[159:160], v[42:43], off offset:512
	s_clause 0x7
	global_load_b128 v[59:62], v[38:39], off offset:48
	global_load_b128 v[63:66], v[38:39], off offset:32
	;; [unrolled: 1-line block ×3, first 2 shown]
	global_load_b128 v[71:74], v[38:39], off
	global_load_b128 v[75:78], v[38:39], off offset:112
	global_load_b128 v[79:82], v[38:39], off offset:96
	;; [unrolled: 1-line block ×4, first 2 shown]
	v_add_co_u32 v0, vcc_lo, 0x2000, v38
	v_add_co_ci_u32_e32 v1, vcc_lo, 0, v39, vcc_lo
	v_add_co_u32 v4, vcc_lo, 0x4000, v38
	v_add_co_ci_u32_e32 v5, vcc_lo, 0, v39, vcc_lo
	;; [unrolled: 2-line block ×3, first 2 shown]
	s_clause 0x16
	global_load_b128 v[91:94], v[0:1], off offset:48
	global_load_b128 v[95:98], v[0:1], off offset:32
	global_load_b128 v[99:102], v[0:1], off
	global_load_b128 v[103:106], v[0:1], off offset:16
	global_load_b128 v[107:110], v[0:1], off offset:112
	;; [unrolled: 1-line block ×7, first 2 shown]
	global_load_b128 v[24:27], v[4:5], off
	global_load_b128 v[8:11], v[4:5], off offset:16
	global_load_b128 v[12:15], v[4:5], off offset:112
	;; [unrolled: 1-line block ×5, first 2 shown]
	global_load_b128 v[20:23], v[175:176], off
	global_load_b128 v[4:7], v[175:176], off offset:48
	global_load_b128 v[135:138], v[175:176], off offset:32
	global_load_b128 v[139:142], v[175:176], off offset:112
	global_load_b128 v[143:146], v[175:176], off offset:96
	global_load_b128 v[147:150], v[175:176], off offset:80
	global_load_b128 v[151:154], v[175:176], off offset:64
	s_waitcnt vmcnt(34)
	v_sub_co_u32 v44, vcc_lo, v44, s12
	v_subrev_co_ci_u32_e32 v45, vcc_lo, s3, v45, vcc_lo
	s_waitcnt vmcnt(33)
	v_sub_co_u32 v155, vcc_lo, v155, s12
	v_subrev_co_ci_u32_e32 v156, vcc_lo, s3, v156, vcc_lo
	s_waitcnt vmcnt(32)
	v_sub_co_u32 v157, vcc_lo, v157, s12
	v_lshlrev_b64 v[44:45], 5, v[44:45]
	v_subrev_co_ci_u32_e32 v158, vcc_lo, s3, v158, vcc_lo
	s_waitcnt vmcnt(31)
	v_sub_co_u32 v159, vcc_lo, v159, s12
	v_lshlrev_b64 v[155:156], 5, v[155:156]
	v_subrev_co_ci_u32_e32 v160, vcc_lo, s3, v160, vcc_lo
	v_lshlrev_b64 v[157:158], 5, v[157:158]
	v_add_co_u32 v44, vcc_lo, s4, v44
	v_add_co_ci_u32_e32 v45, vcc_lo, s5, v45, vcc_lo
	s_delay_alu instid0(VALU_DEP_4)
	v_lshlrev_b64 v[159:160], 5, v[159:160]
	v_add_co_u32 v167, vcc_lo, s4, v155
	v_add_co_ci_u32_e32 v168, vcc_lo, s5, v156, vcc_lo
	v_add_co_u32 v171, vcc_lo, s4, v157
	v_add_co_ci_u32_e32 v172, vcc_lo, s5, v158, vcc_lo
	;; [unrolled: 2-line block ×3, first 2 shown]
	s_clause 0x3
	global_load_b128 v[155:158], v[44:45], off
	global_load_b128 v[159:162], v[44:45], off offset:16
	global_load_b128 v[163:166], v[167:168], off
	global_load_b128 v[167:170], v[167:168], off offset:16
	v_add_co_u32 v40, vcc_lo, 0x100, v40
	v_add_co_ci_u32_e32 v41, vcc_lo, 0, v41, vcc_lo
	v_add_co_u32 v42, vcc_lo, 0x800, v42
	v_add_co_ci_u32_e32 v43, vcc_lo, 0, v43, vcc_lo
	;; [unrolled: 2-line block ×3, first 2 shown]
	v_cmp_ge_i64_e32 vcc_lo, v[40:41], v[32:33]
	s_or_b32 s11, vcc_lo, s11
	s_waitcnt vmcnt(3)
	v_fmac_f32_e32 v57, v71, v155
	v_fmac_f32_e32 v52, v64, v155
	v_fmac_f32_e32 v51, v72, v155
	v_fmac_f32_e32 v58, v63, v155
	v_fmac_f32_e32 v56, v87, v155
	v_fma_f32 v44, -v72, v156, v57
	v_fmac_f32_e32 v52, v63, v156
	v_fmac_f32_e32 v51, v71, v156
	v_fma_f32 v45, -v64, v156, v58
	v_fma_f32 v56, -v88, v156, v56
	v_fmac_f32_e32 v44, v73, v157
	v_fmac_f32_e32 v52, v66, v157
	;; [unrolled: 1-line block ×4, first 2 shown]
	v_dual_fmac_f32 v56, v89, v157 :: v_dual_fmac_f32 v53, v80, v155
	v_fma_f32 v44, -v74, v158, v44
	s_delay_alu instid0(VALU_DEP_4)
	v_fmac_f32_e32 v51, v73, v158
	s_clause 0x1
	global_load_b128 v[71:74], v[171:172], off
	global_load_b128 v[171:174], v[171:172], off offset:16
	v_fma_f32 v45, -v66, v158, v45
	v_dual_fmac_f32 v52, v65, v158 :: v_dual_fmac_f32 v55, v79, v155
	global_load_b128 v[63:66], v[177:178], off
	v_dual_fmac_f32 v54, v88, v155 :: v_dual_fmac_f32 v53, v79, v156
	s_waitcnt vmcnt(5)
	v_fmac_f32_e32 v44, v67, v159
	v_fma_f32 v55, -v80, v156, v55
	v_fma_f32 v56, -v90, v158, v56
	v_dual_fmac_f32 v54, v87, v156 :: v_dual_fmac_f32 v53, v82, v157
	v_fmac_f32_e32 v51, v68, v159
	s_delay_alu instid0(VALU_DEP_4) | instskip(NEXT) | instid1(VALU_DEP_3)
	v_dual_fmac_f32 v55, v81, v157 :: v_dual_fmac_f32 v52, v60, v159
	v_dual_fmac_f32 v54, v90, v157 :: v_dual_fmac_f32 v53, v81, v158
	v_fma_f32 v44, -v68, v160, v44
	v_fmac_f32_e32 v45, v59, v159
	s_delay_alu instid0(VALU_DEP_4) | instskip(NEXT) | instid1(VALU_DEP_4)
	v_fma_f32 v55, -v82, v158, v55
	v_fmac_f32_e32 v54, v89, v158
	global_load_b128 v[87:90], v[175:176], off offset:16
	global_load_b128 v[175:178], v[177:178], off offset:16
	v_fmac_f32_e32 v51, v67, v160
	v_fmac_f32_e32 v56, v83, v159
	v_dual_fmac_f32 v53, v76, v159 :: v_dual_fmac_f32 v52, v59, v160
	v_fmac_f32_e32 v54, v84, v159
	v_fmac_f32_e32 v44, v69, v161
	v_fma_f32 v45, -v60, v160, v45
	s_delay_alu instid0(VALU_DEP_4) | instskip(SKIP_1) | instid1(VALU_DEP_3)
	v_fmac_f32_e32 v53, v75, v160
	v_dual_fmac_f32 v55, v75, v159 :: v_dual_fmac_f32 v52, v62, v161
	v_dual_fmac_f32 v54, v83, v160 :: v_dual_fmac_f32 v45, v61, v161
	v_fmac_f32_e32 v51, v70, v161
	v_fma_f32 v56, -v84, v160, v56
	s_delay_alu instid0(VALU_DEP_4) | instskip(NEXT) | instid1(VALU_DEP_4)
	v_fma_f32 v55, -v76, v160, v55
	v_fmac_f32_e32 v54, v86, v161
	v_dual_fmac_f32 v53, v78, v161 :: v_dual_fmac_f32 v52, v61, v162
	v_fmac_f32_e32 v51, v69, v162
	v_fmac_f32_e32 v56, v85, v161
	v_fma_f32 v45, -v62, v162, v45
	v_fma_f32 v44, -v70, v162, v44
	v_fmac_f32_e32 v55, v77, v161
	v_fmac_f32_e32 v54, v85, v162
	s_waitcnt vmcnt(6)
	v_dual_fmac_f32 v53, v77, v162 :: v_dual_fmac_f32 v52, v96, v163
	v_fmac_f32_e32 v51, v100, v163
	v_fma_f32 v56, -v86, v162, v56
	v_fmac_f32_e32 v45, v95, v163
	v_fmac_f32_e32 v44, v99, v163
	v_fma_f32 v55, -v78, v162, v55
	v_dual_fmac_f32 v54, v120, v163 :: v_dual_fmac_f32 v51, v99, v164
	v_fmac_f32_e32 v56, v119, v163
	v_dual_fmac_f32 v53, v112, v163 :: v_dual_fmac_f32 v52, v95, v164
	v_fma_f32 v45, -v96, v164, v45
	v_fma_f32 v44, -v100, v164, v44
	v_fmac_f32_e32 v55, v111, v163
	v_fmac_f32_e32 v54, v119, v164
	v_dual_fmac_f32 v53, v111, v164 :: v_dual_fmac_f32 v52, v98, v165
	v_fmac_f32_e32 v51, v102, v165
	v_fma_f32 v56, -v120, v164, v56
	v_fmac_f32_e32 v45, v97, v165
	v_fmac_f32_e32 v44, v101, v165
	v_fma_f32 v55, -v112, v164, v55
	v_dual_fmac_f32 v54, v122, v165 :: v_dual_fmac_f32 v51, v101, v166
	v_fmac_f32_e32 v56, v121, v165
	v_dual_fmac_f32 v53, v114, v165 :: v_dual_fmac_f32 v52, v97, v166
	v_fma_f32 v45, -v98, v166, v45
	v_fma_f32 v44, -v102, v166, v44
	v_fmac_f32_e32 v55, v113, v165
	v_fmac_f32_e32 v54, v121, v166
	s_waitcnt vmcnt(5)
	v_dual_fmac_f32 v53, v113, v166 :: v_dual_fmac_f32 v52, v92, v167
	v_fmac_f32_e32 v51, v104, v167
	v_fma_f32 v56, -v122, v166, v56
	v_fmac_f32_e32 v45, v91, v167
	v_fmac_f32_e32 v44, v103, v167
	v_fma_f32 v55, -v114, v166, v55
	v_dual_fmac_f32 v54, v116, v167 :: v_dual_fmac_f32 v51, v103, v168
	v_fmac_f32_e32 v56, v115, v167
	v_dual_fmac_f32 v53, v108, v167 :: v_dual_fmac_f32 v52, v91, v168
	v_fma_f32 v45, -v92, v168, v45
	v_fma_f32 v44, -v104, v168, v44
	v_fmac_f32_e32 v55, v107, v167
	v_fmac_f32_e32 v54, v115, v168
	v_dual_fmac_f32 v53, v107, v168 :: v_dual_fmac_f32 v52, v94, v169
	v_fmac_f32_e32 v51, v106, v169
	v_fma_f32 v56, -v116, v168, v56
	v_fmac_f32_e32 v45, v93, v169
	v_fmac_f32_e32 v44, v105, v169
	v_fma_f32 v55, -v108, v168, v55
	v_dual_fmac_f32 v53, v110, v169 :: v_dual_fmac_f32 v52, v93, v170
	s_delay_alu instid0(VALU_DEP_4) | instskip(SKIP_4) | instid1(VALU_DEP_1)
	v_fma_f32 v45, -v94, v170, v45
	v_fmac_f32_e32 v56, v117, v169
	v_dual_fmac_f32 v54, v118, v169 :: v_dual_fmac_f32 v51, v105, v170
	v_fma_f32 v44, -v106, v170, v44
	s_waitcnt vmcnt(4)
	v_dual_fmac_f32 v55, v109, v169 :: v_dual_fmac_f32 v44, v24, v71
	v_fmac_f32_e32 v45, v16, v71
	v_fma_f32 v56, -v118, v170, v56
	v_fmac_f32_e32 v53, v109, v170
	s_delay_alu instid0(VALU_DEP_4)
	v_fma_f32 v55, -v110, v170, v55
	v_fmac_f32_e32 v54, v117, v170
	v_fmac_f32_e32 v52, v17, v71
	;; [unrolled: 1-line block ×6, first 2 shown]
	v_dual_fmac_f32 v51, v25, v71 :: v_dual_fmac_f32 v52, v16, v72
	s_delay_alu instid0(VALU_DEP_4) | instskip(SKIP_1) | instid1(VALU_DEP_4)
	v_fmac_f32_e32 v53, v123, v72
	v_fma_f32 v25, -v25, v72, v44
	v_fmac_f32_e32 v54, v131, v72
	s_delay_alu instid0(VALU_DEP_4)
	v_fmac_f32_e32 v51, v24, v72
	v_fma_f32 v17, -v17, v72, v45
	v_fmac_f32_e32 v53, v126, v73
	v_fma_f32 v16, -v132, v72, v56
	v_fmac_f32_e32 v54, v134, v73
	v_fmac_f32_e32 v52, v19, v73
	;; [unrolled: 1-line block ×4, first 2 shown]
	s_delay_alu instid0(VALU_DEP_4) | instskip(SKIP_3) | instid1(VALU_DEP_4)
	v_dual_fmac_f32 v25, v26, v73 :: v_dual_fmac_f32 v54, v133, v74
	v_fma_f32 v24, -v124, v72, v55
	v_fmac_f32_e32 v52, v18, v74
	v_fmac_f32_e32 v17, v18, v73
	v_fma_f32 v25, -v27, v74, v25
	v_dual_fmac_f32 v16, v133, v73 :: v_dual_fmac_f32 v51, v26, v74
	s_waitcnt vmcnt(3)
	v_fmac_f32_e32 v52, v1, v171
	v_fma_f32 v17, -v19, v74, v17
	v_dual_fmac_f32 v25, v8, v171 :: v_dual_fmac_f32 v24, v125, v73
	v_fma_f32 v16, -v134, v74, v16
	s_delay_alu instid0(VALU_DEP_4) | instskip(NEXT) | instid1(VALU_DEP_3)
	v_dual_fmac_f32 v51, v9, v171 :: v_dual_fmac_f32 v52, v0, v172
	v_fma_f32 v9, -v9, v172, v25
	v_fmac_f32_e32 v17, v0, v171
	v_fma_f32 v18, -v126, v74, v24
	v_fmac_f32_e32 v16, v127, v171
	s_delay_alu instid0(VALU_DEP_4)
	v_dual_fmac_f32 v54, v128, v171 :: v_dual_fmac_f32 v9, v10, v173
	v_fmac_f32_e32 v53, v13, v171
	v_dual_fmac_f32 v51, v8, v172 :: v_dual_fmac_f32 v52, v3, v173
	v_fmac_f32_e32 v18, v12, v171
	v_fma_f32 v0, -v128, v172, v16
	v_fmac_f32_e32 v54, v127, v172
	s_delay_alu instid0(VALU_DEP_4)
	v_fmac_f32_e32 v51, v11, v173
	v_fmac_f32_e32 v53, v12, v172
	v_fma_f32 v1, -v1, v172, v17
	v_fmac_f32_e32 v0, v129, v173
	v_fma_f32 v8, -v13, v172, v18
	v_fma_f32 v9, -v11, v174, v9
	v_dual_fmac_f32 v53, v15, v173 :: v_dual_fmac_f32 v52, v2, v174
	v_fmac_f32_e32 v54, v130, v173
	v_fmac_f32_e32 v51, v10, v174
	v_fma_f32 v0, -v130, v174, v0
	s_delay_alu instid0(VALU_DEP_4)
	v_fmac_f32_e32 v53, v14, v174
	s_waitcnt vmcnt(2)
	v_fmac_f32_e32 v9, v20, v63
	v_dual_fmac_f32 v1, v2, v173 :: v_dual_fmac_f32 v54, v129, v174
	v_fmac_f32_e32 v52, v136, v63
	v_dual_fmac_f32 v8, v14, v173 :: v_dual_fmac_f32 v51, v21, v63
	s_delay_alu instid0(VALU_DEP_3) | instskip(SKIP_1) | instid1(VALU_DEP_4)
	v_fma_f32 v1, -v3, v174, v1
	v_fmac_f32_e32 v0, v151, v63
	v_dual_fmac_f32 v53, v144, v63 :: v_dual_fmac_f32 v52, v135, v64
	s_delay_alu instid0(VALU_DEP_4) | instskip(NEXT) | instid1(VALU_DEP_4)
	v_fma_f32 v2, -v15, v174, v8
	v_fmac_f32_e32 v1, v135, v63
	v_fmac_f32_e32 v51, v20, v64
	v_fma_f32 v0, -v152, v64, v0
	v_fmac_f32_e32 v52, v138, v65
	v_fmac_f32_e32 v2, v143, v63
	v_dual_fmac_f32 v54, v152, v63 :: v_dual_fmac_f32 v53, v143, v64
	s_delay_alu instid0(VALU_DEP_3) | instskip(SKIP_3) | instid1(VALU_DEP_4)
	v_dual_fmac_f32 v51, v23, v65 :: v_dual_fmac_f32 v52, v137, v66
	v_fmac_f32_e32 v0, v153, v65
	v_fma_f32 v3, -v21, v64, v9
	v_fma_f32 v1, -v136, v64, v1
	v_dual_fmac_f32 v51, v22, v66 :: v_dual_fmac_f32 v54, v151, v64
	v_fmac_f32_e32 v53, v146, v65
	v_fma_f32 v0, -v154, v66, v0
	v_fmac_f32_e32 v3, v22, v65
	v_fmac_f32_e32 v1, v137, v65
	s_delay_alu instid0(VALU_DEP_4)
	v_dual_fmac_f32 v54, v154, v65 :: v_dual_fmac_f32 v53, v145, v66
	s_waitcnt vmcnt(0)
	v_fmac_f32_e32 v0, v147, v175
	v_fma_f32 v2, -v144, v64, v2
	v_fma_f32 v3, -v23, v66, v3
	v_fmac_f32_e32 v54, v153, v66
	v_fma_f32 v1, -v138, v66, v1
	v_fma_f32 v0, -v148, v176, v0
	v_dual_fmac_f32 v53, v140, v175 :: v_dual_fmac_f32 v2, v145, v65
	s_delay_alu instid0(VALU_DEP_2) | instskip(NEXT) | instid1(VALU_DEP_2)
	v_dual_fmac_f32 v3, v87, v175 :: v_dual_fmac_f32 v0, v149, v177
	v_dual_fmac_f32 v54, v148, v175 :: v_dual_fmac_f32 v53, v139, v176
	v_fmac_f32_e32 v51, v88, v175
	s_delay_alu instid0(VALU_DEP_4) | instskip(NEXT) | instid1(VALU_DEP_4)
	v_fma_f32 v2, -v146, v66, v2
	v_fma_f32 v3, -v88, v176, v3
	s_delay_alu instid0(VALU_DEP_4) | instskip(NEXT) | instid1(VALU_DEP_4)
	v_fmac_f32_e32 v54, v147, v176
	v_dual_fmac_f32 v52, v5, v175 :: v_dual_fmac_f32 v51, v87, v176
	s_delay_alu instid0(VALU_DEP_3) | instskip(NEXT) | instid1(VALU_DEP_2)
	v_dual_fmac_f32 v2, v139, v175 :: v_dual_fmac_f32 v3, v89, v177
	v_dual_fmac_f32 v53, v142, v177 :: v_dual_fmac_f32 v52, v4, v176
	s_delay_alu instid0(VALU_DEP_3) | instskip(SKIP_1) | instid1(VALU_DEP_4)
	v_fmac_f32_e32 v51, v90, v177
	v_fmac_f32_e32 v1, v4, v175
	v_fma_f32 v2, -v140, v176, v2
	v_fmac_f32_e32 v54, v150, v177
	s_delay_alu instid0(VALU_DEP_4) | instskip(NEXT) | instid1(VALU_DEP_4)
	v_dual_fmac_f32 v52, v7, v177 :: v_dual_fmac_f32 v51, v89, v178
	v_fma_f32 v1, -v5, v176, v1
	s_delay_alu instid0(VALU_DEP_4) | instskip(SKIP_1) | instid1(VALU_DEP_4)
	v_fmac_f32_e32 v2, v141, v177
	v_fma_f32 v57, -v90, v178, v3
	v_fmac_f32_e32 v52, v6, v178
	v_fma_f32 v56, -v150, v178, v0
	v_dual_fmac_f32 v1, v6, v177 :: v_dual_fmac_f32 v54, v149, v178
	v_fma_f32 v55, -v142, v178, v2
	v_fmac_f32_e32 v53, v141, v178
	s_delay_alu instid0(VALU_DEP_3)
	v_fma_f32 v58, -v7, v178, v1
	s_and_not1_b32 exec_lo, exec_lo, s11
	s_cbranch_execnz .LBB54_29
; %bb.30:
	s_or_b32 exec_lo, exec_lo, s11
.LBB54_31:
	s_delay_alu instid0(SALU_CYCLE_1)
	s_or_b32 exec_lo, exec_lo, s10
.LBB54_32:
	s_delay_alu instid0(SALU_CYCLE_1) | instskip(NEXT) | instid1(SALU_CYCLE_1)
	s_or_b32 exec_lo, exec_lo, s7
	s_and_not1_b32 vcc_lo, exec_lo, s6
	s_cbranch_vccz .LBB54_34
	s_branch .LBB54_45
.LBB54_33:
                                        ; implicit-def: $vgpr51
                                        ; implicit-def: $vgpr57
                                        ; implicit-def: $vgpr55
                                        ; implicit-def: $vgpr53
                                        ; implicit-def: $vgpr56
                                        ; implicit-def: $vgpr54
                                        ; implicit-def: $vgpr58
                                        ; implicit-def: $vgpr52
.LBB54_34:
	v_dual_mov_b32 v51, 0 :: v_dual_mov_b32 v56, 0
	v_dual_mov_b32 v57, 0 :: v_dual_mov_b32 v54, 0
	;; [unrolled: 1-line block ×4, first 2 shown]
	s_and_saveexec_b32 s6, s2
	s_cbranch_execz .LBB54_44
; %bb.35:
	v_or_b32_e32 v0, 64, v50
	v_not_b32_e32 v3, v36
	v_not_b32_e32 v2, v37
	v_dual_mov_b32 v52, 0 :: v_dual_mov_b32 v55, 0
	s_delay_alu instid0(VALU_DEP_4) | instskip(NEXT) | instid1(VALU_DEP_1)
	v_sub_co_u32 v0, s2, v0, s12
	v_sub_co_ci_u32_e64 v1, null, 0, s3, s2
	v_sub_co_u32 v4, s2, s12, v50
	s_delay_alu instid0(VALU_DEP_3) | instskip(NEXT) | instid1(VALU_DEP_3)
	v_add_co_u32 v0, vcc_lo, v0, v36
	v_add_co_ci_u32_e32 v1, vcc_lo, v1, v37, vcc_lo
	v_sub_co_ci_u32_e64 v5, null, s3, 0, s2
	v_dual_mov_b32 v58, 0 :: v_dual_mov_b32 v57, 0
	s_delay_alu instid0(VALU_DEP_3)
	v_cmp_gt_i64_e32 vcc_lo, v[0:1], v[32:33]
	v_dual_mov_b32 v54, 0 :: v_dual_mov_b32 v51, 0
	v_mov_b32_e32 v56, 0
	s_mov_b32 s2, exec_lo
	v_mov_b32_e32 v53, 0
	v_dual_cndmask_b32 v1, v33, v1 :: v_dual_cndmask_b32 v0, v32, v0
	v_add_co_u32 v3, vcc_lo, v4, v3
	v_add_co_ci_u32_e32 v2, vcc_lo, v5, v2, vcc_lo
	s_delay_alu instid0(VALU_DEP_2) | instskip(NEXT) | instid1(VALU_DEP_2)
	v_add_co_u32 v0, vcc_lo, v3, v0
	v_add_co_ci_u32_e32 v1, vcc_lo, v2, v1, vcc_lo
	s_delay_alu instid0(VALU_DEP_2) | instskip(NEXT) | instid1(VALU_DEP_1)
	v_lshrrev_b32_e32 v2, 6, v0
	v_add_nc_u32_e32 v2, 1, v2
	s_delay_alu instid0(VALU_DEP_1) | instskip(NEXT) | instid1(VALU_DEP_1)
	v_and_b32_e32 v2, 3, v2
	v_cmpx_ne_u32_e32 0, v2
	s_cbranch_execz .LBB54_39
; %bb.36:
	v_lshlrev_b64 v[4:5], 3, v[30:31]
	v_dual_mov_b32 v3, 0 :: v_dual_lshlrev_b32 v2, 3, v2
	s_mov_b32 s7, 0
	s_delay_alu instid0(VALU_DEP_1) | instskip(NEXT) | instid1(VALU_DEP_3)
	v_mov_b32_e32 v51, v3
	v_add_co_u32 v4, vcc_lo, s8, v4
	s_delay_alu instid0(VALU_DEP_4)
	v_add_co_ci_u32_e32 v5, vcc_lo, s9, v5, vcc_lo
	v_mov_b32_e32 v57, v3
	v_mov_b32_e32 v55, v3
	;; [unrolled: 1-line block ×7, first 2 shown]
.LBB54_37:                              ; =>This Inner Loop Header: Depth=1
	global_load_b64 v[18:19], v[4:5], off
	s_clause 0x2
	global_load_b128 v[6:9], v[34:35], off offset:32
	global_load_b128 v[10:13], v[34:35], off offset:16
	global_load_b128 v[14:17], v[34:35], off
	s_waitcnt vmcnt(3)
	v_sub_co_u32 v18, vcc_lo, v18, s12
	v_subrev_co_ci_u32_e32 v19, vcc_lo, s3, v19, vcc_lo
	s_delay_alu instid0(VALU_DEP_1) | instskip(NEXT) | instid1(VALU_DEP_1)
	v_lshlrev_b64 v[18:19], 5, v[18:19]
	v_add_co_u32 v22, vcc_lo, s4, v18
	s_delay_alu instid0(VALU_DEP_2)
	v_add_co_ci_u32_e32 v23, vcc_lo, s5, v19, vcc_lo
	s_clause 0x1
	global_load_b128 v[18:21], v[22:23], off
	global_load_b128 v[22:25], v[22:23], off offset:16
	s_clause 0x4
	global_load_b128 v[36:39], v[34:35], off offset:48
	global_load_b128 v[40:43], v[34:35], off offset:64
	;; [unrolled: 1-line block ×5, first 2 shown]
	v_add_co_u32 v34, vcc_lo, 0x2000, v34
	v_add_co_ci_u32_e32 v35, vcc_lo, 0, v35, vcc_lo
	v_add_co_u32 v30, vcc_lo, v30, 64
	v_add_co_ci_u32_e32 v31, vcc_lo, 0, v31, vcc_lo
	v_add_co_u32 v2, vcc_lo, v2, -8
	v_add_co_ci_u32_e32 v3, vcc_lo, -1, v3, vcc_lo
	v_add_co_u32 v4, vcc_lo, 0x200, v4
	v_add_co_ci_u32_e32 v5, vcc_lo, 0, v5, vcc_lo
	s_delay_alu instid0(VALU_DEP_3)
	v_cmp_eq_u64_e32 vcc_lo, 0, v[2:3]
	s_or_b32 s7, vcc_lo, s7
	s_waitcnt vmcnt(6)
	v_fmac_f32_e32 v53, v13, v18
	v_fmac_f32_e32 v52, v17, v18
	v_fmac_f32_e32 v54, v11, v18
	v_fmac_f32_e32 v51, v15, v18
	s_delay_alu instid0(VALU_DEP_4) | instskip(NEXT) | instid1(VALU_DEP_4)
	v_fmac_f32_e32 v53, v12, v19
	v_dual_fmac_f32 v57, v14, v18 :: v_dual_fmac_f32 v52, v16, v19
	v_fmac_f32_e32 v55, v12, v18
	s_delay_alu instid0(VALU_DEP_2) | instskip(NEXT) | instid1(VALU_DEP_3)
	v_fma_f32 v15, -v15, v19, v57
	v_fmac_f32_e32 v52, v9, v20
	s_waitcnt vmcnt(4)
	v_fmac_f32_e32 v53, v39, v20
	s_delay_alu instid0(VALU_DEP_2)
	v_dual_fmac_f32 v15, v6, v20 :: v_dual_fmac_f32 v52, v8, v21
	v_fmac_f32_e32 v54, v10, v19
	v_dual_fmac_f32 v58, v16, v18 :: v_dual_fmac_f32 v51, v14, v19
	v_fmac_f32_e32 v56, v10, v18
	v_fma_f32 v10, -v13, v19, v55
	s_waitcnt vmcnt(3)
	v_dual_fmac_f32 v53, v38, v21 :: v_dual_fmac_f32 v52, v43, v22
	v_fma_f32 v14, -v17, v19, v58
	v_fmac_f32_e32 v51, v7, v20
	v_fma_f32 v11, -v11, v19, v56
	v_fmac_f32_e32 v54, v37, v20
	v_fma_f32 v7, -v7, v21, v15
	s_delay_alu instid0(VALU_DEP_4) | instskip(SKIP_1) | instid1(VALU_DEP_4)
	v_dual_fmac_f32 v14, v8, v20 :: v_dual_fmac_f32 v51, v6, v21
	v_fmac_f32_e32 v10, v38, v20
	v_fmac_f32_e32 v54, v36, v21
	s_delay_alu instid0(VALU_DEP_4) | instskip(NEXT) | instid1(VALU_DEP_4)
	v_fmac_f32_e32 v7, v40, v22
	v_fma_f32 v6, -v9, v21, v14
	v_fmac_f32_e32 v51, v41, v22
	v_fmac_f32_e32 v11, v36, v20
	v_fma_f32 v9, -v39, v21, v10
	s_waitcnt vmcnt(2)
	v_fmac_f32_e32 v53, v62, v22
	v_fmac_f32_e32 v6, v42, v22
	;; [unrolled: 1-line block ×3, first 2 shown]
	v_fma_f32 v8, -v37, v21, v11
	v_dual_fmac_f32 v9, v61, v22 :: v_dual_fmac_f32 v52, v42, v23
	v_fmac_f32_e32 v53, v61, v23
	s_delay_alu instid0(VALU_DEP_4) | instskip(NEXT) | instid1(VALU_DEP_4)
	v_fmac_f32_e32 v54, v59, v23
	v_dual_fmac_f32 v8, v59, v22 :: v_dual_fmac_f32 v51, v40, v23
	v_fma_f32 v7, -v41, v23, v7
	v_fma_f32 v6, -v43, v23, v6
	;; [unrolled: 1-line block ×3, first 2 shown]
	s_delay_alu instid0(VALU_DEP_4)
	v_fma_f32 v8, -v60, v23, v8
	s_waitcnt vmcnt(0)
	v_fmac_f32_e32 v54, v68, v24
	v_fmac_f32_e32 v53, v70, v24
	;; [unrolled: 1-line block ×7, first 2 shown]
	s_delay_alu instid0(VALU_DEP_4) | instskip(SKIP_2) | instid1(VALU_DEP_3)
	v_dual_fmac_f32 v7, v63, v24 :: v_dual_fmac_f32 v52, v65, v25
	v_fmac_f32_e32 v54, v67, v25
	v_dual_fmac_f32 v6, v65, v24 :: v_dual_fmac_f32 v51, v63, v25
	v_fma_f32 v57, -v64, v25, v7
	v_fma_f32 v56, -v68, v25, v8
	;; [unrolled: 1-line block ×3, first 2 shown]
	s_delay_alu instid0(VALU_DEP_4)
	v_fma_f32 v58, -v66, v25, v6
	s_and_not1_b32 exec_lo, exec_lo, s7
	s_cbranch_execnz .LBB54_37
; %bb.38:
	s_or_b32 exec_lo, exec_lo, s7
.LBB54_39:
	s_delay_alu instid0(SALU_CYCLE_1) | instskip(NEXT) | instid1(SALU_CYCLE_1)
	s_or_b32 exec_lo, exec_lo, s2
	s_mov_b32 s2, exec_lo
	v_cmpx_lt_u64_e32 0xbf, v[0:1]
	s_cbranch_execz .LBB54_43
; %bb.40:
	v_lshlrev_b64 v[0:1], 3, v[30:31]
	s_mov_b32 s7, 0
	s_delay_alu instid0(VALU_DEP_1) | instskip(NEXT) | instid1(VALU_DEP_2)
	v_add_co_u32 v0, vcc_lo, v0, s8
	v_add_co_ci_u32_e32 v1, vcc_lo, s9, v1, vcc_lo
	s_delay_alu instid0(VALU_DEP_2) | instskip(NEXT) | instid1(VALU_DEP_2)
	v_add_co_u32 v0, vcc_lo, 0x400, v0
	v_add_co_ci_u32_e32 v1, vcc_lo, 0, v1, vcc_lo
.LBB54_41:                              ; =>This Inner Loop Header: Depth=1
	s_clause 0x3
	global_load_b64 v[2:3], v[0:1], off offset:-1024
	global_load_b64 v[44:45], v[0:1], off offset:-512
	global_load_b64 v[135:136], v[0:1], off
	global_load_b64 v[137:138], v[0:1], off offset:512
	s_clause 0x7
	global_load_b128 v[4:7], v[34:35], off offset:48
	global_load_b128 v[8:11], v[34:35], off offset:32
	;; [unrolled: 1-line block ×3, first 2 shown]
	global_load_b128 v[16:19], v[34:35], off
	global_load_b128 v[20:23], v[34:35], off offset:112
	global_load_b128 v[24:27], v[34:35], off offset:96
	;; [unrolled: 1-line block ×4, first 2 shown]
	v_add_co_u32 v87, vcc_lo, 0x2000, v34
	v_add_co_ci_u32_e32 v88, vcc_lo, 0, v35, vcc_lo
	v_add_co_u32 v119, vcc_lo, 0x4000, v34
	v_add_co_ci_u32_e32 v120, vcc_lo, 0, v35, vcc_lo
	;; [unrolled: 2-line block ×3, first 2 shown]
	s_clause 0x12
	global_load_b128 v[59:62], v[87:88], off offset:48
	global_load_b128 v[63:66], v[87:88], off offset:32
	global_load_b128 v[67:70], v[87:88], off
	global_load_b128 v[71:74], v[87:88], off offset:16
	global_load_b128 v[75:78], v[87:88], off offset:112
	;; [unrolled: 1-line block ×7, first 2 shown]
	global_load_b128 v[99:102], v[119:120], off
	global_load_b128 v[103:106], v[119:120], off offset:16
	global_load_b128 v[107:110], v[119:120], off offset:112
	;; [unrolled: 1-line block ×5, first 2 shown]
	global_load_b128 v[123:126], v[143:144], off
	global_load_b128 v[127:130], v[143:144], off offset:48
	global_load_b128 v[131:134], v[143:144], off offset:32
	s_waitcnt vmcnt(30)
	v_sub_co_u32 v2, vcc_lo, v2, s12
	v_subrev_co_ci_u32_e32 v3, vcc_lo, s3, v3, vcc_lo
	s_waitcnt vmcnt(29)
	v_sub_co_u32 v44, vcc_lo, v44, s12
	v_subrev_co_ci_u32_e32 v45, vcc_lo, s3, v45, vcc_lo
	s_waitcnt vmcnt(28)
	v_sub_co_u32 v135, vcc_lo, v135, s12
	v_lshlrev_b64 v[2:3], 5, v[2:3]
	v_subrev_co_ci_u32_e32 v136, vcc_lo, s3, v136, vcc_lo
	s_waitcnt vmcnt(27)
	v_sub_co_u32 v137, vcc_lo, v137, s12
	v_lshlrev_b64 v[44:45], 5, v[44:45]
	v_subrev_co_ci_u32_e32 v138, vcc_lo, s3, v138, vcc_lo
	v_lshlrev_b64 v[135:136], 5, v[135:136]
	v_add_co_u32 v2, vcc_lo, s4, v2
	v_add_co_ci_u32_e32 v3, vcc_lo, s5, v3, vcc_lo
	s_delay_alu instid0(VALU_DEP_4)
	v_lshlrev_b64 v[137:138], 5, v[137:138]
	v_add_co_u32 v44, vcc_lo, s4, v44
	v_add_co_ci_u32_e32 v45, vcc_lo, s5, v45, vcc_lo
	v_add_co_u32 v145, vcc_lo, s4, v135
	v_add_co_ci_u32_e32 v146, vcc_lo, s5, v136, vcc_lo
	v_add_co_u32 v147, vcc_lo, s4, v137
	v_add_co_ci_u32_e32 v148, vcc_lo, s5, v138, vcc_lo
	s_clause 0x1
	global_load_b128 v[135:138], v[2:3], off
	global_load_b128 v[139:142], v[2:3], off offset:16
	v_add_co_u32 v30, vcc_lo, 0x100, v30
	v_add_co_ci_u32_e32 v31, vcc_lo, 0, v31, vcc_lo
	v_add_co_u32 v0, vcc_lo, 0x800, v0
	v_add_co_ci_u32_e32 v1, vcc_lo, 0, v1, vcc_lo
	;; [unrolled: 2-line block ×3, first 2 shown]
	v_cmp_ge_i64_e32 vcc_lo, v[30:31], v[32:33]
	s_or_b32 s7, vcc_lo, s7
	s_waitcnt vmcnt(1)
	v_fmac_f32_e32 v54, v13, v135
	v_fmac_f32_e32 v53, v15, v135
	v_fmac_f32_e32 v51, v17, v135
	v_fmac_f32_e32 v52, v19, v135
	s_delay_alu instid0(VALU_DEP_4) | instskip(NEXT) | instid1(VALU_DEP_4)
	v_fmac_f32_e32 v54, v12, v136
	v_fmac_f32_e32 v53, v14, v136
	s_delay_alu instid0(VALU_DEP_3) | instskip(SKIP_2) | instid1(VALU_DEP_3)
	v_dual_fmac_f32 v57, v16, v135 :: v_dual_fmac_f32 v52, v18, v136
	v_dual_fmac_f32 v58, v18, v135 :: v_dual_fmac_f32 v51, v16, v136
	v_fmac_f32_e32 v56, v12, v135
	v_fma_f32 v2, -v17, v136, v57
	v_fmac_f32_e32 v55, v14, v135
	s_delay_alu instid0(VALU_DEP_4)
	v_fma_f32 v3, -v19, v136, v58
	v_fmac_f32_e32 v51, v9, v137
	v_fma_f32 v56, -v13, v136, v56
	v_fmac_f32_e32 v2, v8, v137
	;; [unrolled: 2-line block ×3, first 2 shown]
	v_dual_fmac_f32 v52, v11, v137 :: v_dual_fmac_f32 v51, v8, v138
	s_delay_alu instid0(VALU_DEP_4) | instskip(SKIP_1) | instid1(VALU_DEP_4)
	v_fma_f32 v135, -v9, v138, v2
	v_fmac_f32_e32 v54, v5, v137
	v_fma_f32 v136, -v11, v138, v3
	v_fmac_f32_e32 v53, v7, v137
	s_clause 0x1
	global_load_b128 v[16:19], v[143:144], off offset:16
	global_load_b128 v[12:15], v[143:144], off offset:64
	s_waitcnt vmcnt(2)
	v_fmac_f32_e32 v135, v40, v139
	v_dual_fmac_f32 v55, v6, v137 :: v_dual_fmac_f32 v54, v4, v138
	v_fmac_f32_e32 v136, v42, v139
	v_dual_fmac_f32 v56, v4, v137 :: v_dual_fmac_f32 v53, v6, v138
	v_fmac_f32_e32 v52, v10, v138
	global_load_b128 v[8:11], v[143:144], off offset:80
	v_fma_f32 v7, -v7, v138, v55
	v_fma_f32 v149, -v5, v138, v56
	s_clause 0x1
	global_load_b128 v[2:5], v[44:45], off
	global_load_b128 v[55:58], v[44:45], off offset:16
	v_fmac_f32_e32 v52, v43, v139
	v_fmac_f32_e32 v51, v41, v139
	v_fma_f32 v6, -v41, v140, v135
	v_fma_f32 v44, -v43, v140, v136
	s_delay_alu instid0(VALU_DEP_4) | instskip(NEXT) | instid1(VALU_DEP_4)
	v_dual_fmac_f32 v53, v39, v139 :: v_dual_fmac_f32 v52, v42, v140
	v_fmac_f32_e32 v51, v40, v140
	s_delay_alu instid0(VALU_DEP_4)
	v_fmac_f32_e32 v6, v24, v141
	s_clause 0x1
	global_load_b128 v[40:43], v[145:146], off
	global_load_b128 v[135:138], v[145:146], off offset:16
	v_dual_fmac_f32 v149, v36, v139 :: v_dual_fmac_f32 v44, v26, v141
	v_dual_fmac_f32 v54, v37, v139 :: v_dual_fmac_f32 v53, v38, v140
	v_fmac_f32_e32 v7, v38, v139
	s_delay_alu instid0(VALU_DEP_3) | instskip(SKIP_1) | instid1(VALU_DEP_4)
	v_fma_f32 v45, -v37, v140, v149
	v_fmac_f32_e32 v52, v27, v141
	v_dual_fmac_f32 v54, v36, v140 :: v_dual_fmac_f32 v51, v25, v141
	s_delay_alu instid0(VALU_DEP_4)
	v_fma_f32 v7, -v39, v140, v7
	global_load_b128 v[36:39], v[147:148], off
	v_fma_f32 v6, -v25, v142, v6
	v_fma_f32 v44, -v27, v142, v44
	v_fmac_f32_e32 v52, v26, v142
	v_fmac_f32_e32 v51, v24, v142
	global_load_b128 v[24:27], v[147:148], off offset:16
	v_fmac_f32_e32 v53, v23, v141
	s_waitcnt vmcnt(5)
	v_dual_fmac_f32 v45, v20, v141 :: v_dual_fmac_f32 v6, v67, v2
	v_fmac_f32_e32 v44, v69, v2
	s_delay_alu instid0(VALU_DEP_3) | instskip(SKIP_1) | instid1(VALU_DEP_4)
	v_dual_fmac_f32 v54, v21, v141 :: v_dual_fmac_f32 v53, v22, v142
	v_fmac_f32_e32 v7, v22, v141
	v_fma_f32 v45, -v21, v142, v45
	v_fmac_f32_e32 v52, v70, v2
	s_delay_alu instid0(VALU_DEP_4)
	v_fmac_f32_e32 v54, v20, v142
	v_fmac_f32_e32 v51, v68, v2
	v_fma_f32 v7, -v23, v142, v7
	s_clause 0x1
	global_load_b128 v[20:23], v[143:144], off offset:96
	global_load_b128 v[139:142], v[143:144], off offset:112
	v_dual_fmac_f32 v52, v69, v3 :: v_dual_fmac_f32 v53, v74, v2
	v_fmac_f32_e32 v45, v71, v2
	v_dual_fmac_f32 v54, v72, v2 :: v_dual_fmac_f32 v51, v67, v3
	s_delay_alu instid0(VALU_DEP_3) | instskip(NEXT) | instid1(VALU_DEP_2)
	v_dual_fmac_f32 v52, v66, v4 :: v_dual_fmac_f32 v53, v73, v3
	v_dual_fmac_f32 v7, v73, v2 :: v_dual_fmac_f32 v54, v71, v3
	v_fma_f32 v2, -v68, v3, v6
	v_fma_f32 v6, -v70, v3, v44
	s_delay_alu instid0(VALU_DEP_4) | instskip(NEXT) | instid1(VALU_DEP_4)
	v_dual_fmac_f32 v51, v64, v4 :: v_dual_fmac_f32 v52, v65, v5
	v_fma_f32 v7, -v74, v3, v7
	s_delay_alu instid0(VALU_DEP_4) | instskip(NEXT) | instid1(VALU_DEP_4)
	v_fmac_f32_e32 v2, v63, v4
	v_fmac_f32_e32 v6, v65, v4
	v_fma_f32 v44, -v72, v3, v45
	s_waitcnt vmcnt(6)
	v_dual_fmac_f32 v51, v63, v5 :: v_dual_fmac_f32 v52, v90, v55
	v_fma_f32 v2, -v64, v5, v2
	v_fma_f32 v3, -v66, v5, v6
	v_fmac_f32_e32 v54, v60, v4
	v_fmac_f32_e32 v53, v62, v4
	v_dual_fmac_f32 v51, v88, v55 :: v_dual_fmac_f32 v52, v89, v56
	v_fmac_f32_e32 v2, v87, v55
	s_delay_alu instid0(VALU_DEP_3) | instskip(SKIP_2) | instid1(VALU_DEP_3)
	v_dual_fmac_f32 v44, v59, v4 :: v_dual_fmac_f32 v53, v61, v5
	v_fmac_f32_e32 v3, v89, v55
	v_dual_fmac_f32 v7, v61, v4 :: v_dual_fmac_f32 v54, v59, v5
	v_fma_f32 v4, -v60, v5, v44
	v_fmac_f32_e32 v51, v87, v56
	s_delay_alu instid0(VALU_DEP_4) | instskip(NEXT) | instid1(VALU_DEP_4)
	v_fma_f32 v3, -v90, v56, v3
	v_fma_f32 v6, -v62, v5, v7
	v_fmac_f32_e32 v54, v84, v55
	v_fma_f32 v2, -v88, v56, v2
	v_fmac_f32_e32 v51, v80, v57
	v_fmac_f32_e32 v3, v81, v57
	;; [unrolled: 1-line block ×3, first 2 shown]
	v_dual_fmac_f32 v53, v86, v55 :: v_dual_fmac_f32 v54, v83, v56
	v_fmac_f32_e32 v4, v83, v55
	v_dual_fmac_f32 v52, v82, v57 :: v_dual_fmac_f32 v51, v79, v58
	s_delay_alu instid0(VALU_DEP_4) | instskip(NEXT) | instid1(VALU_DEP_4)
	v_fma_f32 v5, -v86, v56, v6
	v_fmac_f32_e32 v53, v85, v56
	s_delay_alu instid0(VALU_DEP_4) | instskip(SKIP_2) | instid1(VALU_DEP_4)
	v_fma_f32 v4, -v84, v56, v4
	v_fma_f32 v3, -v82, v58, v3
	v_fmac_f32_e32 v54, v76, v57
	v_dual_fmac_f32 v52, v81, v58 :: v_dual_fmac_f32 v53, v78, v57
	v_fmac_f32_e32 v2, v79, v57
	s_waitcnt vmcnt(5)
	v_dual_fmac_f32 v4, v75, v57 :: v_dual_fmac_f32 v51, v100, v40
	v_fmac_f32_e32 v3, v101, v40
	v_dual_fmac_f32 v5, v77, v57 :: v_dual_fmac_f32 v54, v75, v58
	s_delay_alu instid0(VALU_DEP_3) | instskip(SKIP_2) | instid1(VALU_DEP_4)
	v_fma_f32 v4, -v76, v58, v4
	v_fmac_f32_e32 v53, v77, v58
	v_fma_f32 v2, -v80, v58, v2
	v_fma_f32 v5, -v78, v58, v5
	v_dual_fmac_f32 v52, v102, v40 :: v_dual_fmac_f32 v51, v99, v41
	v_fma_f32 v3, -v102, v41, v3
	v_fmac_f32_e32 v54, v104, v40
	v_fmac_f32_e32 v4, v103, v40
	s_delay_alu instid0(VALU_DEP_4) | instskip(SKIP_2) | instid1(VALU_DEP_3)
	v_dual_fmac_f32 v53, v106, v40 :: v_dual_fmac_f32 v52, v101, v41
	v_dual_fmac_f32 v2, v99, v40 :: v_dual_fmac_f32 v51, v96, v42
	v_fmac_f32_e32 v3, v97, v42
	v_fmac_f32_e32 v53, v105, v41
	v_dual_fmac_f32 v5, v105, v40 :: v_dual_fmac_f32 v54, v103, v41
	s_delay_alu instid0(VALU_DEP_4) | instskip(SKIP_2) | instid1(VALU_DEP_4)
	v_fma_f32 v2, -v100, v41, v2
	v_fma_f32 v4, -v104, v41, v4
	v_dual_fmac_f32 v52, v98, v42 :: v_dual_fmac_f32 v51, v95, v43
	v_fma_f32 v5, -v106, v41, v5
	v_fma_f32 v3, -v98, v43, v3
	v_fmac_f32_e32 v54, v92, v42
	s_waitcnt vmcnt(4)
	v_dual_fmac_f32 v4, v91, v42 :: v_dual_fmac_f32 v51, v120, v135
	v_dual_fmac_f32 v53, v94, v42 :: v_dual_fmac_f32 v52, v97, v43
	;; [unrolled: 1-line block ×4, first 2 shown]
	s_delay_alu instid0(VALU_DEP_4) | instskip(NEXT) | instid1(VALU_DEP_4)
	v_fma_f32 v4, -v92, v43, v4
	v_fmac_f32_e32 v53, v93, v43
	s_delay_alu instid0(VALU_DEP_4) | instskip(NEXT) | instid1(VALU_DEP_4)
	v_fma_f32 v2, -v96, v43, v2
	v_fma_f32 v5, -v94, v43, v5
	v_dual_fmac_f32 v52, v122, v135 :: v_dual_fmac_f32 v51, v119, v136
	v_fma_f32 v3, -v122, v136, v3
	v_fmac_f32_e32 v54, v116, v135
	v_fmac_f32_e32 v4, v115, v135
	s_delay_alu instid0(VALU_DEP_4) | instskip(SKIP_2) | instid1(VALU_DEP_3)
	v_dual_fmac_f32 v53, v118, v135 :: v_dual_fmac_f32 v52, v121, v136
	v_dual_fmac_f32 v2, v119, v135 :: v_dual_fmac_f32 v51, v112, v137
	v_fmac_f32_e32 v3, v113, v137
	v_fmac_f32_e32 v53, v117, v136
	v_dual_fmac_f32 v5, v117, v135 :: v_dual_fmac_f32 v54, v115, v136
	s_delay_alu instid0(VALU_DEP_4) | instskip(SKIP_2) | instid1(VALU_DEP_4)
	v_fma_f32 v2, -v120, v136, v2
	v_fma_f32 v4, -v116, v136, v4
	v_dual_fmac_f32 v52, v114, v137 :: v_dual_fmac_f32 v51, v111, v138
	v_fma_f32 v5, -v118, v136, v5
	v_fma_f32 v3, -v114, v138, v3
	v_fmac_f32_e32 v54, v108, v137
	s_waitcnt vmcnt(3)
	v_dual_fmac_f32 v4, v107, v137 :: v_dual_fmac_f32 v51, v124, v36
	v_dual_fmac_f32 v53, v110, v137 :: v_dual_fmac_f32 v52, v113, v138
	v_dual_fmac_f32 v2, v111, v137 :: v_dual_fmac_f32 v3, v125, v36
	v_dual_fmac_f32 v5, v109, v137 :: v_dual_fmac_f32 v54, v107, v138
	s_delay_alu instid0(VALU_DEP_4) | instskip(NEXT) | instid1(VALU_DEP_4)
	v_fma_f32 v4, -v108, v138, v4
	v_fmac_f32_e32 v53, v109, v138
	s_delay_alu instid0(VALU_DEP_4) | instskip(NEXT) | instid1(VALU_DEP_4)
	v_fma_f32 v2, -v112, v138, v2
	v_fma_f32 v5, -v110, v138, v5
	v_dual_fmac_f32 v52, v126, v36 :: v_dual_fmac_f32 v51, v123, v37
	v_fmac_f32_e32 v54, v17, v36
	v_fma_f32 v3, -v126, v37, v3
	v_fmac_f32_e32 v4, v16, v36
	s_delay_alu instid0(VALU_DEP_4) | instskip(SKIP_4) | instid1(VALU_DEP_3)
	v_dual_fmac_f32 v5, v18, v36 :: v_dual_fmac_f32 v52, v125, v37
	v_fmac_f32_e32 v51, v132, v38
	v_dual_fmac_f32 v53, v19, v36 :: v_dual_fmac_f32 v54, v16, v37
	v_dual_fmac_f32 v2, v123, v36 :: v_dual_fmac_f32 v3, v133, v38
	v_fma_f32 v4, -v17, v37, v4
	v_fmac_f32_e32 v53, v18, v37
	v_fma_f32 v5, -v19, v37, v5
	s_delay_alu instid0(VALU_DEP_4) | instskip(SKIP_4) | instid1(VALU_DEP_4)
	v_fma_f32 v2, -v124, v37, v2
	v_dual_fmac_f32 v52, v134, v38 :: v_dual_fmac_f32 v51, v131, v39
	v_fma_f32 v3, -v134, v39, v3
	v_fmac_f32_e32 v54, v128, v38
	v_fmac_f32_e32 v4, v127, v38
	v_dual_fmac_f32 v53, v130, v38 :: v_dual_fmac_f32 v52, v133, v39
	s_waitcnt vmcnt(2)
	v_dual_fmac_f32 v2, v131, v38 :: v_dual_fmac_f32 v3, v14, v24
	v_dual_fmac_f32 v5, v129, v38 :: v_dual_fmac_f32 v54, v127, v39
	s_delay_alu instid0(VALU_DEP_3) | instskip(NEXT) | instid1(VALU_DEP_3)
	v_fmac_f32_e32 v53, v129, v39
	v_fma_f32 v2, -v132, v39, v2
	v_fmac_f32_e32 v51, v13, v24
	v_fma_f32 v4, -v128, v39, v4
	v_fma_f32 v5, -v130, v39, v5
	v_fmac_f32_e32 v52, v15, v24
	v_fma_f32 v3, -v15, v25, v3
	v_dual_fmac_f32 v51, v12, v25 :: v_dual_fmac_f32 v54, v9, v24
	v_fmac_f32_e32 v4, v8, v24
	s_delay_alu instid0(VALU_DEP_4) | instskip(NEXT) | instid1(VALU_DEP_1)
	v_dual_fmac_f32 v53, v11, v24 :: v_dual_fmac_f32 v52, v14, v25
	v_dual_fmac_f32 v2, v12, v24 :: v_dual_fmac_f32 v53, v10, v25
	s_delay_alu instid0(VALU_DEP_1)
	v_fma_f32 v2, -v13, v25, v2
	s_waitcnt vmcnt(1)
	v_fmac_f32_e32 v3, v22, v26
	v_dual_fmac_f32 v5, v10, v24 :: v_dual_fmac_f32 v54, v8, v25
	v_fmac_f32_e32 v51, v21, v26
	v_fma_f32 v4, -v9, v25, v4
	v_fmac_f32_e32 v52, v23, v26
	s_delay_alu instid0(VALU_DEP_4)
	v_fma_f32 v5, -v11, v25, v5
	s_waitcnt vmcnt(0)
	v_fmac_f32_e32 v54, v140, v26
	v_dual_fmac_f32 v51, v20, v27 :: v_dual_fmac_f32 v4, v139, v26
	v_fmac_f32_e32 v53, v142, v26
	v_dual_fmac_f32 v5, v141, v26 :: v_dual_fmac_f32 v52, v22, v27
	s_delay_alu instid0(VALU_DEP_4) | instskip(NEXT) | instid1(VALU_DEP_3)
	v_fmac_f32_e32 v54, v139, v27
	v_dual_fmac_f32 v2, v20, v26 :: v_dual_fmac_f32 v53, v141, v27
	v_fma_f32 v58, -v23, v27, v3
	v_fma_f32 v56, -v140, v27, v4
	;; [unrolled: 1-line block ×3, first 2 shown]
	s_delay_alu instid0(VALU_DEP_4)
	v_fma_f32 v57, -v21, v27, v2
	s_and_not1_b32 exec_lo, exec_lo, s7
	s_cbranch_execnz .LBB54_41
; %bb.42:
	s_or_b32 exec_lo, exec_lo, s7
.LBB54_43:
	s_delay_alu instid0(SALU_CYCLE_1)
	s_or_b32 exec_lo, exec_lo, s2
.LBB54_44:
	s_delay_alu instid0(SALU_CYCLE_1)
	s_or_b32 exec_lo, exec_lo, s6
.LBB54_45:
	v_mbcnt_lo_u32_b32 v0, -1, 0
	s_delay_alu instid0(VALU_DEP_1) | instskip(SKIP_2) | instid1(VALU_DEP_3)
	v_or_b32_e32 v1, 32, v0
	v_xor_b32_e32 v9, 16, v0
	v_xor_b32_e32 v17, 8, v0
	v_cmp_gt_i32_e32 vcc_lo, 32, v1
	v_cndmask_b32_e32 v1, v0, v1, vcc_lo
	s_delay_alu instid0(VALU_DEP_4) | instskip(NEXT) | instid1(VALU_DEP_2)
	v_cmp_gt_i32_e32 vcc_lo, 32, v9
	v_lshlrev_b32_e32 v1, 2, v1
	ds_bpermute_b32 v4, v1, v58
	s_waitcnt lgkmcnt(0)
	v_add_f32_e32 v4, v58, v4
	ds_bpermute_b32 v2, v1, v57
	ds_bpermute_b32 v8, v1, v55
	;; [unrolled: 1-line block ×3, first 2 shown]
	v_cndmask_b32_e32 v9, v0, v9, vcc_lo
	ds_bpermute_b32 v3, v1, v51
	ds_bpermute_b32 v5, v1, v52
	;; [unrolled: 1-line block ×4, first 2 shown]
	v_cmp_gt_i32_e32 vcc_lo, 32, v17
	s_waitcnt lgkmcnt(6)
	v_dual_cndmask_b32 v17, v0, v17 :: v_dual_add_f32 v2, v57, v2
	s_waitcnt lgkmcnt(5)
	v_dual_add_f32 v8, v55, v8 :: v_dual_lshlrev_b32 v9, 2, v9
	s_waitcnt lgkmcnt(4)
	v_add_f32_e32 v6, v56, v6
	ds_bpermute_b32 v10, v9, v2
	s_waitcnt lgkmcnt(4)
	v_add_f32_e32 v3, v51, v3
	ds_bpermute_b32 v12, v9, v4
	ds_bpermute_b32 v14, v9, v6
	;; [unrolled: 1-line block ×3, first 2 shown]
	s_waitcnt lgkmcnt(6)
	v_add_f32_e32 v5, v52, v5
	s_waitcnt lgkmcnt(5)
	v_add_f32_e32 v7, v54, v7
	s_waitcnt lgkmcnt(3)
	v_dual_add_f32 v1, v53, v1 :: v_dual_add_f32 v2, v2, v10
	ds_bpermute_b32 v11, v9, v3
	s_waitcnt lgkmcnt(3)
	v_dual_add_f32 v4, v4, v12 :: v_dual_lshlrev_b32 v17, 2, v17
	ds_bpermute_b32 v15, v9, v7
	s_waitcnt lgkmcnt(3)
	v_add_f32_e32 v6, v6, v14
	ds_bpermute_b32 v13, v9, v5
	s_waitcnt lgkmcnt(3)
	v_add_f32_e32 v8, v8, v16
	ds_bpermute_b32 v9, v9, v1
	s_waitcnt lgkmcnt(3)
	v_add_f32_e32 v3, v3, v11
	ds_bpermute_b32 v11, v17, v4
	s_waitcnt lgkmcnt(3)
	v_add_f32_e32 v7, v7, v15
	s_waitcnt lgkmcnt(0)
	v_dual_add_f32 v4, v4, v11 :: v_dual_add_f32 v1, v1, v9
	ds_bpermute_b32 v9, v17, v2
	ds_bpermute_b32 v15, v17, v8
	v_add_f32_e32 v5, v5, v13
	ds_bpermute_b32 v13, v17, v6
	ds_bpermute_b32 v16, v17, v1
	s_waitcnt lgkmcnt(3)
	v_add_f32_e32 v2, v2, v9
	s_waitcnt lgkmcnt(2)
	v_add_f32_e32 v8, v8, v15
	ds_bpermute_b32 v10, v17, v3
	ds_bpermute_b32 v12, v17, v5
	s_waitcnt lgkmcnt(3)
	v_add_f32_e32 v6, v6, v13
	ds_bpermute_b32 v14, v17, v7
	v_xor_b32_e32 v17, 4, v0
	s_delay_alu instid0(VALU_DEP_1) | instskip(SKIP_1) | instid1(VALU_DEP_1)
	v_cmp_gt_i32_e32 vcc_lo, 32, v17
	v_cndmask_b32_e32 v17, v0, v17, vcc_lo
	v_lshlrev_b32_e32 v17, 2, v17
	s_waitcnt lgkmcnt(0)
	v_add_f32_e32 v7, v7, v14
	ds_bpermute_b32 v15, v17, v8
	s_waitcnt lgkmcnt(0)
	v_add_f32_e32 v8, v8, v15
	ds_bpermute_b32 v11, v17, v4
	ds_bpermute_b32 v9, v17, v2
	;; [unrolled: 1-line block ×3, first 2 shown]
	v_add_f32_e32 v3, v3, v10
	v_add_f32_e32 v5, v5, v12
	ds_bpermute_b32 v14, v17, v7
	s_waitcnt lgkmcnt(3)
	v_dual_add_f32 v4, v4, v11 :: v_dual_add_f32 v1, v1, v16
	s_waitcnt lgkmcnt(2)
	v_add_f32_e32 v2, v2, v9
	ds_bpermute_b32 v10, v17, v3
	s_waitcnt lgkmcnt(2)
	v_add_f32_e32 v6, v6, v13
	ds_bpermute_b32 v12, v17, v5
	ds_bpermute_b32 v16, v17, v1
	v_xor_b32_e32 v17, 2, v0
	s_waitcnt lgkmcnt(3)
	v_add_f32_e32 v7, v7, v14
	s_delay_alu instid0(VALU_DEP_2) | instskip(SKIP_1) | instid1(VALU_DEP_1)
	v_cmp_gt_i32_e32 vcc_lo, 32, v17
	v_cndmask_b32_e32 v17, v0, v17, vcc_lo
	v_lshlrev_b32_e32 v17, 2, v17
	s_waitcnt lgkmcnt(0)
	v_add_f32_e32 v9, v1, v16
	ds_bpermute_b32 v1, v17, v2
	v_add_f32_e32 v3, v3, v10
	ds_bpermute_b32 v13, v17, v6
	;; [unrolled: 2-line block ×3, first 2 shown]
	ds_bpermute_b32 v14, v17, v7
	ds_bpermute_b32 v10, v17, v3
	;; [unrolled: 1-line block ×5, first 2 shown]
	v_xor_b32_e32 v17, 1, v0
	s_delay_alu instid0(VALU_DEP_1) | instskip(SKIP_3) | instid1(VALU_DEP_2)
	v_cmp_gt_i32_e32 vcc_lo, 32, v17
	v_cndmask_b32_e32 v0, v0, v17, vcc_lo
	v_cmp_eq_u32_e32 vcc_lo, 63, v50
	s_waitcnt lgkmcnt(7)
	v_dual_add_f32 v0, v2, v1 :: v_dual_lshlrev_b32 v17, 2, v0
	s_waitcnt lgkmcnt(3)
	v_dual_add_f32 v1, v3, v10 :: v_dual_add_f32 v2, v4, v11
	s_waitcnt lgkmcnt(1)
	v_dual_add_f32 v4, v6, v13 :: v_dual_add_f32 v3, v5, v12
	v_dual_add_f32 v5, v7, v14 :: v_dual_add_f32 v6, v8, v15
	s_waitcnt lgkmcnt(0)
	v_add_f32_e32 v7, v9, v16
	ds_bpermute_b32 v8, v17, v0
	ds_bpermute_b32 v9, v17, v1
	;; [unrolled: 1-line block ×8, first 2 shown]
	s_and_b32 exec_lo, exec_lo, vcc_lo
	s_cbranch_execz .LBB54_13
; %bb.46:
	s_load_b64 s[2:3], s[0:1], 0x58
	s_waitcnt lgkmcnt(0)
	v_add_f32_e32 v8, v0, v8
	v_add_f32_e32 v0, v1, v9
	v_dual_add_f32 v10, v2, v10 :: v_dual_add_f32 v1, v3, v11
	v_add_f32_e32 v3, v7, v15
	v_dual_add_f32 v11, v4, v12 :: v_dual_add_f32 v2, v5, v13
	s_delay_alu instid0(VALU_DEP_4)
	v_mul_f32_e32 v5, v0, v48
	v_mul_f32_e64 v4, v0, -v49
	v_dual_add_f32 v12, v6, v14 :: v_dual_mul_f32 v7, v1, v48
	v_mul_f32_e64 v6, v1, -v49
	v_mul_f32_e64 v0, v2, -v49
	v_mul_f32_e32 v1, v2, v48
	v_mul_f32_e64 v2, v3, -v49
	v_mul_f32_e32 v3, v3, v48
	v_cmp_eq_f32_e32 vcc_lo, 0, v46
	v_fmac_f32_e32 v0, v48, v11
	v_cmp_eq_f32_e64 s0, 0, v47
	v_dual_fmac_f32 v4, v48, v8 :: v_dual_fmac_f32 v7, v49, v10
	v_fmac_f32_e32 v5, v49, v8
	v_lshlrev_b64 v[8:9], 5, v[28:29]
	v_dual_fmac_f32 v6, v48, v10 :: v_dual_fmac_f32 v1, v49, v11
	v_fmac_f32_e32 v2, v48, v12
	v_fmac_f32_e32 v3, v49, v12
	s_and_b32 s0, vcc_lo, s0
	s_delay_alu instid0(SALU_CYCLE_1) | instskip(NEXT) | instid1(SALU_CYCLE_1)
	s_and_saveexec_b32 s1, s0
	s_xor_b32 s0, exec_lo, s1
; %bb.47:
	v_add_co_u32 v8, vcc_lo, s2, v8
	v_add_co_ci_u32_e32 v9, vcc_lo, s3, v9, vcc_lo
                                        ; implicit-def: $vgpr46
                                        ; implicit-def: $vgpr47
	s_clause 0x1
	global_store_b128 v[8:9], v[4:7], off
	global_store_b128 v[8:9], v[0:3], off offset:16
                                        ; implicit-def: $vgpr4
                                        ; implicit-def: $vgpr8_vgpr9
                                        ; implicit-def: $vgpr0
; %bb.48:
	s_and_not1_saveexec_b32 s0, s0
	s_cbranch_execz .LBB54_13
; %bb.49:
	v_add_co_u32 v16, vcc_lo, s2, v8
	v_add_co_ci_u32_e32 v17, vcc_lo, s3, v9, vcc_lo
	s_clause 0x1
	global_load_b128 v[8:11], v[16:17], off
	global_load_b128 v[12:15], v[16:17], off offset:16
	s_waitcnt vmcnt(1)
	v_dual_fmac_f32 v4, v46, v8 :: v_dual_fmac_f32 v7, v47, v10
	v_dual_fmac_f32 v5, v47, v8 :: v_dual_fmac_f32 v6, v46, v10
	s_waitcnt vmcnt(0)
	v_dual_fmac_f32 v0, v46, v12 :: v_dual_fmac_f32 v3, v47, v14
	v_dual_fmac_f32 v1, v47, v12 :: v_dual_fmac_f32 v2, v46, v14
	v_fma_f32 v4, -v47, v9, v4
	v_fmac_f32_e32 v5, v46, v9
	v_fma_f32 v6, -v47, v11, v6
	v_fmac_f32_e32 v7, v46, v11
	;; [unrolled: 2-line block ×4, first 2 shown]
	s_clause 0x1
	global_store_b128 v[16:17], v[4:7], off
	global_store_b128 v[16:17], v[0:3], off offset:16
	s_nop 0
	s_sendmsg sendmsg(MSG_DEALLOC_VGPRS)
	s_endpgm
	.section	.rodata,"a",@progbits
	.p2align	6, 0x0
	.amdhsa_kernel _ZN9rocsparseL18bsrxmvn_4x4_kernelILj128ELj64E21rocsparse_complex_numIfEllS2_S2_S2_EEvT3_20rocsparse_direction_NS_24const_host_device_scalarIT1_EES3_PKS3_PKT2_SC_S9_PKT4_PKT5_S7_PT6_21rocsparse_index_base_b
		.amdhsa_group_segment_fixed_size 0
		.amdhsa_private_segment_fixed_size 0
		.amdhsa_kernarg_size 104
		.amdhsa_user_sgpr_count 15
		.amdhsa_user_sgpr_dispatch_ptr 0
		.amdhsa_user_sgpr_queue_ptr 0
		.amdhsa_user_sgpr_kernarg_segment_ptr 1
		.amdhsa_user_sgpr_dispatch_id 0
		.amdhsa_user_sgpr_private_segment_size 0
		.amdhsa_wavefront_size32 1
		.amdhsa_uses_dynamic_stack 0
		.amdhsa_enable_private_segment 0
		.amdhsa_system_sgpr_workgroup_id_x 1
		.amdhsa_system_sgpr_workgroup_id_y 0
		.amdhsa_system_sgpr_workgroup_id_z 0
		.amdhsa_system_sgpr_workgroup_info 0
		.amdhsa_system_vgpr_workitem_id 0
		.amdhsa_next_free_vgpr 179
		.amdhsa_next_free_sgpr 16
		.amdhsa_reserve_vcc 1
		.amdhsa_float_round_mode_32 0
		.amdhsa_float_round_mode_16_64 0
		.amdhsa_float_denorm_mode_32 3
		.amdhsa_float_denorm_mode_16_64 3
		.amdhsa_dx10_clamp 1
		.amdhsa_ieee_mode 1
		.amdhsa_fp16_overflow 0
		.amdhsa_workgroup_processor_mode 1
		.amdhsa_memory_ordered 1
		.amdhsa_forward_progress 0
		.amdhsa_shared_vgpr_count 0
		.amdhsa_exception_fp_ieee_invalid_op 0
		.amdhsa_exception_fp_denorm_src 0
		.amdhsa_exception_fp_ieee_div_zero 0
		.amdhsa_exception_fp_ieee_overflow 0
		.amdhsa_exception_fp_ieee_underflow 0
		.amdhsa_exception_fp_ieee_inexact 0
		.amdhsa_exception_int_div_zero 0
	.end_amdhsa_kernel
	.section	.text._ZN9rocsparseL18bsrxmvn_4x4_kernelILj128ELj64E21rocsparse_complex_numIfEllS2_S2_S2_EEvT3_20rocsparse_direction_NS_24const_host_device_scalarIT1_EES3_PKS3_PKT2_SC_S9_PKT4_PKT5_S7_PT6_21rocsparse_index_base_b,"axG",@progbits,_ZN9rocsparseL18bsrxmvn_4x4_kernelILj128ELj64E21rocsparse_complex_numIfEllS2_S2_S2_EEvT3_20rocsparse_direction_NS_24const_host_device_scalarIT1_EES3_PKS3_PKT2_SC_S9_PKT4_PKT5_S7_PT6_21rocsparse_index_base_b,comdat
.Lfunc_end54:
	.size	_ZN9rocsparseL18bsrxmvn_4x4_kernelILj128ELj64E21rocsparse_complex_numIfEllS2_S2_S2_EEvT3_20rocsparse_direction_NS_24const_host_device_scalarIT1_EES3_PKS3_PKT2_SC_S9_PKT4_PKT5_S7_PT6_21rocsparse_index_base_b, .Lfunc_end54-_ZN9rocsparseL18bsrxmvn_4x4_kernelILj128ELj64E21rocsparse_complex_numIfEllS2_S2_S2_EEvT3_20rocsparse_direction_NS_24const_host_device_scalarIT1_EES3_PKS3_PKT2_SC_S9_PKT4_PKT5_S7_PT6_21rocsparse_index_base_b
                                        ; -- End function
	.section	.AMDGPU.csdata,"",@progbits
; Kernel info:
; codeLenInByte = 8004
; NumSgprs: 18
; NumVgprs: 179
; ScratchSize: 0
; MemoryBound: 0
; FloatMode: 240
; IeeeMode: 1
; LDSByteSize: 0 bytes/workgroup (compile time only)
; SGPRBlocks: 2
; VGPRBlocks: 22
; NumSGPRsForWavesPerEU: 18
; NumVGPRsForWavesPerEU: 179
; Occupancy: 8
; WaveLimiterHint : 1
; COMPUTE_PGM_RSRC2:SCRATCH_EN: 0
; COMPUTE_PGM_RSRC2:USER_SGPR: 15
; COMPUTE_PGM_RSRC2:TRAP_HANDLER: 0
; COMPUTE_PGM_RSRC2:TGID_X_EN: 1
; COMPUTE_PGM_RSRC2:TGID_Y_EN: 0
; COMPUTE_PGM_RSRC2:TGID_Z_EN: 0
; COMPUTE_PGM_RSRC2:TIDIG_COMP_CNT: 0
	.section	.text._ZN9rocsparseL18bsrxmvn_4x4_kernelILj128ELj4E21rocsparse_complex_numIdEllS2_S2_S2_EEvT3_20rocsparse_direction_NS_24const_host_device_scalarIT1_EES3_PKS3_PKT2_SC_S9_PKT4_PKT5_S7_PT6_21rocsparse_index_base_b,"axG",@progbits,_ZN9rocsparseL18bsrxmvn_4x4_kernelILj128ELj4E21rocsparse_complex_numIdEllS2_S2_S2_EEvT3_20rocsparse_direction_NS_24const_host_device_scalarIT1_EES3_PKS3_PKT2_SC_S9_PKT4_PKT5_S7_PT6_21rocsparse_index_base_b,comdat
	.globl	_ZN9rocsparseL18bsrxmvn_4x4_kernelILj128ELj4E21rocsparse_complex_numIdEllS2_S2_S2_EEvT3_20rocsparse_direction_NS_24const_host_device_scalarIT1_EES3_PKS3_PKT2_SC_S9_PKT4_PKT5_S7_PT6_21rocsparse_index_base_b ; -- Begin function _ZN9rocsparseL18bsrxmvn_4x4_kernelILj128ELj4E21rocsparse_complex_numIdEllS2_S2_S2_EEvT3_20rocsparse_direction_NS_24const_host_device_scalarIT1_EES3_PKS3_PKT2_SC_S9_PKT4_PKT5_S7_PT6_21rocsparse_index_base_b
	.p2align	8
	.type	_ZN9rocsparseL18bsrxmvn_4x4_kernelILj128ELj4E21rocsparse_complex_numIdEllS2_S2_S2_EEvT3_20rocsparse_direction_NS_24const_host_device_scalarIT1_EES3_PKS3_PKT2_SC_S9_PKT4_PKT5_S7_PT6_21rocsparse_index_base_b,@function
_ZN9rocsparseL18bsrxmvn_4x4_kernelILj128ELj4E21rocsparse_complex_numIdEllS2_S2_S2_EEvT3_20rocsparse_direction_NS_24const_host_device_scalarIT1_EES3_PKS3_PKT2_SC_S9_PKT4_PKT5_S7_PT6_21rocsparse_index_base_b: ; @_ZN9rocsparseL18bsrxmvn_4x4_kernelILj128ELj4E21rocsparse_complex_numIdEllS2_S2_S2_EEvT3_20rocsparse_direction_NS_24const_host_device_scalarIT1_EES3_PKS3_PKT2_SC_S9_PKT4_PKT5_S7_PT6_21rocsparse_index_base_b
; %bb.0:
	s_load_b64 s[12:13], s[2:3], 0x70
	s_load_b64 s[16:17], s[0:1], 0x4
	s_load_b128 s[8:11], s[2:3], 0x10
	v_bfe_u32 v1, v0, 10, 10
	s_mov_b64 s[0:1], src_shared_base
	s_load_b128 s[4:7], s[2:3], 0x58
	v_and_b32_e32 v2, 0x3ff, v0
	v_bfe_u32 v0, v0, 20, 10
	s_waitcnt lgkmcnt(0)
	s_bitcmp1_b32 s13, 0
	v_mul_u32_u24_e32 v1, s17, v1
	v_mov_b32_e32 v3, s8
	s_cselect_b32 s0, -1, 0
	v_mov_b32_e32 v23, s11
	s_and_b32 vcc_lo, s0, exec_lo
	s_cselect_b32 s13, s1, s9
	s_lshr_b32 s14, s16, 16
	v_dual_mov_b32 v6, s5 :: v_dual_mov_b32 v5, s4
	s_mul_i32 s14, s14, s17
	v_mov_b32_e32 v8, s13
	v_mad_u32_u24 v1, s14, v2, v1
	v_mov_b32_e32 v22, s10
	s_xor_b32 s10, s0, -1
	v_mov_b32_e32 v4, s9
	s_delay_alu instid0(VALU_DEP_3) | instskip(NEXT) | instid1(VALU_DEP_1)
	v_add_lshl_u32 v0, v1, v0, 3
	v_add_nc_u32_e32 v1, 0x400, v0
	ds_store_2addr_stride64_b64 v0, v[5:6], v[3:4] offset1:2
	v_cndmask_b32_e64 v7, s8, v1, s0
	flat_load_b64 v[20:21], v[7:8]
	s_cbranch_vccnz .LBB55_2
; %bb.1:
	v_dual_mov_b32 v3, s8 :: v_dual_mov_b32 v4, s9
	flat_load_b64 v[22:23], v[3:4] offset:8
.LBB55_2:
	s_and_b32 s8, s0, exec_lo
	s_cselect_b32 s1, s1, s5
	v_cndmask_b32_e64 v0, s4, v0, s0
	v_mov_b32_e32 v1, s1
	v_dual_mov_b32 v19, s7 :: v_dual_mov_b32 v18, s6
	s_and_not1_b32 vcc_lo, exec_lo, s10
	flat_load_b64 v[16:17], v[0:1]
	s_cbranch_vccnz .LBB55_4
; %bb.3:
	v_dual_mov_b32 v0, s4 :: v_dual_mov_b32 v1, s5
	flat_load_b64 v[18:19], v[0:1] offset:8
.LBB55_4:
	s_waitcnt vmcnt(1) lgkmcnt(1)
	v_cmp_eq_f64_e32 vcc_lo, 0, v[20:21]
	v_cmp_eq_f64_e64 s0, 0, v[22:23]
	s_delay_alu instid0(VALU_DEP_1)
	s_and_b32 s4, vcc_lo, s0
	s_mov_b32 s0, -1
	s_and_saveexec_b32 s1, s4
	s_cbranch_execz .LBB55_6
; %bb.5:
	s_waitcnt vmcnt(0) lgkmcnt(0)
	v_cmp_neq_f64_e32 vcc_lo, 1.0, v[16:17]
	v_cmp_neq_f64_e64 s0, 0, v[18:19]
	s_delay_alu instid0(VALU_DEP_1) | instskip(NEXT) | instid1(SALU_CYCLE_1)
	s_or_b32 s0, vcc_lo, s0
	s_or_not1_b32 s0, s0, exec_lo
.LBB55_6:
	s_or_b32 exec_lo, exec_lo, s1
	s_and_saveexec_b32 s1, s0
	s_cbranch_execz .LBB55_12
; %bb.7:
	s_load_b64 s[0:1], s[2:3], 0x28
	v_lshrrev_b32_e32 v0, 2, v2
	v_mov_b32_e32 v1, 0
	s_mov_b32 s4, 0
	s_delay_alu instid0(VALU_DEP_2)
	v_lshl_or_b32 v0, s15, 5, v0
	s_waitcnt lgkmcnt(0)
	s_cmp_lg_u64 s[0:1], 0
	s_cbranch_scc0 .LBB55_13
; %bb.8:
	s_load_b64 s[4:5], s[2:3], 0x20
                                        ; implicit-def: $vgpr24_vgpr25
	s_waitcnt lgkmcnt(0)
	v_cmp_gt_i64_e32 vcc_lo, s[4:5], v[0:1]
	s_mov_b32 s5, 0
	s_mov_b32 s4, 0
	s_and_saveexec_b32 s6, vcc_lo
	s_delay_alu instid0(SALU_CYCLE_1)
	s_xor_b32 s6, exec_lo, s6
                                        ; implicit-def: $sgpr14_sgpr15
	s_cbranch_execz .LBB55_10
; %bb.9:
	v_lshlrev_b64 v[3:4], 3, v[0:1]
	s_mov_b32 s4, exec_lo
	s_mov_b32 s15, 0
	s_delay_alu instid0(VALU_DEP_1) | instskip(NEXT) | instid1(VALU_DEP_2)
	v_add_co_u32 v3, vcc_lo, s0, v3
	v_add_co_ci_u32_e32 v4, vcc_lo, s1, v4, vcc_lo
	global_load_b64 v[3:4], v[3:4], off
	s_waitcnt vmcnt(0)
	v_sub_co_u32 v24, vcc_lo, v3, s12
	v_subrev_co_ci_u32_e32 v25, vcc_lo, 0, v4, vcc_lo
.LBB55_10:
	s_or_b32 exec_lo, exec_lo, s6
	s_delay_alu instid0(SALU_CYCLE_1)
	s_and_b32 vcc_lo, exec_lo, s5
	s_cbranch_vccnz .LBB55_14
.LBB55_11:
	s_and_b32 exec_lo, exec_lo, s4
	s_cbranch_execnz .LBB55_17
.LBB55_12:
	s_nop 0
	s_sendmsg sendmsg(MSG_DEALLOC_VGPRS)
	s_endpgm
.LBB55_13:
                                        ; implicit-def: $vgpr24_vgpr25
                                        ; implicit-def: $sgpr14_sgpr15
	s_cbranch_execz .LBB55_11
.LBB55_14:
	s_load_b64 s[0:1], s[2:3], 0x0
                                        ; implicit-def: $vgpr24_vgpr25
	s_waitcnt lgkmcnt(0)
	v_cmp_gt_i64_e32 vcc_lo, s[0:1], v[0:1]
	s_and_saveexec_b32 s0, vcc_lo
                                        ; implicit-def: $sgpr14_sgpr15
; %bb.15:
	v_dual_mov_b32 v25, v1 :: v_dual_mov_b32 v24, v0
	s_mov_b32 s15, 0
	s_or_b32 s4, s4, exec_lo
; %bb.16:
	s_or_b32 exec_lo, exec_lo, s0
	s_delay_alu instid0(SALU_CYCLE_1)
	s_and_b32 exec_lo, exec_lo, s4
	s_cbranch_execz .LBB55_12
.LBB55_17:
	s_load_b256 s[4:11], s[2:3], 0x30
	v_lshlrev_b64 v[0:1], 3, v[24:25]
	v_and_b32_e32 v60, 3, v2
	s_load_b32 s1, s[2:3], 0x8
	s_waitcnt lgkmcnt(0)
	s_delay_alu instid0(VALU_DEP_2) | instskip(NEXT) | instid1(VALU_DEP_3)
	v_add_co_u32 v3, vcc_lo, s4, v0
	v_add_co_ci_u32_e32 v4, vcc_lo, s5, v1, vcc_lo
	v_add_co_u32 v0, vcc_lo, s6, v0
	v_add_co_ci_u32_e32 v1, vcc_lo, s7, v1, vcc_lo
	s_delay_alu instid0(VALU_DEP_4) | instskip(NEXT) | instid1(VALU_DEP_4)
	v_add_co_u32 v5, vcc_lo, v3, 8
	v_add_co_ci_u32_e32 v6, vcc_lo, 0, v4, vcc_lo
	global_load_b64 v[48:49], v[3:4], off
	s_cmp_eq_u64 s[6:7], 0
	s_load_b64 s[6:7], s[2:3], 0x50
	s_cselect_b32 vcc_lo, -1, 0
	s_cmp_eq_u32 s1, 1
	v_dual_cndmask_b32 v1, v1, v6 :: v_dual_cndmask_b32 v0, v0, v5
	global_load_b64 v[0:1], v[0:1], off
	s_waitcnt vmcnt(1)
	v_sub_co_u32 v2, vcc_lo, v48, s12
	v_subrev_co_ci_u32_e32 v3, vcc_lo, s15, v49, vcc_lo
	s_delay_alu instid0(VALU_DEP_2) | instskip(NEXT) | instid1(VALU_DEP_2)
	v_add_co_u32 v26, vcc_lo, v2, v60
	v_add_co_ci_u32_e32 v27, vcc_lo, 0, v3, vcc_lo
	s_waitcnt vmcnt(0)
	v_sub_co_u32 v28, vcc_lo, v0, s12
	v_subrev_co_ci_u32_e32 v29, vcc_lo, s15, v1, vcc_lo
	s_delay_alu instid0(VALU_DEP_3) | instskip(NEXT) | instid1(VALU_DEP_2)
	v_lshlrev_b64 v[0:1], 8, v[26:27]
	v_cmp_lt_i64_e64 s0, v[26:27], v[28:29]
	s_delay_alu instid0(VALU_DEP_2) | instskip(NEXT) | instid1(VALU_DEP_3)
	v_add_co_u32 v30, vcc_lo, s10, v0
	v_add_co_ci_u32_e32 v31, vcc_lo, s11, v1, vcc_lo
	s_cbranch_scc1 .LBB55_29
; %bb.18:
	v_mov_b32_e32 v36, 0
	v_mov_b32_e32 v37, 0
	s_delay_alu instid0(VALU_DEP_2) | instskip(NEXT) | instid1(VALU_DEP_2)
	v_mov_b32_e32 v34, v36
	v_dual_mov_b32 v32, v36 :: v_dual_mov_b32 v33, v37
	v_dual_mov_b32 v41, v37 :: v_dual_mov_b32 v40, v36
	v_mov_b32_e32 v35, v37
	v_dual_mov_b32 v43, v37 :: v_dual_mov_b32 v42, v36
	v_dual_mov_b32 v45, v37 :: v_dual_mov_b32 v44, v36
	;; [unrolled: 1-line block ×4, first 2 shown]
	s_and_saveexec_b32 s5, s0
	s_cbranch_execz .LBB55_28
; %bb.19:
	v_or_b32_e32 v0, 4, v60
	v_not_b32_e32 v3, v48
	v_not_b32_e32 v2, v49
	v_dual_mov_b32 v38, 0 :: v_dual_mov_b32 v51, v31
	s_delay_alu instid0(VALU_DEP_4) | instskip(NEXT) | instid1(VALU_DEP_1)
	v_sub_co_u32 v0, s1, v0, s12
	v_sub_co_ci_u32_e64 v1, null, 0, s15, s1
	v_sub_co_u32 v4, s1, s12, v60
	s_delay_alu instid0(VALU_DEP_3) | instskip(NEXT) | instid1(VALU_DEP_3)
	v_add_co_u32 v0, vcc_lo, v0, v48
	v_add_co_ci_u32_e32 v1, vcc_lo, v1, v49, vcc_lo
	v_sub_co_ci_u32_e64 v5, null, s15, 0, s1
	s_mov_b32 s10, 0
	s_delay_alu instid0(VALU_DEP_2)
	v_cmp_gt_i64_e32 vcc_lo, v[0:1], v[28:29]
	s_mov_b32 s4, exec_lo
	v_dual_mov_b32 v53, v27 :: v_dual_mov_b32 v52, v26
	v_dual_cndmask_b32 v1, v29, v1 :: v_dual_cndmask_b32 v0, v28, v0
	v_add_co_u32 v3, vcc_lo, v4, v3
	v_add_co_ci_u32_e32 v2, vcc_lo, v5, v2, vcc_lo
	s_delay_alu instid0(VALU_DEP_2) | instskip(NEXT) | instid1(VALU_DEP_2)
	v_add_co_u32 v0, vcc_lo, v3, v0
	v_add_co_ci_u32_e32 v1, vcc_lo, v2, v1, vcc_lo
	s_delay_alu instid0(VALU_DEP_2) | instskip(NEXT) | instid1(VALU_DEP_1)
	v_lshrrev_b32_e32 v2, 2, v0
	v_dual_mov_b32 v39, 0 :: v_dual_add_nc_u32 v2, 1, v2
	s_delay_alu instid0(VALU_DEP_1)
	v_dual_mov_b32 v50, v30 :: v_dual_mov_b32 v47, v39
	v_dual_mov_b32 v46, v38 :: v_dual_mov_b32 v45, v39
	;; [unrolled: 1-line block ×4, first 2 shown]
	v_mov_b32_e32 v34, v38
	v_mov_b32_e32 v40, v38
	;; [unrolled: 1-line block ×3, first 2 shown]
	v_dual_mov_b32 v42, v38 :: v_dual_mov_b32 v33, v39
	v_dual_mov_b32 v35, v39 :: v_dual_and_b32 v2, 3, v2
	v_mov_b32_e32 v37, v39
	s_delay_alu instid0(VALU_DEP_2)
	v_cmpx_ne_u32_e32 0, v2
	s_cbranch_execz .LBB55_23
; %bb.20:
	v_lshlrev_b64 v[4:5], 3, v[26:27]
	v_dual_mov_b32 v3, 0 :: v_dual_mov_b32 v36, 0
	v_dual_mov_b32 v37, 0 :: v_dual_lshlrev_b32 v2, 3, v2
	v_dual_mov_b32 v53, v27 :: v_dual_mov_b32 v52, v26
	s_delay_alu instid0(VALU_DEP_4)
	v_add_co_u32 v4, vcc_lo, s8, v4
	v_add_co_ci_u32_e32 v5, vcc_lo, s9, v5, vcc_lo
	v_dual_mov_b32 v51, v31 :: v_dual_mov_b32 v50, v30
	v_dual_mov_b32 v41, v37 :: v_dual_mov_b32 v40, v36
	;; [unrolled: 1-line block ×8, first 2 shown]
.LBB55_21:                              ; =>This Inner Loop Header: Depth=1
	global_load_b64 v[14:15], v[4:5], off
	s_clause 0x7
	global_load_b128 v[6:9], v[50:51], off offset:16
	global_load_b128 v[10:13], v[50:51], off
	global_load_b128 v[54:57], v[50:51], off offset:80
	global_load_b128 v[61:64], v[50:51], off offset:64
	;; [unrolled: 1-line block ×6, first 2 shown]
	v_add_co_u32 v4, s1, v4, 32
	s_delay_alu instid0(VALU_DEP_1) | instskip(SKIP_3) | instid1(VALU_DEP_1)
	v_add_co_ci_u32_e64 v5, s1, 0, v5, s1
	s_waitcnt vmcnt(8)
	v_sub_co_u32 v14, vcc_lo, v14, s12
	v_subrev_co_ci_u32_e32 v15, vcc_lo, s15, v15, vcc_lo
	v_lshlrev_b64 v[14:15], 6, v[14:15]
	s_waitcnt lgkmcnt(0)
	s_delay_alu instid0(VALU_DEP_1) | instskip(NEXT) | instid1(VALU_DEP_2)
	v_add_co_u32 v14, vcc_lo, s6, v14
	v_add_co_ci_u32_e32 v15, vcc_lo, s7, v15, vcc_lo
	s_clause 0x1
	global_load_b128 v[81:84], v[14:15], off
	global_load_b128 v[85:88], v[14:15], off offset:16
	s_clause 0x7
	global_load_b128 v[89:92], v[50:51], off offset:48
	global_load_b128 v[93:96], v[50:51], off offset:32
	;; [unrolled: 1-line block ×8, first 2 shown]
	s_clause 0x1
	global_load_b128 v[121:124], v[14:15], off offset:32
	global_load_b128 v[125:128], v[14:15], off offset:48
	v_add_co_u32 v50, vcc_lo, 0x400, v50
	v_add_co_ci_u32_e32 v51, vcc_lo, 0, v51, vcc_lo
	v_add_co_u32 v2, vcc_lo, v2, -8
	v_add_co_ci_u32_e32 v3, vcc_lo, -1, v3, vcc_lo
	v_add_co_u32 v52, vcc_lo, v52, 4
	v_add_co_ci_u32_e32 v53, vcc_lo, 0, v53, vcc_lo
	s_delay_alu instid0(VALU_DEP_3)
	v_cmp_eq_u64_e32 vcc_lo, 0, v[2:3]
	s_or_b32 s10, vcc_lo, s10
	s_waitcnt vmcnt(11)
	v_fma_f64 v[14:15], v[10:11], v[81:82], v[40:41]
	v_fma_f64 v[36:37], v[12:13], v[81:82], v[36:37]
	v_fma_f64 v[40:41], v[61:62], v[81:82], v[46:47]
	v_fma_f64 v[38:39], v[63:64], v[81:82], v[38:39]
	v_fma_f64 v[42:43], v[69:70], v[81:82], v[42:43]
	v_fma_f64 v[44:45], v[71:72], v[81:82], v[44:45]
	v_fma_f64 v[34:35], v[77:78], v[81:82], v[34:35]
	v_fma_f64 v[32:33], v[79:80], v[81:82], v[32:33]
	v_fma_f64 v[12:13], -v[12:13], v[83:84], v[14:15]
	v_fma_f64 v[10:11], v[10:11], v[83:84], v[36:37]
	v_fma_f64 v[14:15], -v[63:64], v[83:84], v[40:41]
	v_fma_f64 v[36:37], v[61:62], v[83:84], v[38:39]
	v_fma_f64 v[38:39], -v[71:72], v[83:84], v[42:43]
	v_fma_f64 v[40:41], v[69:70], v[83:84], v[44:45]
	v_fma_f64 v[34:35], -v[79:80], v[83:84], v[34:35]
	v_fma_f64 v[32:33], v[77:78], v[83:84], v[32:33]
	s_waitcnt vmcnt(10)
	v_fma_f64 v[12:13], v[6:7], v[85:86], v[12:13]
	v_fma_f64 v[10:11], v[8:9], v[85:86], v[10:11]
	v_fma_f64 v[14:15], v[54:55], v[85:86], v[14:15]
	v_fma_f64 v[36:37], v[56:57], v[85:86], v[36:37]
	v_fma_f64 v[38:39], v[65:66], v[85:86], v[38:39]
	v_fma_f64 v[40:41], v[67:68], v[85:86], v[40:41]
	v_fma_f64 v[34:35], v[73:74], v[85:86], v[34:35]
	v_fma_f64 v[32:33], v[75:76], v[85:86], v[32:33]
	v_fma_f64 v[8:9], -v[8:9], v[87:88], v[12:13]
	v_fma_f64 v[6:7], v[6:7], v[87:88], v[10:11]
	v_fma_f64 v[10:11], -v[56:57], v[87:88], v[14:15]
	v_fma_f64 v[12:13], v[54:55], v[87:88], v[36:37]
	v_fma_f64 v[14:15], -v[67:68], v[87:88], v[38:39]
	v_fma_f64 v[36:37], v[65:66], v[87:88], v[40:41]
	v_fma_f64 v[34:35], -v[75:76], v[87:88], v[34:35]
	v_fma_f64 v[32:33], v[73:74], v[87:88], v[32:33]
	s_waitcnt vmcnt(1)
	v_fma_f64 v[8:9], v[93:94], v[121:122], v[8:9]
	v_fma_f64 v[6:7], v[95:96], v[121:122], v[6:7]
	v_fma_f64 v[10:11], v[101:102], v[121:122], v[10:11]
	v_fma_f64 v[12:13], v[103:104], v[121:122], v[12:13]
	v_fma_f64 v[14:15], v[109:110], v[121:122], v[14:15]
	v_fma_f64 v[36:37], v[111:112], v[121:122], v[36:37]
	v_fma_f64 v[34:35], v[117:118], v[121:122], v[34:35]
	v_fma_f64 v[32:33], v[119:120], v[121:122], v[32:33]
	v_fma_f64 v[8:9], -v[95:96], v[123:124], v[8:9]
	v_fma_f64 v[6:7], v[93:94], v[123:124], v[6:7]
	v_fma_f64 v[10:11], -v[103:104], v[123:124], v[10:11]
	v_fma_f64 v[12:13], v[101:102], v[123:124], v[12:13]
	v_fma_f64 v[14:15], -v[111:112], v[123:124], v[14:15]
	v_fma_f64 v[36:37], v[109:110], v[123:124], v[36:37]
	v_fma_f64 v[34:35], -v[119:120], v[123:124], v[34:35]
	v_fma_f64 v[32:33], v[117:118], v[123:124], v[32:33]
	s_waitcnt vmcnt(0)
	v_fma_f64 v[8:9], v[89:90], v[125:126], v[8:9]
	v_fma_f64 v[6:7], v[91:92], v[125:126], v[6:7]
	v_fma_f64 v[10:11], v[97:98], v[125:126], v[10:11]
	v_fma_f64 v[12:13], v[99:100], v[125:126], v[12:13]
	v_fma_f64 v[14:15], v[105:106], v[125:126], v[14:15]
	v_fma_f64 v[44:45], v[107:108], v[125:126], v[36:37]
	v_fma_f64 v[34:35], v[113:114], v[125:126], v[34:35]
	v_fma_f64 v[32:33], v[115:116], v[125:126], v[32:33]
	v_fma_f64 v[40:41], -v[91:92], v[127:128], v[8:9]
	v_fma_f64 v[36:37], v[89:90], v[127:128], v[6:7]
	v_fma_f64 v[46:47], -v[99:100], v[127:128], v[10:11]
	v_fma_f64 v[38:39], v[97:98], v[127:128], v[12:13]
	v_fma_f64 v[42:43], -v[107:108], v[127:128], v[14:15]
	v_fma_f64 v[44:45], v[105:106], v[127:128], v[44:45]
	v_fma_f64 v[34:35], -v[115:116], v[127:128], v[34:35]
	v_fma_f64 v[32:33], v[113:114], v[127:128], v[32:33]
	s_and_not1_b32 exec_lo, exec_lo, s10
	s_cbranch_execnz .LBB55_21
; %bb.22:
	s_or_b32 exec_lo, exec_lo, s10
.LBB55_23:
	s_delay_alu instid0(SALU_CYCLE_1) | instskip(NEXT) | instid1(SALU_CYCLE_1)
	s_or_b32 exec_lo, exec_lo, s4
	s_mov_b32 s10, exec_lo
	v_cmpx_lt_u64_e32 11, v[0:1]
	s_cbranch_execz .LBB55_27
; %bb.24:
	v_lshlrev_b64 v[0:1], 3, v[52:53]
	s_mov_b32 s11, 0
	s_delay_alu instid0(VALU_DEP_1) | instskip(NEXT) | instid1(VALU_DEP_2)
	v_add_co_u32 v0, vcc_lo, v0, s8
	v_add_co_ci_u32_e32 v1, vcc_lo, s9, v1, vcc_lo
	s_delay_alu instid0(VALU_DEP_2) | instskip(NEXT) | instid1(VALU_DEP_2)
	v_add_co_u32 v54, vcc_lo, v0, 64
	v_add_co_ci_u32_e32 v55, vcc_lo, 0, v1, vcc_lo
.LBB55_25:                              ; =>This Inner Loop Header: Depth=1
	s_clause 0x1
	global_load_b64 v[56:57], v[54:55], off offset:-64
	global_load_b64 v[58:59], v[54:55], off offset:-32
	s_clause 0x3
	global_load_b128 v[0:3], v[50:51], off
	global_load_b128 v[4:7], v[50:51], off offset:64
	global_load_b128 v[8:11], v[50:51], off offset:128
	global_load_b128 v[12:15], v[50:51], off offset:192
	s_waitcnt vmcnt(5)
	v_sub_co_u32 v56, vcc_lo, v56, s12
	v_subrev_co_ci_u32_e32 v57, vcc_lo, s15, v57, vcc_lo
	s_delay_alu instid0(VALU_DEP_1) | instskip(SKIP_1) | instid1(VALU_DEP_1)
	v_lshlrev_b64 v[56:57], 6, v[56:57]
	s_waitcnt lgkmcnt(0)
	v_add_co_u32 v56, vcc_lo, s6, v56
	s_delay_alu instid0(VALU_DEP_2)
	v_add_co_ci_u32_e32 v57, vcc_lo, s7, v57, vcc_lo
	global_load_b128 v[61:64], v[56:57], off
	s_clause 0x3
	global_load_b128 v[65:68], v[50:51], off offset:16
	global_load_b128 v[69:72], v[50:51], off offset:80
	global_load_b128 v[73:76], v[50:51], off offset:144
	global_load_b128 v[77:80], v[50:51], off offset:208
	global_load_b128 v[81:84], v[56:57], off offset:16
	s_clause 0x3
	global_load_b128 v[85:88], v[50:51], off offset:32
	global_load_b128 v[89:92], v[50:51], off offset:96
	global_load_b128 v[93:96], v[50:51], off offset:160
	global_load_b128 v[97:100], v[50:51], off offset:224
	global_load_b128 v[101:104], v[56:57], off offset:32
	;; [unrolled: 6-line block ×3, first 2 shown]
	global_load_b64 v[141:142], v[54:55], off
	s_clause 0x3
	global_load_b128 v[125:128], v[50:51], off offset:1024
	global_load_b128 v[129:132], v[50:51], off offset:1088
	;; [unrolled: 1-line block ×4, first 2 shown]
	s_waitcnt vmcnt(25)
	v_sub_co_u32 v56, vcc_lo, v58, s12
	v_subrev_co_ci_u32_e32 v57, vcc_lo, s15, v59, vcc_lo
	s_delay_alu instid0(VALU_DEP_1) | instskip(NEXT) | instid1(VALU_DEP_1)
	v_lshlrev_b64 v[56:57], 6, v[56:57]
	v_add_co_u32 v143, vcc_lo, s6, v56
	s_delay_alu instid0(VALU_DEP_2)
	v_add_co_ci_u32_e32 v144, vcc_lo, s7, v57, vcc_lo
	global_load_b128 v[56:59], v[143:144], off
	s_waitcnt vmcnt(21)
	v_fma_f64 v[40:41], v[0:1], v[61:62], v[40:41]
	v_fma_f64 v[36:37], v[2:3], v[61:62], v[36:37]
	v_fma_f64 v[46:47], v[4:5], v[61:62], v[46:47]
	v_fma_f64 v[38:39], v[6:7], v[61:62], v[38:39]
	v_fma_f64 v[42:43], v[8:9], v[61:62], v[42:43]
	v_fma_f64 v[44:45], v[10:11], v[61:62], v[44:45]
	v_fma_f64 v[34:35], v[12:13], v[61:62], v[34:35]
	v_fma_f64 v[32:33], v[14:15], v[61:62], v[32:33]
	s_waitcnt vmcnt(5)
	v_sub_co_u32 v141, vcc_lo, v141, s12
	v_subrev_co_ci_u32_e32 v142, vcc_lo, s15, v142, vcc_lo
	v_fma_f64 v[40:41], -v[2:3], v[63:64], v[40:41]
	v_fma_f64 v[36:37], v[0:1], v[63:64], v[36:37]
	v_fma_f64 v[46:47], -v[6:7], v[63:64], v[46:47]
	v_fma_f64 v[38:39], v[4:5], v[63:64], v[38:39]
	v_fma_f64 v[42:43], -v[10:11], v[63:64], v[42:43]
	v_fma_f64 v[44:45], v[8:9], v[63:64], v[44:45]
	v_fma_f64 v[61:62], -v[14:15], v[63:64], v[34:35]
	v_fma_f64 v[63:64], v[12:13], v[63:64], v[32:33]
	s_clause 0x3
	global_load_b128 v[0:3], v[50:51], off offset:1040
	global_load_b128 v[4:7], v[50:51], off offset:1104
	global_load_b128 v[8:11], v[50:51], off offset:1168
	global_load_b128 v[12:15], v[50:51], off offset:1232
	global_load_b128 v[32:35], v[143:144], off offset:16
	v_fma_f64 v[40:41], v[65:66], v[81:82], v[40:41]
	v_fma_f64 v[36:37], v[67:68], v[81:82], v[36:37]
	v_fma_f64 v[46:47], v[69:70], v[81:82], v[46:47]
	v_fma_f64 v[38:39], v[71:72], v[81:82], v[38:39]
	v_fma_f64 v[42:43], v[73:74], v[81:82], v[42:43]
	v_fma_f64 v[44:45], v[75:76], v[81:82], v[44:45]
	v_fma_f64 v[61:62], v[77:78], v[81:82], v[61:62]
	v_fma_f64 v[63:64], v[79:80], v[81:82], v[63:64]
	v_fma_f64 v[81:82], -v[67:68], v[83:84], v[40:41]
	v_fma_f64 v[145:146], v[65:66], v[83:84], v[36:37]
	v_fma_f64 v[71:72], -v[71:72], v[83:84], v[46:47]
	v_fma_f64 v[69:70], v[69:70], v[83:84], v[38:39]
	v_fma_f64 v[75:76], -v[75:76], v[83:84], v[42:43]
	v_fma_f64 v[73:74], v[73:74], v[83:84], v[44:45]
	v_fma_f64 v[79:80], -v[79:80], v[83:84], v[61:62]
	v_fma_f64 v[77:78], v[77:78], v[83:84], v[63:64]
	s_clause 0x3
	global_load_b128 v[36:39], v[50:51], off offset:1056
	global_load_b128 v[40:43], v[50:51], off offset:1120
	global_load_b128 v[44:47], v[50:51], off offset:1184
	global_load_b128 v[61:64], v[50:51], off offset:1248
	global_load_b128 v[65:68], v[143:144], off offset:32
	v_fma_f64 v[81:82], v[85:86], v[101:102], v[81:82]
	v_fma_f64 v[83:84], v[87:88], v[101:102], v[145:146]
	v_fma_f64 v[71:72], v[89:90], v[101:102], v[71:72]
	v_fma_f64 v[69:70], v[91:92], v[101:102], v[69:70]
	v_fma_f64 v[75:76], v[93:94], v[101:102], v[75:76]
	v_fma_f64 v[73:74], v[95:96], v[101:102], v[73:74]
	v_fma_f64 v[79:80], v[97:98], v[101:102], v[79:80]
	v_fma_f64 v[77:78], v[99:100], v[101:102], v[77:78]
	;; [unrolled: 22-line block ×3, first 2 shown]
	global_load_b64 v[157:158], v[54:55], off offset:32
	s_clause 0x3
	global_load_b128 v[89:92], v[50:51], off offset:2048
	global_load_b128 v[93:96], v[50:51], off offset:2112
	;; [unrolled: 1-line block ×4, first 2 shown]
	v_add_co_u32 v54, s1, 0x80, v54
	v_fma_f64 v[143:144], -v[107:108], v[123:124], v[143:144]
	v_fma_f64 v[145:146], v[105:106], v[123:124], v[145:146]
	v_fma_f64 v[111:112], -v[111:112], v[123:124], v[147:148]
	v_fma_f64 v[109:110], v[109:110], v[123:124], v[149:150]
	;; [unrolled: 2-line block ×4, first 2 shown]
	v_lshlrev_b64 v[105:106], 6, v[141:142]
	s_delay_alu instid0(VALU_DEP_1) | instskip(NEXT) | instid1(VALU_DEP_2)
	v_add_co_u32 v141, vcc_lo, s6, v105
	v_add_co_ci_u32_e32 v142, vcc_lo, s7, v106, vcc_lo
	global_load_b128 v[105:108], v[141:142], off
	s_waitcnt vmcnt(21)
	v_fma_f64 v[121:122], v[125:126], v[56:57], v[143:144]
	v_fma_f64 v[123:124], v[127:128], v[56:57], v[145:146]
	v_fma_f64 v[111:112], v[129:130], v[56:57], v[111:112]
	v_fma_f64 v[109:110], v[131:132], v[56:57], v[109:110]
	v_fma_f64 v[115:116], v[133:134], v[56:57], v[115:116]
	v_fma_f64 v[113:114], v[135:136], v[56:57], v[113:114]
	v_fma_f64 v[119:120], v[137:138], v[56:57], v[119:120]
	v_fma_f64 v[56:57], v[139:140], v[56:57], v[117:118]
	v_fma_f64 v[127:128], -v[127:128], v[58:59], v[121:122]
	v_fma_f64 v[125:126], v[125:126], v[58:59], v[123:124]
	v_fma_f64 v[131:132], -v[131:132], v[58:59], v[111:112]
	v_fma_f64 v[129:130], v[129:130], v[58:59], v[109:110]
	v_fma_f64 v[135:136], -v[135:136], v[58:59], v[115:116]
	v_fma_f64 v[133:134], v[133:134], v[58:59], v[113:114]
	v_fma_f64 v[139:140], -v[139:140], v[58:59], v[119:120]
	v_fma_f64 v[137:138], v[137:138], v[58:59], v[56:57]
	s_clause 0x3
	global_load_b128 v[56:59], v[50:51], off offset:2064
	global_load_b128 v[109:112], v[50:51], off offset:2128
	global_load_b128 v[113:116], v[50:51], off offset:2192
	global_load_b128 v[117:120], v[50:51], off offset:2256
	global_load_b128 v[121:124], v[141:142], off offset:16
	s_waitcnt vmcnt(21)
	v_fma_f64 v[127:128], v[0:1], v[32:33], v[127:128]
	v_fma_f64 v[125:126], v[2:3], v[32:33], v[125:126]
	v_fma_f64 v[131:132], v[4:5], v[32:33], v[131:132]
	v_fma_f64 v[129:130], v[6:7], v[32:33], v[129:130]
	v_fma_f64 v[135:136], v[8:9], v[32:33], v[135:136]
	v_fma_f64 v[133:134], v[10:11], v[32:33], v[133:134]
	v_fma_f64 v[139:140], v[12:13], v[32:33], v[139:140]
	v_fma_f64 v[32:33], v[14:15], v[32:33], v[137:138]
	v_fma_f64 v[127:128], -v[2:3], v[34:35], v[127:128]
	v_fma_f64 v[125:126], v[0:1], v[34:35], v[125:126]
	v_fma_f64 v[131:132], -v[6:7], v[34:35], v[131:132]
	v_fma_f64 v[129:130], v[4:5], v[34:35], v[129:130]
	v_fma_f64 v[135:136], -v[10:11], v[34:35], v[135:136]
	v_fma_f64 v[133:134], v[8:9], v[34:35], v[133:134]
	v_fma_f64 v[137:138], -v[14:15], v[34:35], v[139:140]
	v_fma_f64 v[139:140], v[12:13], v[34:35], v[32:33]
	s_clause 0x3
	global_load_b128 v[0:3], v[50:51], off offset:2080
	global_load_b128 v[4:7], v[50:51], off offset:2144
	global_load_b128 v[8:11], v[50:51], off offset:2208
	global_load_b128 v[12:15], v[50:51], off offset:2272
	global_load_b128 v[32:35], v[141:142], off offset:32
	;; [unrolled: 23-line block ×3, first 2 shown]
	s_waitcnt vmcnt(21)
	v_fma_f64 v[141:142], v[69:70], v[85:86], v[127:128]
	v_fma_f64 v[143:144], v[71:72], v[85:86], v[125:126]
	;; [unrolled: 1-line block ×8, first 2 shown]
	s_clause 0x3
	global_load_b128 v[125:128], v[50:51], off offset:3072
	global_load_b128 v[129:132], v[50:51], off offset:3136
	;; [unrolled: 1-line block ×4, first 2 shown]
	s_waitcnt vmcnt(24)
	v_sub_co_u32 v155, vcc_lo, v157, s12
	v_subrev_co_ci_u32_e32 v156, vcc_lo, s15, v158, vcc_lo
	v_fma_f64 v[141:142], -v[71:72], v[87:88], v[141:142]
	v_fma_f64 v[143:144], v[69:70], v[87:88], v[143:144]
	v_fma_f64 v[75:76], -v[75:76], v[87:88], v[145:146]
	v_fma_f64 v[73:74], v[73:74], v[87:88], v[147:148]
	;; [unrolled: 2-line block ×4, first 2 shown]
	v_lshlrev_b64 v[69:70], 6, v[155:156]
	s_delay_alu instid0(VALU_DEP_1) | instskip(NEXT) | instid1(VALU_DEP_2)
	v_add_co_u32 v145, vcc_lo, s6, v69
	v_add_co_ci_u32_e32 v146, vcc_lo, s7, v70, vcc_lo
	v_add_co_u32 v52, vcc_lo, v52, 16
	v_add_co_ci_u32_e32 v53, vcc_lo, 0, v53, vcc_lo
	global_load_b128 v[69:72], v[145:146], off
	v_cmp_ge_i64_e64 s4, v[52:53], v[28:29]
	s_delay_alu instid0(VALU_DEP_1)
	s_or_b32 s11, s4, s11
	s_waitcnt vmcnt(20)
	v_fma_f64 v[85:86], v[89:90], v[105:106], v[141:142]
	v_fma_f64 v[87:88], v[91:92], v[105:106], v[143:144]
	v_fma_f64 v[75:76], v[93:94], v[105:106], v[75:76]
	v_fma_f64 v[73:74], v[95:96], v[105:106], v[73:74]
	v_fma_f64 v[79:80], v[97:98], v[105:106], v[79:80]
	v_fma_f64 v[77:78], v[99:100], v[105:106], v[77:78]
	v_fma_f64 v[83:84], v[101:102], v[105:106], v[83:84]
	v_fma_f64 v[81:82], v[103:104], v[105:106], v[81:82]
	v_fma_f64 v[105:106], -v[91:92], v[107:108], v[85:86]
	v_fma_f64 v[141:142], v[89:90], v[107:108], v[87:88]
	v_fma_f64 v[95:96], -v[95:96], v[107:108], v[75:76]
	v_fma_f64 v[93:94], v[93:94], v[107:108], v[73:74]
	v_fma_f64 v[99:100], -v[99:100], v[107:108], v[79:80]
	v_fma_f64 v[97:98], v[97:98], v[107:108], v[77:78]
	v_fma_f64 v[103:104], -v[103:104], v[107:108], v[83:84]
	v_fma_f64 v[101:102], v[101:102], v[107:108], v[81:82]
	s_clause 0x3
	global_load_b128 v[73:76], v[50:51], off offset:3088
	global_load_b128 v[77:80], v[50:51], off offset:3152
	global_load_b128 v[81:84], v[50:51], off offset:3216
	global_load_b128 v[85:88], v[50:51], off offset:3280
	global_load_b128 v[89:92], v[145:146], off offset:16
	s_waitcnt vmcnt(20)
	v_fma_f64 v[105:106], v[56:57], v[121:122], v[105:106]
	v_fma_f64 v[107:108], v[58:59], v[121:122], v[141:142]
	v_fma_f64 v[95:96], v[109:110], v[121:122], v[95:96]
	v_fma_f64 v[93:94], v[111:112], v[121:122], v[93:94]
	v_fma_f64 v[99:100], v[113:114], v[121:122], v[99:100]
	v_fma_f64 v[97:98], v[115:116], v[121:122], v[97:98]
	v_fma_f64 v[103:104], v[117:118], v[121:122], v[103:104]
	v_fma_f64 v[101:102], v[119:120], v[121:122], v[101:102]
	v_fma_f64 v[121:122], -v[58:59], v[123:124], v[105:106]
	v_fma_f64 v[141:142], v[56:57], v[123:124], v[107:108]
	v_fma_f64 v[111:112], -v[111:112], v[123:124], v[95:96]
	v_fma_f64 v[109:110], v[109:110], v[123:124], v[93:94]
	v_fma_f64 v[115:116], -v[115:116], v[123:124], v[99:100]
	v_fma_f64 v[113:114], v[113:114], v[123:124], v[97:98]
	v_fma_f64 v[119:120], -v[119:120], v[123:124], v[103:104]
	v_fma_f64 v[117:118], v[117:118], v[123:124], v[101:102]
	s_clause 0x3
	global_load_b128 v[56:59], v[50:51], off offset:3104
	global_load_b128 v[93:96], v[50:51], off offset:3168
	global_load_b128 v[97:100], v[50:51], off offset:3232
	global_load_b128 v[101:104], v[50:51], off offset:3296
	global_load_b128 v[105:108], v[145:146], off offset:32
	;; [unrolled: 23-line block ×3, first 2 shown]
	v_add_co_u32 v50, vcc_lo, 0x1000, v50
	v_add_co_ci_u32_e32 v51, vcc_lo, 0, v51, vcc_lo
	v_add_co_ci_u32_e64 v55, vcc_lo, 0, v55, s1
	s_waitcnt vmcnt(20)
	v_fma_f64 v[34:35], v[36:37], v[65:66], v[117:118]
	v_fma_f64 v[117:118], v[38:39], v[65:66], v[121:122]
	v_fma_f64 v[121:122], v[40:41], v[65:66], v[123:124]
	v_fma_f64 v[123:124], v[42:43], v[65:66], v[141:142]
	v_fma_f64 v[115:116], v[44:45], v[65:66], v[115:116]
	v_fma_f64 v[113:114], v[46:47], v[65:66], v[113:114]
	v_fma_f64 v[119:120], v[61:62], v[65:66], v[119:120]
	v_fma_f64 v[32:33], v[63:64], v[65:66], v[32:33]
	v_fma_f64 v[34:35], -v[38:39], v[67:68], v[34:35]
	v_fma_f64 v[36:37], v[36:37], v[67:68], v[117:118]
	v_fma_f64 v[38:39], -v[42:43], v[67:68], v[121:122]
	v_fma_f64 v[40:41], v[40:41], v[67:68], v[123:124]
	v_fma_f64 v[42:43], -v[46:47], v[67:68], v[115:116]
	v_fma_f64 v[44:45], v[44:45], v[67:68], v[113:114]
	v_fma_f64 v[46:47], -v[63:64], v[67:68], v[119:120]
	v_fma_f64 v[32:33], v[61:62], v[67:68], v[32:33]
	s_waitcnt vmcnt(15)
	v_fma_f64 v[34:35], v[125:126], v[69:70], v[34:35]
	v_fma_f64 v[36:37], v[127:128], v[69:70], v[36:37]
	v_fma_f64 v[38:39], v[129:130], v[69:70], v[38:39]
	v_fma_f64 v[40:41], v[131:132], v[69:70], v[40:41]
	v_fma_f64 v[42:43], v[133:134], v[69:70], v[42:43]
	v_fma_f64 v[44:45], v[135:136], v[69:70], v[44:45]
	v_fma_f64 v[46:47], v[137:138], v[69:70], v[46:47]
	v_fma_f64 v[32:33], v[139:140], v[69:70], v[32:33]
	v_fma_f64 v[34:35], -v[127:128], v[71:72], v[34:35]
	v_fma_f64 v[36:37], v[125:126], v[71:72], v[36:37]
	v_fma_f64 v[38:39], -v[131:132], v[71:72], v[38:39]
	v_fma_f64 v[40:41], v[129:130], v[71:72], v[40:41]
	v_fma_f64 v[42:43], -v[135:136], v[71:72], v[42:43]
	v_fma_f64 v[44:45], v[133:134], v[71:72], v[44:45]
	v_fma_f64 v[46:47], -v[139:140], v[71:72], v[46:47]
	v_fma_f64 v[32:33], v[137:138], v[71:72], v[32:33]
	;; [unrolled: 17-line block ×5, first 2 shown]
	s_and_not1_b32 exec_lo, exec_lo, s11
	s_cbranch_execnz .LBB55_25
; %bb.26:
	s_or_b32 exec_lo, exec_lo, s11
.LBB55_27:
	s_delay_alu instid0(SALU_CYCLE_1)
	s_or_b32 exec_lo, exec_lo, s10
.LBB55_28:
	s_delay_alu instid0(SALU_CYCLE_1)
	s_or_b32 exec_lo, exec_lo, s5
	s_cbranch_execz .LBB55_30
	s_branch .LBB55_41
.LBB55_29:
                                        ; implicit-def: $vgpr36_vgpr37
                                        ; implicit-def: $vgpr40_vgpr41
                                        ; implicit-def: $vgpr34_vgpr35
                                        ; implicit-def: $vgpr32_vgpr33
                                        ; implicit-def: $vgpr42_vgpr43
                                        ; implicit-def: $vgpr44_vgpr45
                                        ; implicit-def: $vgpr46_vgpr47
                                        ; implicit-def: $vgpr38_vgpr39
.LBB55_30:
	v_mov_b32_e32 v36, 0
	v_mov_b32_e32 v37, 0
	s_delay_alu instid0(VALU_DEP_2) | instskip(NEXT) | instid1(VALU_DEP_2)
	v_mov_b32_e32 v34, v36
	v_dual_mov_b32 v32, v36 :: v_dual_mov_b32 v33, v37
	v_dual_mov_b32 v41, v37 :: v_dual_mov_b32 v40, v36
	v_mov_b32_e32 v35, v37
	v_dual_mov_b32 v43, v37 :: v_dual_mov_b32 v42, v36
	v_dual_mov_b32 v45, v37 :: v_dual_mov_b32 v44, v36
	;; [unrolled: 1-line block ×4, first 2 shown]
	s_and_saveexec_b32 s1, s0
	s_cbranch_execz .LBB55_40
; %bb.31:
	v_or_b32_e32 v0, 4, v60
	v_not_b32_e32 v3, v48
	v_not_b32_e32 v2, v49
	v_mov_b32_e32 v38, 0
	s_mov_b32 s5, 0
	v_sub_co_u32 v0, s0, v0, s12
	s_delay_alu instid0(VALU_DEP_1) | instskip(SKIP_1) | instid1(VALU_DEP_3)
	v_sub_co_ci_u32_e64 v1, null, 0, s15, s0
	v_sub_co_u32 v4, s0, s12, v60
	v_add_co_u32 v0, vcc_lo, v0, v48
	s_delay_alu instid0(VALU_DEP_3) | instskip(SKIP_2) | instid1(VALU_DEP_2)
	v_add_co_ci_u32_e32 v1, vcc_lo, v1, v49, vcc_lo
	v_sub_co_ci_u32_e64 v5, null, s15, 0, s0
	s_mov_b32 s4, exec_lo
	v_cmp_gt_i64_e32 vcc_lo, v[0:1], v[28:29]
	v_dual_cndmask_b32 v1, v29, v1 :: v_dual_cndmask_b32 v0, v28, v0
	v_add_co_u32 v3, vcc_lo, v4, v3
	v_add_co_ci_u32_e32 v2, vcc_lo, v5, v2, vcc_lo
	s_delay_alu instid0(VALU_DEP_2) | instskip(NEXT) | instid1(VALU_DEP_2)
	v_add_co_u32 v0, vcc_lo, v3, v0
	v_add_co_ci_u32_e32 v1, vcc_lo, v2, v1, vcc_lo
	s_delay_alu instid0(VALU_DEP_2) | instskip(NEXT) | instid1(VALU_DEP_1)
	v_lshrrev_b32_e32 v2, 2, v0
	v_dual_mov_b32 v39, 0 :: v_dual_add_nc_u32 v2, 1, v2
	s_delay_alu instid0(VALU_DEP_1) | instskip(SKIP_1) | instid1(VALU_DEP_3)
	v_dual_mov_b32 v32, v38 :: v_dual_mov_b32 v43, v39
	v_dual_mov_b32 v34, v38 :: v_dual_mov_b32 v41, v39
	v_and_b32_e32 v2, 3, v2
	v_dual_mov_b32 v36, v38 :: v_dual_mov_b32 v47, v39
	v_dual_mov_b32 v46, v38 :: v_dual_mov_b32 v45, v39
	v_mov_b32_e32 v44, v38
	v_dual_mov_b32 v42, v38 :: v_dual_mov_b32 v33, v39
	v_dual_mov_b32 v35, v39 :: v_dual_mov_b32 v40, v38
	v_mov_b32_e32 v37, v39
	v_cmpx_ne_u32_e32 0, v2
	s_cbranch_execz .LBB55_35
; %bb.32:
	v_lshlrev_b64 v[4:5], 3, v[26:27]
	v_dual_mov_b32 v3, 0 :: v_dual_mov_b32 v36, 0
	v_dual_mov_b32 v37, 0 :: v_dual_lshlrev_b32 v2, 3, v2
	s_delay_alu instid0(VALU_DEP_2) | instskip(NEXT) | instid1(VALU_DEP_4)
	v_mov_b32_e32 v34, v36
	v_add_co_u32 v4, vcc_lo, s8, v4
	s_delay_alu instid0(VALU_DEP_3)
	v_mov_b32_e32 v35, v37
	v_add_co_ci_u32_e32 v5, vcc_lo, s9, v5, vcc_lo
	v_dual_mov_b32 v41, v37 :: v_dual_mov_b32 v40, v36
	v_dual_mov_b32 v32, v36 :: v_dual_mov_b32 v33, v37
	;; [unrolled: 1-line block ×6, first 2 shown]
.LBB55_33:                              ; =>This Inner Loop Header: Depth=1
	global_load_b64 v[14:15], v[4:5], off
	s_clause 0x3
	global_load_b128 v[6:9], v[30:31], off offset:48
	global_load_b128 v[10:13], v[30:31], off offset:32
	;; [unrolled: 1-line block ×3, first 2 shown]
	global_load_b128 v[52:55], v[30:31], off
	v_add_co_u32 v4, s0, v4, 32
	s_delay_alu instid0(VALU_DEP_1) | instskip(SKIP_3) | instid1(VALU_DEP_1)
	v_add_co_ci_u32_e64 v5, s0, 0, v5, s0
	s_waitcnt vmcnt(4)
	v_sub_co_u32 v14, vcc_lo, v14, s12
	v_subrev_co_ci_u32_e32 v15, vcc_lo, s15, v15, vcc_lo
	v_lshlrev_b64 v[14:15], 6, v[14:15]
	s_waitcnt lgkmcnt(0)
	s_delay_alu instid0(VALU_DEP_1) | instskip(NEXT) | instid1(VALU_DEP_2)
	v_add_co_u32 v14, vcc_lo, s6, v14
	v_add_co_ci_u32_e32 v15, vcc_lo, s7, v15, vcc_lo
	s_clause 0x1
	global_load_b128 v[56:59], v[14:15], off
	global_load_b128 v[61:64], v[14:15], off offset:16
	s_clause 0x7
	global_load_b128 v[65:68], v[30:31], off offset:64
	global_load_b128 v[69:72], v[30:31], off offset:80
	;; [unrolled: 1-line block ×8, first 2 shown]
	s_clause 0x1
	global_load_b128 v[97:100], v[14:15], off offset:32
	global_load_b128 v[101:104], v[14:15], off offset:48
	s_clause 0x3
	global_load_b128 v[105:108], v[30:31], off offset:192
	global_load_b128 v[109:112], v[30:31], off offset:208
	;; [unrolled: 1-line block ×4, first 2 shown]
	v_add_co_u32 v30, vcc_lo, 0x400, v30
	v_add_co_ci_u32_e32 v31, vcc_lo, 0, v31, vcc_lo
	v_add_co_u32 v2, vcc_lo, v2, -8
	v_add_co_ci_u32_e32 v3, vcc_lo, -1, v3, vcc_lo
	v_add_co_u32 v26, vcc_lo, v26, 4
	v_add_co_ci_u32_e32 v27, vcc_lo, 0, v27, vcc_lo
	s_delay_alu instid0(VALU_DEP_3)
	v_cmp_eq_u64_e32 vcc_lo, 0, v[2:3]
	s_or_b32 s5, vcc_lo, s5
	s_waitcnt vmcnt(15)
	v_fma_f64 v[14:15], v[52:53], v[56:57], v[40:41]
	v_fma_f64 v[36:37], v[54:55], v[56:57], v[36:37]
	v_fma_f64 v[40:41], v[48:49], v[56:57], v[46:47]
	v_fma_f64 v[38:39], v[50:51], v[56:57], v[38:39]
	v_fma_f64 v[42:43], v[10:11], v[56:57], v[42:43]
	v_fma_f64 v[44:45], v[12:13], v[56:57], v[44:45]
	v_fma_f64 v[34:35], v[6:7], v[56:57], v[34:35]
	v_fma_f64 v[32:33], v[8:9], v[56:57], v[32:33]
	v_fma_f64 v[14:15], -v[54:55], v[58:59], v[14:15]
	v_fma_f64 v[36:37], v[52:53], v[58:59], v[36:37]
	v_fma_f64 v[40:41], -v[50:51], v[58:59], v[40:41]
	v_fma_f64 v[38:39], v[48:49], v[58:59], v[38:39]
	;; [unrolled: 2-line block ×4, first 2 shown]
	s_waitcnt vmcnt(13)
	v_fma_f64 v[14:15], v[65:66], v[61:62], v[14:15]
	v_fma_f64 v[32:33], v[67:68], v[61:62], v[36:37]
	s_waitcnt vmcnt(12)
	v_fma_f64 v[34:35], v[69:70], v[61:62], v[40:41]
	v_fma_f64 v[36:37], v[71:72], v[61:62], v[38:39]
	;; [unrolled: 3-line block ×4, first 2 shown]
	v_fma_f64 v[14:15], -v[67:68], v[63:64], v[14:15]
	v_fma_f64 v[32:33], v[65:66], v[63:64], v[32:33]
	v_fma_f64 v[34:35], -v[71:72], v[63:64], v[34:35]
	v_fma_f64 v[36:37], v[69:70], v[63:64], v[36:37]
	;; [unrolled: 2-line block ×4, first 2 shown]
	s_waitcnt vmcnt(5)
	v_fma_f64 v[14:15], v[93:94], v[97:98], v[14:15]
	v_fma_f64 v[32:33], v[95:96], v[97:98], v[32:33]
	;; [unrolled: 1-line block ×8, first 2 shown]
	v_fma_f64 v[14:15], -v[95:96], v[99:100], v[14:15]
	v_fma_f64 v[32:33], v[93:94], v[99:100], v[32:33]
	v_fma_f64 v[34:35], -v[91:92], v[99:100], v[34:35]
	v_fma_f64 v[36:37], v[89:90], v[99:100], v[36:37]
	;; [unrolled: 2-line block ×4, first 2 shown]
	s_waitcnt vmcnt(3)
	v_fma_f64 v[14:15], v[105:106], v[101:102], v[14:15]
	v_fma_f64 v[32:33], v[107:108], v[101:102], v[32:33]
	s_waitcnt vmcnt(2)
	v_fma_f64 v[34:35], v[109:110], v[101:102], v[34:35]
	v_fma_f64 v[38:39], v[111:112], v[101:102], v[36:37]
	;; [unrolled: 3-line block ×4, first 2 shown]
	v_fma_f64 v[40:41], -v[107:108], v[103:104], v[14:15]
	v_fma_f64 v[36:37], v[105:106], v[103:104], v[32:33]
	v_fma_f64 v[46:47], -v[111:112], v[103:104], v[34:35]
	v_fma_f64 v[38:39], v[109:110], v[103:104], v[38:39]
	v_fma_f64 v[42:43], -v[115:116], v[103:104], v[12:13]
	v_fma_f64 v[44:45], v[113:114], v[103:104], v[10:11]
	v_fma_f64 v[34:35], -v[119:120], v[103:104], v[8:9]
	v_fma_f64 v[32:33], v[117:118], v[103:104], v[6:7]
	s_and_not1_b32 exec_lo, exec_lo, s5
	s_cbranch_execnz .LBB55_33
; %bb.34:
	s_or_b32 exec_lo, exec_lo, s5
.LBB55_35:
	s_delay_alu instid0(SALU_CYCLE_1) | instskip(NEXT) | instid1(SALU_CYCLE_1)
	s_or_b32 exec_lo, exec_lo, s4
	s_mov_b32 s4, exec_lo
	v_cmpx_lt_u64_e32 11, v[0:1]
	s_cbranch_execz .LBB55_39
; %bb.36:
	v_lshlrev_b64 v[0:1], 3, v[26:27]
	s_mov_b32 s5, 0
	s_delay_alu instid0(VALU_DEP_1) | instskip(NEXT) | instid1(VALU_DEP_2)
	v_add_co_u32 v0, vcc_lo, v0, s8
	v_add_co_ci_u32_e32 v1, vcc_lo, s9, v1, vcc_lo
	s_delay_alu instid0(VALU_DEP_2) | instskip(NEXT) | instid1(VALU_DEP_2)
	v_add_co_u32 v48, vcc_lo, v0, 64
	v_add_co_ci_u32_e32 v49, vcc_lo, 0, v1, vcc_lo
.LBB55_37:                              ; =>This Inner Loop Header: Depth=1
	s_clause 0x1
	global_load_b64 v[50:51], v[48:49], off offset:-64
	global_load_b64 v[52:53], v[48:49], off offset:-32
	s_clause 0x3
	global_load_b128 v[0:3], v[30:31], off offset:48
	global_load_b128 v[4:7], v[30:31], off offset:32
	;; [unrolled: 1-line block ×3, first 2 shown]
	global_load_b128 v[12:15], v[30:31], off
	s_clause 0x1
	global_load_b64 v[58:59], v[48:49], off
	global_load_b64 v[137:138], v[48:49], off offset:32
	v_add_co_u32 v48, s0, 0x80, v48
	s_delay_alu instid0(VALU_DEP_1) | instskip(SKIP_3) | instid1(VALU_DEP_1)
	v_add_co_ci_u32_e64 v49, s0, 0, v49, s0
	s_waitcnt vmcnt(7)
	v_sub_co_u32 v50, vcc_lo, v50, s12
	v_subrev_co_ci_u32_e32 v51, vcc_lo, s15, v51, vcc_lo
	v_lshlrev_b64 v[50:51], 6, v[50:51]
	s_waitcnt lgkmcnt(0)
	s_delay_alu instid0(VALU_DEP_1) | instskip(NEXT) | instid1(VALU_DEP_2)
	v_add_co_u32 v50, vcc_lo, s6, v50
	v_add_co_ci_u32_e32 v51, vcc_lo, s7, v51, vcc_lo
	global_load_b128 v[54:57], v[50:51], off
	s_clause 0x3
	global_load_b128 v[61:64], v[30:31], off offset:64
	global_load_b128 v[65:68], v[30:31], off offset:80
	global_load_b128 v[69:72], v[30:31], off offset:96
	global_load_b128 v[73:76], v[30:31], off offset:112
	global_load_b128 v[77:80], v[50:51], off offset:16
	s_clause 0x3
	global_load_b128 v[81:84], v[30:31], off offset:176
	global_load_b128 v[85:88], v[30:31], off offset:160
	global_load_b128 v[89:92], v[30:31], off offset:144
	global_load_b128 v[93:96], v[30:31], off offset:128
	global_load_b128 v[97:100], v[50:51], off offset:32
	;; [unrolled: 6-line block ×3, first 2 shown]
	s_clause 0x3
	global_load_b128 v[121:124], v[30:31], off offset:1072
	global_load_b128 v[125:128], v[30:31], off offset:1056
	;; [unrolled: 1-line block ×4, first 2 shown]
	s_waitcnt vmcnt(26)
	v_sub_co_u32 v50, vcc_lo, v52, s12
	v_subrev_co_ci_u32_e32 v51, vcc_lo, s15, v53, vcc_lo
	s_delay_alu instid0(VALU_DEP_1) | instskip(NEXT) | instid1(VALU_DEP_1)
	v_lshlrev_b64 v[50:51], 6, v[50:51]
	v_add_co_u32 v139, vcc_lo, s6, v50
	s_delay_alu instid0(VALU_DEP_2)
	v_add_co_ci_u32_e32 v140, vcc_lo, s7, v51, vcc_lo
	s_waitcnt vmcnt(21)
	v_sub_co_u32 v58, vcc_lo, v58, s12
	v_subrev_co_ci_u32_e32 v59, vcc_lo, s15, v59, vcc_lo
	global_load_b128 v[50:53], v[139:140], off
	v_lshlrev_b64 v[58:59], 6, v[58:59]
	s_delay_alu instid0(VALU_DEP_1) | instskip(NEXT) | instid1(VALU_DEP_2)
	v_add_co_u32 v58, vcc_lo, s6, v58
	v_add_co_ci_u32_e32 v59, vcc_lo, s7, v59, vcc_lo
	s_waitcnt vmcnt(21)
	v_sub_co_u32 v137, vcc_lo, v137, s12
	v_subrev_co_ci_u32_e32 v138, vcc_lo, s15, v138, vcc_lo
	s_waitcnt vmcnt(20)
	v_fma_f64 v[40:41], v[12:13], v[54:55], v[40:41]
	v_fma_f64 v[36:37], v[14:15], v[54:55], v[36:37]
	v_fma_f64 v[46:47], v[8:9], v[54:55], v[46:47]
	v_fma_f64 v[38:39], v[10:11], v[54:55], v[38:39]
	v_fma_f64 v[42:43], v[4:5], v[54:55], v[42:43]
	v_fma_f64 v[44:45], v[6:7], v[54:55], v[44:45]
	v_fma_f64 v[34:35], v[0:1], v[54:55], v[34:35]
	v_fma_f64 v[32:33], v[2:3], v[54:55], v[32:33]
	v_fma_f64 v[40:41], -v[14:15], v[56:57], v[40:41]
	v_fma_f64 v[36:37], v[12:13], v[56:57], v[36:37]
	v_fma_f64 v[46:47], -v[10:11], v[56:57], v[46:47]
	v_fma_f64 v[38:39], v[8:9], v[56:57], v[38:39]
	v_fma_f64 v[42:43], -v[6:7], v[56:57], v[42:43]
	v_fma_f64 v[44:45], v[4:5], v[56:57], v[44:45]
	v_fma_f64 v[54:55], -v[2:3], v[56:57], v[34:35]
	v_fma_f64 v[56:57], v[0:1], v[56:57], v[32:33]
	s_clause 0x3
	global_load_b128 v[0:3], v[30:31], off offset:1088
	global_load_b128 v[4:7], v[30:31], off offset:1104
	global_load_b128 v[8:11], v[30:31], off offset:1120
	global_load_b128 v[12:15], v[30:31], off offset:1136
	global_load_b128 v[32:35], v[139:140], off offset:16
	s_waitcnt vmcnt(20)
	v_fma_f64 v[40:41], v[61:62], v[77:78], v[40:41]
	v_fma_f64 v[36:37], v[63:64], v[77:78], v[36:37]
	v_fma_f64 v[46:47], v[65:66], v[77:78], v[46:47]
	v_fma_f64 v[38:39], v[67:68], v[77:78], v[38:39]
	v_fma_f64 v[42:43], v[69:70], v[77:78], v[42:43]
	v_fma_f64 v[44:45], v[71:72], v[77:78], v[44:45]
	v_fma_f64 v[54:55], v[73:74], v[77:78], v[54:55]
	v_fma_f64 v[56:57], v[75:76], v[77:78], v[56:57]
	v_fma_f64 v[77:78], -v[63:64], v[79:80], v[40:41]
	v_fma_f64 v[141:142], v[61:62], v[79:80], v[36:37]
	v_fma_f64 v[67:68], -v[67:68], v[79:80], v[46:47]
	v_fma_f64 v[65:66], v[65:66], v[79:80], v[38:39]
	v_fma_f64 v[71:72], -v[71:72], v[79:80], v[42:43]
	v_fma_f64 v[69:70], v[69:70], v[79:80], v[44:45]
	v_fma_f64 v[75:76], -v[75:76], v[79:80], v[54:55]
	v_fma_f64 v[73:74], v[73:74], v[79:80], v[56:57]
	s_clause 0x3
	global_load_b128 v[36:39], v[30:31], off offset:1200
	global_load_b128 v[40:43], v[30:31], off offset:1184
	global_load_b128 v[44:47], v[30:31], off offset:1168
	global_load_b128 v[54:57], v[30:31], off offset:1152
	global_load_b128 v[61:64], v[139:140], off offset:32
	;; [unrolled: 23-line block ×3, first 2 shown]
	s_waitcnt vmcnt(20)
	v_fma_f64 v[139:140], v[101:102], v[117:118], v[95:96]
	v_fma_f64 v[141:142], v[103:104], v[117:118], v[93:94]
	;; [unrolled: 1-line block ×8, first 2 shown]
	s_clause 0x3
	global_load_b128 v[85:88], v[30:31], off offset:2096
	global_load_b128 v[89:92], v[30:31], off offset:2080
	;; [unrolled: 1-line block ×4, first 2 shown]
	v_fma_f64 v[139:140], -v[103:104], v[119:120], v[139:140]
	v_fma_f64 v[141:142], v[101:102], v[119:120], v[141:142]
	v_fma_f64 v[107:108], -v[107:108], v[119:120], v[143:144]
	v_fma_f64 v[105:106], v[105:106], v[119:120], v[145:146]
	;; [unrolled: 2-line block ×4, first 2 shown]
	global_load_b128 v[101:104], v[58:59], off
	s_waitcnt vmcnt(20)
	v_fma_f64 v[117:118], v[133:134], v[50:51], v[139:140]
	v_fma_f64 v[119:120], v[135:136], v[50:51], v[141:142]
	v_fma_f64 v[107:108], v[129:130], v[50:51], v[107:108]
	v_fma_f64 v[105:106], v[131:132], v[50:51], v[105:106]
	v_fma_f64 v[111:112], v[125:126], v[50:51], v[111:112]
	v_fma_f64 v[109:110], v[127:128], v[50:51], v[109:110]
	v_fma_f64 v[115:116], v[121:122], v[50:51], v[115:116]
	v_fma_f64 v[50:51], v[123:124], v[50:51], v[113:114]
	v_fma_f64 v[135:136], -v[135:136], v[52:53], v[117:118]
	v_fma_f64 v[133:134], v[133:134], v[52:53], v[119:120]
	v_fma_f64 v[131:132], -v[131:132], v[52:53], v[107:108]
	v_fma_f64 v[129:130], v[129:130], v[52:53], v[105:106]
	v_fma_f64 v[127:128], -v[127:128], v[52:53], v[111:112]
	v_fma_f64 v[125:126], v[125:126], v[52:53], v[109:110]
	v_fma_f64 v[123:124], -v[123:124], v[52:53], v[115:116]
	v_fma_f64 v[121:122], v[121:122], v[52:53], v[50:51]
	s_clause 0x3
	global_load_b128 v[50:53], v[30:31], off offset:2112
	global_load_b128 v[105:108], v[30:31], off offset:2128
	global_load_b128 v[109:112], v[30:31], off offset:2144
	global_load_b128 v[113:116], v[30:31], off offset:2160
	global_load_b128 v[117:120], v[58:59], off offset:16
	s_waitcnt vmcnt(20)
	v_fma_f64 v[135:136], v[0:1], v[32:33], v[135:136]
	v_fma_f64 v[133:134], v[2:3], v[32:33], v[133:134]
	v_fma_f64 v[131:132], v[4:5], v[32:33], v[131:132]
	v_fma_f64 v[129:130], v[6:7], v[32:33], v[129:130]
	v_fma_f64 v[127:128], v[8:9], v[32:33], v[127:128]
	v_fma_f64 v[125:126], v[10:11], v[32:33], v[125:126]
	v_fma_f64 v[123:124], v[12:13], v[32:33], v[123:124]
	v_fma_f64 v[32:33], v[14:15], v[32:33], v[121:122]
	v_fma_f64 v[121:122], -v[2:3], v[34:35], v[135:136]
	v_fma_f64 v[133:134], v[0:1], v[34:35], v[133:134]
	v_fma_f64 v[131:132], -v[6:7], v[34:35], v[131:132]
	v_fma_f64 v[129:130], v[4:5], v[34:35], v[129:130]
	v_fma_f64 v[127:128], -v[10:11], v[34:35], v[127:128]
	v_fma_f64 v[125:126], v[8:9], v[34:35], v[125:126]
	v_fma_f64 v[123:124], -v[14:15], v[34:35], v[123:124]
	v_fma_f64 v[135:136], v[12:13], v[34:35], v[32:33]
	s_clause 0x3
	global_load_b128 v[0:3], v[30:31], off offset:2224
	global_load_b128 v[4:7], v[30:31], off offset:2208
	global_load_b128 v[8:11], v[30:31], off offset:2192
	global_load_b128 v[12:15], v[30:31], off offset:2176
	global_load_b128 v[32:35], v[58:59], off offset:32
	;; [unrolled: 23-line block ×3, first 2 shown]
	s_waitcnt vmcnt(20)
	v_fma_f64 v[58:59], v[65:66], v[81:82], v[121:122]
	v_fma_f64 v[139:140], v[67:68], v[81:82], v[133:134]
	;; [unrolled: 1-line block ×8, first 2 shown]
	s_clause 0x3
	global_load_b128 v[121:124], v[30:31], off offset:3120
	global_load_b128 v[125:128], v[30:31], off offset:3104
	;; [unrolled: 1-line block ×4, first 2 shown]
	v_fma_f64 v[58:59], -v[67:68], v[83:84], v[58:59]
	v_fma_f64 v[139:140], v[65:66], v[83:84], v[139:140]
	v_fma_f64 v[71:72], -v[71:72], v[83:84], v[141:142]
	v_fma_f64 v[69:70], v[69:70], v[83:84], v[143:144]
	;; [unrolled: 2-line block ×4, first 2 shown]
	v_lshlrev_b64 v[65:66], 6, v[137:138]
	s_delay_alu instid0(VALU_DEP_1) | instskip(NEXT) | instid1(VALU_DEP_2)
	v_add_co_u32 v137, vcc_lo, s6, v65
	v_add_co_ci_u32_e32 v138, vcc_lo, s7, v66, vcc_lo
	v_add_co_u32 v26, vcc_lo, v26, 16
	v_add_co_ci_u32_e32 v27, vcc_lo, 0, v27, vcc_lo
	global_load_b128 v[65:68], v[137:138], off
	s_waitcnt vmcnt(20)
	v_fma_f64 v[58:59], v[97:98], v[101:102], v[58:59]
	v_fma_f64 v[81:82], v[99:100], v[101:102], v[139:140]
	v_fma_f64 v[71:72], v[93:94], v[101:102], v[71:72]
	v_fma_f64 v[69:70], v[95:96], v[101:102], v[69:70]
	v_fma_f64 v[75:76], v[89:90], v[101:102], v[75:76]
	v_fma_f64 v[73:74], v[91:92], v[101:102], v[73:74]
	v_fma_f64 v[79:80], v[85:86], v[101:102], v[79:80]
	v_fma_f64 v[77:78], v[87:88], v[101:102], v[77:78]
	v_fma_f64 v[58:59], -v[99:100], v[103:104], v[58:59]
	v_fma_f64 v[97:98], v[97:98], v[103:104], v[81:82]
	v_fma_f64 v[95:96], -v[95:96], v[103:104], v[71:72]
	v_fma_f64 v[93:94], v[93:94], v[103:104], v[69:70]
	v_fma_f64 v[91:92], -v[91:92], v[103:104], v[75:76]
	v_fma_f64 v[89:90], v[89:90], v[103:104], v[73:74]
	v_fma_f64 v[99:100], -v[87:88], v[103:104], v[79:80]
	v_fma_f64 v[101:102], v[85:86], v[103:104], v[77:78]
	s_clause 0x3
	global_load_b128 v[69:72], v[30:31], off offset:3136
	global_load_b128 v[73:76], v[30:31], off offset:3152
	global_load_b128 v[77:80], v[30:31], off offset:3168
	global_load_b128 v[81:84], v[30:31], off offset:3184
	global_load_b128 v[85:88], v[137:138], off offset:16
	s_waitcnt vmcnt(20)
	v_fma_f64 v[58:59], v[50:51], v[117:118], v[58:59]
	v_fma_f64 v[97:98], v[52:53], v[117:118], v[97:98]
	v_fma_f64 v[95:96], v[105:106], v[117:118], v[95:96]
	v_fma_f64 v[93:94], v[107:108], v[117:118], v[93:94]
	v_fma_f64 v[91:92], v[109:110], v[117:118], v[91:92]
	v_fma_f64 v[89:90], v[111:112], v[117:118], v[89:90]
	v_fma_f64 v[99:100], v[113:114], v[117:118], v[99:100]
	v_fma_f64 v[101:102], v[115:116], v[117:118], v[101:102]
	v_fma_f64 v[58:59], -v[52:53], v[119:120], v[58:59]
	v_fma_f64 v[117:118], v[50:51], v[119:120], v[97:98]
	v_fma_f64 v[107:108], -v[107:108], v[119:120], v[95:96]
	v_fma_f64 v[105:106], v[105:106], v[119:120], v[93:94]
	v_fma_f64 v[111:112], -v[111:112], v[119:120], v[91:92]
	v_fma_f64 v[109:110], v[109:110], v[119:120], v[89:90]
	v_fma_f64 v[115:116], -v[115:116], v[119:120], v[99:100]
	v_fma_f64 v[113:114], v[113:114], v[119:120], v[101:102]
	s_clause 0x3
	global_load_b128 v[50:53], v[30:31], off offset:3248
	global_load_b128 v[89:92], v[30:31], off offset:3232
	global_load_b128 v[93:96], v[30:31], off offset:3216
	global_load_b128 v[97:100], v[30:31], off offset:3200
	global_load_b128 v[101:104], v[137:138], off offset:32
	;; [unrolled: 23-line block ×3, first 2 shown]
	v_add_co_u32 v30, vcc_lo, 0x1000, v30
	v_add_co_ci_u32_e32 v31, vcc_lo, 0, v31, vcc_lo
	v_cmp_ge_i64_e32 vcc_lo, v[26:27], v[28:29]
	s_or_b32 s5, vcc_lo, s5
	s_waitcnt vmcnt(20)
	v_fma_f64 v[34:35], v[36:37], v[61:62], v[58:59]
	v_fma_f64 v[58:59], v[38:39], v[61:62], v[113:114]
	v_fma_f64 v[113:114], v[40:41], v[61:62], v[117:118]
	v_fma_f64 v[117:118], v[42:43], v[61:62], v[119:120]
	v_fma_f64 v[111:112], v[44:45], v[61:62], v[111:112]
	v_fma_f64 v[109:110], v[46:47], v[61:62], v[109:110]
	v_fma_f64 v[115:116], v[54:55], v[61:62], v[115:116]
	v_fma_f64 v[32:33], v[56:57], v[61:62], v[32:33]
	v_fma_f64 v[34:35], -v[38:39], v[63:64], v[34:35]
	v_fma_f64 v[36:37], v[36:37], v[63:64], v[58:59]
	v_fma_f64 v[38:39], -v[42:43], v[63:64], v[113:114]
	v_fma_f64 v[40:41], v[40:41], v[63:64], v[117:118]
	v_fma_f64 v[42:43], -v[46:47], v[63:64], v[111:112]
	v_fma_f64 v[44:45], v[44:45], v[63:64], v[109:110]
	v_fma_f64 v[46:47], -v[56:57], v[63:64], v[115:116]
	v_fma_f64 v[32:33], v[54:55], v[63:64], v[32:33]
	s_waitcnt vmcnt(15)
	v_fma_f64 v[34:35], v[133:134], v[65:66], v[34:35]
	v_fma_f64 v[36:37], v[135:136], v[65:66], v[36:37]
	v_fma_f64 v[38:39], v[129:130], v[65:66], v[38:39]
	v_fma_f64 v[40:41], v[131:132], v[65:66], v[40:41]
	v_fma_f64 v[42:43], v[125:126], v[65:66], v[42:43]
	v_fma_f64 v[44:45], v[127:128], v[65:66], v[44:45]
	v_fma_f64 v[46:47], v[121:122], v[65:66], v[46:47]
	v_fma_f64 v[32:33], v[123:124], v[65:66], v[32:33]
	v_fma_f64 v[34:35], -v[135:136], v[67:68], v[34:35]
	v_fma_f64 v[36:37], v[133:134], v[67:68], v[36:37]
	v_fma_f64 v[38:39], -v[131:132], v[67:68], v[38:39]
	v_fma_f64 v[40:41], v[129:130], v[67:68], v[40:41]
	v_fma_f64 v[42:43], -v[127:128], v[67:68], v[42:43]
	v_fma_f64 v[44:45], v[125:126], v[67:68], v[44:45]
	v_fma_f64 v[46:47], -v[123:124], v[67:68], v[46:47]
	v_fma_f64 v[32:33], v[121:122], v[67:68], v[32:33]
	;; [unrolled: 17-line block ×5, first 2 shown]
	s_and_not1_b32 exec_lo, exec_lo, s5
	s_cbranch_execnz .LBB55_37
; %bb.38:
	s_or_b32 exec_lo, exec_lo, s5
.LBB55_39:
	s_delay_alu instid0(SALU_CYCLE_1)
	s_or_b32 exec_lo, exec_lo, s4
.LBB55_40:
	s_delay_alu instid0(SALU_CYCLE_1)
	s_or_b32 exec_lo, exec_lo, s1
.LBB55_41:
	v_mbcnt_lo_u32_b32 v30, -1, 0
	s_delay_alu instid0(VALU_DEP_1) | instskip(NEXT) | instid1(VALU_DEP_1)
	v_xor_b32_e32 v0, 2, v30
	v_cmp_gt_i32_e32 vcc_lo, 32, v0
	v_cndmask_b32_e32 v0, v30, v0, vcc_lo
	s_delay_alu instid0(VALU_DEP_1)
	v_lshlrev_b32_e32 v14, 2, v0
	ds_bpermute_b32 v0, v14, v40
	ds_bpermute_b32 v1, v14, v41
	;; [unrolled: 1-line block ×16, first 2 shown]
	s_waitcnt lgkmcnt(0)
	v_add_f64 v[0:1], v[40:41], v[0:1]
	v_add_f64 v[28:29], v[36:37], v[2:3]
	;; [unrolled: 1-line block ×7, first 2 shown]
	v_xor_b32_e32 v12, 1, v30
	v_add_f64 v[8:9], v[32:33], v[26:27]
	s_delay_alu instid0(VALU_DEP_2) | instskip(SKIP_2) | instid1(VALU_DEP_2)
	v_cmp_gt_i32_e32 vcc_lo, 32, v12
	v_cndmask_b32_e32 v12, v30, v12, vcc_lo
	v_cmp_eq_u32_e32 vcc_lo, 3, v60
	v_lshlrev_b32_e32 v35, 2, v12
	ds_bpermute_b32 v12, v35, v0
	ds_bpermute_b32 v13, v35, v1
	;; [unrolled: 1-line block ×16, first 2 shown]
	s_and_b32 exec_lo, exec_lo, vcc_lo
	s_cbranch_execz .LBB55_12
; %bb.42:
	s_waitcnt lgkmcnt(12)
	v_add_f64 v[28:29], v[28:29], v[40:41]
	s_waitcnt lgkmcnt(8)
	v_add_f64 v[14:15], v[14:15], v[38:39]
	;; [unrolled: 2-line block ×4, first 2 shown]
	v_add_f64 v[0:1], v[0:1], v[12:13]
	v_add_f64 v[2:3], v[2:3], v[26:27]
	v_add_f64 v[26:27], v[4:5], v[30:31]
	v_add_f64 v[30:31], v[6:7], v[32:33]
	v_cmp_eq_f64_e32 vcc_lo, 0, v[16:17]
	v_cmp_eq_f64_e64 s0, 0, v[18:19]
	s_load_b64 s[2:3], s[2:3], 0x68
	v_mul_f64 v[4:5], v[28:29], -v[22:23]
	v_mul_f64 v[6:7], v[20:21], v[28:29]
	v_mul_f64 v[28:29], v[14:15], -v[22:23]
	v_mul_f64 v[32:33], v[20:21], v[14:15]
	;; [unrolled: 2-line block ×4, first 2 shown]
	s_and_b32 s0, vcc_lo, s0
	v_fma_f64 v[12:13], v[20:21], v[0:1], v[4:5]
	v_fma_f64 v[14:15], v[22:23], v[0:1], v[6:7]
	;; [unrolled: 1-line block ×8, first 2 shown]
	v_lshlrev_b64 v[20:21], 6, v[24:25]
	s_and_saveexec_b32 s1, s0
	s_delay_alu instid0(SALU_CYCLE_1)
	s_xor_b32 s0, exec_lo, s1
	s_cbranch_execz .LBB55_44
; %bb.43:
	s_waitcnt lgkmcnt(0)
	s_delay_alu instid0(VALU_DEP_1)
	v_add_co_u32 v16, vcc_lo, s2, v20
	v_add_co_ci_u32_e32 v17, vcc_lo, s3, v21, vcc_lo
                                        ; implicit-def: $vgpr18_vgpr19
                                        ; implicit-def: $vgpr20_vgpr21
	s_clause 0x3
	global_store_b128 v[16:17], v[12:15], off
	global_store_b128 v[16:17], v[8:11], off offset:16
	global_store_b128 v[16:17], v[4:7], off offset:32
	;; [unrolled: 1-line block ×3, first 2 shown]
                                        ; implicit-def: $vgpr16_vgpr17
                                        ; implicit-def: $vgpr12_vgpr13
                                        ; implicit-def: $vgpr8_vgpr9
                                        ; implicit-def: $vgpr4_vgpr5
                                        ; implicit-def: $vgpr0_vgpr1
.LBB55_44:
	s_and_not1_saveexec_b32 s0, s0
	s_cbranch_execz .LBB55_12
; %bb.45:
	s_waitcnt lgkmcnt(0)
	v_add_co_u32 v36, vcc_lo, s2, v20
	v_add_co_ci_u32_e32 v37, vcc_lo, s3, v21, vcc_lo
	s_clause 0x3
	global_load_b128 v[20:23], v[36:37], off
	global_load_b128 v[24:27], v[36:37], off offset:16
	global_load_b128 v[28:31], v[36:37], off offset:32
	;; [unrolled: 1-line block ×3, first 2 shown]
	s_waitcnt vmcnt(3)
	v_fma_f64 v[12:13], v[16:17], v[20:21], v[12:13]
	v_fma_f64 v[14:15], v[18:19], v[20:21], v[14:15]
	s_waitcnt vmcnt(2)
	v_fma_f64 v[8:9], v[16:17], v[24:25], v[8:9]
	v_fma_f64 v[10:11], v[18:19], v[24:25], v[10:11]
	s_waitcnt vmcnt(1)
	v_fma_f64 v[20:21], v[16:17], v[28:29], v[4:5]
	v_fma_f64 v[24:25], v[18:19], v[28:29], v[6:7]
	s_waitcnt vmcnt(0)
	v_fma_f64 v[28:29], v[16:17], v[32:33], v[0:1]
	v_fma_f64 v[32:33], v[18:19], v[32:33], v[2:3]
	v_fma_f64 v[0:1], -v[18:19], v[22:23], v[12:13]
	v_fma_f64 v[2:3], v[16:17], v[22:23], v[14:15]
	v_fma_f64 v[4:5], -v[18:19], v[26:27], v[8:9]
	v_fma_f64 v[6:7], v[16:17], v[26:27], v[10:11]
	;; [unrolled: 2-line block ×4, first 2 shown]
	s_clause 0x3
	global_store_b128 v[36:37], v[0:3], off
	global_store_b128 v[36:37], v[4:7], off offset:16
	global_store_b128 v[36:37], v[8:11], off offset:32
	;; [unrolled: 1-line block ×3, first 2 shown]
	s_nop 0
	s_sendmsg sendmsg(MSG_DEALLOC_VGPRS)
	s_endpgm
	.section	.rodata,"a",@progbits
	.p2align	6, 0x0
	.amdhsa_kernel _ZN9rocsparseL18bsrxmvn_4x4_kernelILj128ELj4E21rocsparse_complex_numIdEllS2_S2_S2_EEvT3_20rocsparse_direction_NS_24const_host_device_scalarIT1_EES3_PKS3_PKT2_SC_S9_PKT4_PKT5_S7_PT6_21rocsparse_index_base_b
		.amdhsa_group_segment_fixed_size 2048
		.amdhsa_private_segment_fixed_size 0
		.amdhsa_kernarg_size 120
		.amdhsa_user_sgpr_count 15
		.amdhsa_user_sgpr_dispatch_ptr 1
		.amdhsa_user_sgpr_queue_ptr 0
		.amdhsa_user_sgpr_kernarg_segment_ptr 1
		.amdhsa_user_sgpr_dispatch_id 0
		.amdhsa_user_sgpr_private_segment_size 0
		.amdhsa_wavefront_size32 1
		.amdhsa_uses_dynamic_stack 0
		.amdhsa_enable_private_segment 0
		.amdhsa_system_sgpr_workgroup_id_x 1
		.amdhsa_system_sgpr_workgroup_id_y 0
		.amdhsa_system_sgpr_workgroup_id_z 0
		.amdhsa_system_sgpr_workgroup_info 0
		.amdhsa_system_vgpr_workitem_id 2
		.amdhsa_next_free_vgpr 159
		.amdhsa_next_free_sgpr 18
		.amdhsa_reserve_vcc 1
		.amdhsa_float_round_mode_32 0
		.amdhsa_float_round_mode_16_64 0
		.amdhsa_float_denorm_mode_32 3
		.amdhsa_float_denorm_mode_16_64 3
		.amdhsa_dx10_clamp 1
		.amdhsa_ieee_mode 1
		.amdhsa_fp16_overflow 0
		.amdhsa_workgroup_processor_mode 1
		.amdhsa_memory_ordered 1
		.amdhsa_forward_progress 0
		.amdhsa_shared_vgpr_count 0
		.amdhsa_exception_fp_ieee_invalid_op 0
		.amdhsa_exception_fp_denorm_src 0
		.amdhsa_exception_fp_ieee_div_zero 0
		.amdhsa_exception_fp_ieee_overflow 0
		.amdhsa_exception_fp_ieee_underflow 0
		.amdhsa_exception_fp_ieee_inexact 0
		.amdhsa_exception_int_div_zero 0
	.end_amdhsa_kernel
	.section	.text._ZN9rocsparseL18bsrxmvn_4x4_kernelILj128ELj4E21rocsparse_complex_numIdEllS2_S2_S2_EEvT3_20rocsparse_direction_NS_24const_host_device_scalarIT1_EES3_PKS3_PKT2_SC_S9_PKT4_PKT5_S7_PT6_21rocsparse_index_base_b,"axG",@progbits,_ZN9rocsparseL18bsrxmvn_4x4_kernelILj128ELj4E21rocsparse_complex_numIdEllS2_S2_S2_EEvT3_20rocsparse_direction_NS_24const_host_device_scalarIT1_EES3_PKS3_PKT2_SC_S9_PKT4_PKT5_S7_PT6_21rocsparse_index_base_b,comdat
.Lfunc_end55:
	.size	_ZN9rocsparseL18bsrxmvn_4x4_kernelILj128ELj4E21rocsparse_complex_numIdEllS2_S2_S2_EEvT3_20rocsparse_direction_NS_24const_host_device_scalarIT1_EES3_PKS3_PKT2_SC_S9_PKT4_PKT5_S7_PT6_21rocsparse_index_base_b, .Lfunc_end55-_ZN9rocsparseL18bsrxmvn_4x4_kernelILj128ELj4E21rocsparse_complex_numIdEllS2_S2_S2_EEvT3_20rocsparse_direction_NS_24const_host_device_scalarIT1_EES3_PKS3_PKT2_SC_S9_PKT4_PKT5_S7_PT6_21rocsparse_index_base_b
                                        ; -- End function
	.section	.AMDGPU.csdata,"",@progbits
; Kernel info:
; codeLenInByte = 10580
; NumSgprs: 20
; NumVgprs: 159
; ScratchSize: 0
; MemoryBound: 1
; FloatMode: 240
; IeeeMode: 1
; LDSByteSize: 2048 bytes/workgroup (compile time only)
; SGPRBlocks: 2
; VGPRBlocks: 19
; NumSGPRsForWavesPerEU: 20
; NumVGPRsForWavesPerEU: 159
; Occupancy: 9
; WaveLimiterHint : 1
; COMPUTE_PGM_RSRC2:SCRATCH_EN: 0
; COMPUTE_PGM_RSRC2:USER_SGPR: 15
; COMPUTE_PGM_RSRC2:TRAP_HANDLER: 0
; COMPUTE_PGM_RSRC2:TGID_X_EN: 1
; COMPUTE_PGM_RSRC2:TGID_Y_EN: 0
; COMPUTE_PGM_RSRC2:TGID_Z_EN: 0
; COMPUTE_PGM_RSRC2:TIDIG_COMP_CNT: 2
	.section	.text._ZN9rocsparseL18bsrxmvn_4x4_kernelILj128ELj8E21rocsparse_complex_numIdEllS2_S2_S2_EEvT3_20rocsparse_direction_NS_24const_host_device_scalarIT1_EES3_PKS3_PKT2_SC_S9_PKT4_PKT5_S7_PT6_21rocsparse_index_base_b,"axG",@progbits,_ZN9rocsparseL18bsrxmvn_4x4_kernelILj128ELj8E21rocsparse_complex_numIdEllS2_S2_S2_EEvT3_20rocsparse_direction_NS_24const_host_device_scalarIT1_EES3_PKS3_PKT2_SC_S9_PKT4_PKT5_S7_PT6_21rocsparse_index_base_b,comdat
	.globl	_ZN9rocsparseL18bsrxmvn_4x4_kernelILj128ELj8E21rocsparse_complex_numIdEllS2_S2_S2_EEvT3_20rocsparse_direction_NS_24const_host_device_scalarIT1_EES3_PKS3_PKT2_SC_S9_PKT4_PKT5_S7_PT6_21rocsparse_index_base_b ; -- Begin function _ZN9rocsparseL18bsrxmvn_4x4_kernelILj128ELj8E21rocsparse_complex_numIdEllS2_S2_S2_EEvT3_20rocsparse_direction_NS_24const_host_device_scalarIT1_EES3_PKS3_PKT2_SC_S9_PKT4_PKT5_S7_PT6_21rocsparse_index_base_b
	.p2align	8
	.type	_ZN9rocsparseL18bsrxmvn_4x4_kernelILj128ELj8E21rocsparse_complex_numIdEllS2_S2_S2_EEvT3_20rocsparse_direction_NS_24const_host_device_scalarIT1_EES3_PKS3_PKT2_SC_S9_PKT4_PKT5_S7_PT6_21rocsparse_index_base_b,@function
_ZN9rocsparseL18bsrxmvn_4x4_kernelILj128ELj8E21rocsparse_complex_numIdEllS2_S2_S2_EEvT3_20rocsparse_direction_NS_24const_host_device_scalarIT1_EES3_PKS3_PKT2_SC_S9_PKT4_PKT5_S7_PT6_21rocsparse_index_base_b: ; @_ZN9rocsparseL18bsrxmvn_4x4_kernelILj128ELj8E21rocsparse_complex_numIdEllS2_S2_S2_EEvT3_20rocsparse_direction_NS_24const_host_device_scalarIT1_EES3_PKS3_PKT2_SC_S9_PKT4_PKT5_S7_PT6_21rocsparse_index_base_b
; %bb.0:
	s_load_b64 s[12:13], s[2:3], 0x70
	s_load_b64 s[16:17], s[0:1], 0x4
	s_load_b128 s[8:11], s[2:3], 0x10
	v_bfe_u32 v1, v0, 10, 10
	s_mov_b64 s[0:1], src_shared_base
	s_load_b128 s[4:7], s[2:3], 0x58
	v_and_b32_e32 v2, 0x3ff, v0
	v_bfe_u32 v0, v0, 20, 10
	s_waitcnt lgkmcnt(0)
	s_bitcmp1_b32 s13, 0
	v_mul_u32_u24_e32 v1, s17, v1
	v_mov_b32_e32 v3, s8
	s_cselect_b32 s0, -1, 0
	v_mov_b32_e32 v23, s11
	s_and_b32 vcc_lo, s0, exec_lo
	s_cselect_b32 s13, s1, s9
	s_lshr_b32 s14, s16, 16
	v_dual_mov_b32 v6, s5 :: v_dual_mov_b32 v5, s4
	s_mul_i32 s14, s14, s17
	v_mov_b32_e32 v8, s13
	v_mad_u32_u24 v1, s14, v2, v1
	v_mov_b32_e32 v22, s10
	s_xor_b32 s10, s0, -1
	v_mov_b32_e32 v4, s9
	s_delay_alu instid0(VALU_DEP_3) | instskip(NEXT) | instid1(VALU_DEP_1)
	v_add_lshl_u32 v0, v1, v0, 3
	v_add_nc_u32_e32 v1, 0x400, v0
	ds_store_2addr_stride64_b64 v0, v[5:6], v[3:4] offset1:2
	v_cndmask_b32_e64 v7, s8, v1, s0
	flat_load_b64 v[20:21], v[7:8]
	s_cbranch_vccnz .LBB56_2
; %bb.1:
	v_dual_mov_b32 v3, s8 :: v_dual_mov_b32 v4, s9
	flat_load_b64 v[22:23], v[3:4] offset:8
.LBB56_2:
	s_and_b32 s8, s0, exec_lo
	s_cselect_b32 s1, s1, s5
	v_cndmask_b32_e64 v0, s4, v0, s0
	v_mov_b32_e32 v1, s1
	v_dual_mov_b32 v19, s7 :: v_dual_mov_b32 v18, s6
	s_and_not1_b32 vcc_lo, exec_lo, s10
	flat_load_b64 v[16:17], v[0:1]
	s_cbranch_vccnz .LBB56_4
; %bb.3:
	v_dual_mov_b32 v0, s4 :: v_dual_mov_b32 v1, s5
	flat_load_b64 v[18:19], v[0:1] offset:8
.LBB56_4:
	s_waitcnt vmcnt(1) lgkmcnt(1)
	v_cmp_eq_f64_e32 vcc_lo, 0, v[20:21]
	v_cmp_eq_f64_e64 s0, 0, v[22:23]
	s_delay_alu instid0(VALU_DEP_1)
	s_and_b32 s4, vcc_lo, s0
	s_mov_b32 s0, -1
	s_and_saveexec_b32 s1, s4
	s_cbranch_execz .LBB56_6
; %bb.5:
	s_waitcnt vmcnt(0) lgkmcnt(0)
	v_cmp_neq_f64_e32 vcc_lo, 1.0, v[16:17]
	v_cmp_neq_f64_e64 s0, 0, v[18:19]
	s_delay_alu instid0(VALU_DEP_1) | instskip(NEXT) | instid1(SALU_CYCLE_1)
	s_or_b32 s0, vcc_lo, s0
	s_or_not1_b32 s0, s0, exec_lo
.LBB56_6:
	s_or_b32 exec_lo, exec_lo, s1
	s_and_saveexec_b32 s1, s0
	s_cbranch_execz .LBB56_12
; %bb.7:
	s_load_b64 s[0:1], s[2:3], 0x28
	v_lshrrev_b32_e32 v0, 3, v2
	v_mov_b32_e32 v1, 0
	s_mov_b32 s4, 0
	s_delay_alu instid0(VALU_DEP_2)
	v_lshl_or_b32 v0, s15, 4, v0
	s_waitcnt lgkmcnt(0)
	s_cmp_lg_u64 s[0:1], 0
	s_cbranch_scc0 .LBB56_13
; %bb.8:
	s_load_b64 s[4:5], s[2:3], 0x20
                                        ; implicit-def: $vgpr24_vgpr25
	s_waitcnt lgkmcnt(0)
	v_cmp_gt_i64_e32 vcc_lo, s[4:5], v[0:1]
	s_mov_b32 s5, 0
	s_mov_b32 s4, 0
	s_and_saveexec_b32 s6, vcc_lo
	s_delay_alu instid0(SALU_CYCLE_1)
	s_xor_b32 s6, exec_lo, s6
                                        ; implicit-def: $sgpr14_sgpr15
	s_cbranch_execz .LBB56_10
; %bb.9:
	v_lshlrev_b64 v[3:4], 3, v[0:1]
	s_mov_b32 s4, exec_lo
	s_mov_b32 s15, 0
	s_delay_alu instid0(VALU_DEP_1) | instskip(NEXT) | instid1(VALU_DEP_2)
	v_add_co_u32 v3, vcc_lo, s0, v3
	v_add_co_ci_u32_e32 v4, vcc_lo, s1, v4, vcc_lo
	global_load_b64 v[3:4], v[3:4], off
	s_waitcnt vmcnt(0)
	v_sub_co_u32 v24, vcc_lo, v3, s12
	v_subrev_co_ci_u32_e32 v25, vcc_lo, 0, v4, vcc_lo
.LBB56_10:
	s_or_b32 exec_lo, exec_lo, s6
	s_delay_alu instid0(SALU_CYCLE_1)
	s_and_b32 vcc_lo, exec_lo, s5
	s_cbranch_vccnz .LBB56_14
.LBB56_11:
	s_and_b32 exec_lo, exec_lo, s4
	s_cbranch_execnz .LBB56_17
.LBB56_12:
	s_nop 0
	s_sendmsg sendmsg(MSG_DEALLOC_VGPRS)
	s_endpgm
.LBB56_13:
                                        ; implicit-def: $vgpr24_vgpr25
                                        ; implicit-def: $sgpr14_sgpr15
	s_cbranch_execz .LBB56_11
.LBB56_14:
	s_load_b64 s[0:1], s[2:3], 0x0
                                        ; implicit-def: $vgpr24_vgpr25
	s_waitcnt lgkmcnt(0)
	v_cmp_gt_i64_e32 vcc_lo, s[0:1], v[0:1]
	s_and_saveexec_b32 s0, vcc_lo
                                        ; implicit-def: $sgpr14_sgpr15
; %bb.15:
	v_dual_mov_b32 v25, v1 :: v_dual_mov_b32 v24, v0
	s_mov_b32 s15, 0
	s_or_b32 s4, s4, exec_lo
; %bb.16:
	s_or_b32 exec_lo, exec_lo, s0
	s_delay_alu instid0(SALU_CYCLE_1)
	s_and_b32 exec_lo, exec_lo, s4
	s_cbranch_execz .LBB56_12
.LBB56_17:
	s_load_b256 s[4:11], s[2:3], 0x30
	v_lshlrev_b64 v[0:1], 3, v[24:25]
	v_and_b32_e32 v60, 7, v2
	s_load_b32 s1, s[2:3], 0x8
	s_waitcnt lgkmcnt(0)
	s_delay_alu instid0(VALU_DEP_2) | instskip(NEXT) | instid1(VALU_DEP_3)
	v_add_co_u32 v3, vcc_lo, s4, v0
	v_add_co_ci_u32_e32 v4, vcc_lo, s5, v1, vcc_lo
	v_add_co_u32 v0, vcc_lo, s6, v0
	v_add_co_ci_u32_e32 v1, vcc_lo, s7, v1, vcc_lo
	s_delay_alu instid0(VALU_DEP_4) | instskip(NEXT) | instid1(VALU_DEP_4)
	v_add_co_u32 v5, vcc_lo, v3, 8
	v_add_co_ci_u32_e32 v6, vcc_lo, 0, v4, vcc_lo
	global_load_b64 v[48:49], v[3:4], off
	s_cmp_eq_u64 s[6:7], 0
	s_load_b64 s[6:7], s[2:3], 0x50
	s_cselect_b32 vcc_lo, -1, 0
	s_cmp_eq_u32 s1, 1
	v_dual_cndmask_b32 v1, v1, v6 :: v_dual_cndmask_b32 v0, v0, v5
	global_load_b64 v[0:1], v[0:1], off
	s_waitcnt vmcnt(1)
	v_sub_co_u32 v2, vcc_lo, v48, s12
	v_subrev_co_ci_u32_e32 v3, vcc_lo, s15, v49, vcc_lo
	s_delay_alu instid0(VALU_DEP_2) | instskip(NEXT) | instid1(VALU_DEP_2)
	v_add_co_u32 v26, vcc_lo, v2, v60
	v_add_co_ci_u32_e32 v27, vcc_lo, 0, v3, vcc_lo
	s_waitcnt vmcnt(0)
	v_sub_co_u32 v28, vcc_lo, v0, s12
	v_subrev_co_ci_u32_e32 v29, vcc_lo, s15, v1, vcc_lo
	s_delay_alu instid0(VALU_DEP_3) | instskip(NEXT) | instid1(VALU_DEP_2)
	v_lshlrev_b64 v[0:1], 8, v[26:27]
	v_cmp_lt_i64_e64 s0, v[26:27], v[28:29]
	s_delay_alu instid0(VALU_DEP_2) | instskip(NEXT) | instid1(VALU_DEP_3)
	v_add_co_u32 v30, vcc_lo, s10, v0
	v_add_co_ci_u32_e32 v31, vcc_lo, s11, v1, vcc_lo
	s_cbranch_scc1 .LBB56_29
; %bb.18:
	v_mov_b32_e32 v36, 0
	v_mov_b32_e32 v37, 0
	s_delay_alu instid0(VALU_DEP_2) | instskip(NEXT) | instid1(VALU_DEP_2)
	v_mov_b32_e32 v34, v36
	v_dual_mov_b32 v32, v36 :: v_dual_mov_b32 v33, v37
	v_dual_mov_b32 v41, v37 :: v_dual_mov_b32 v40, v36
	v_mov_b32_e32 v35, v37
	v_dual_mov_b32 v43, v37 :: v_dual_mov_b32 v42, v36
	v_dual_mov_b32 v45, v37 :: v_dual_mov_b32 v44, v36
	;; [unrolled: 1-line block ×4, first 2 shown]
	s_and_saveexec_b32 s5, s0
	s_cbranch_execz .LBB56_28
; %bb.19:
	v_or_b32_e32 v0, 8, v60
	v_not_b32_e32 v3, v48
	v_not_b32_e32 v2, v49
	v_dual_mov_b32 v38, 0 :: v_dual_mov_b32 v51, v31
	s_delay_alu instid0(VALU_DEP_4) | instskip(NEXT) | instid1(VALU_DEP_1)
	v_sub_co_u32 v0, s1, v0, s12
	v_sub_co_ci_u32_e64 v1, null, 0, s15, s1
	v_sub_co_u32 v4, s1, s12, v60
	s_delay_alu instid0(VALU_DEP_3) | instskip(NEXT) | instid1(VALU_DEP_3)
	v_add_co_u32 v0, vcc_lo, v0, v48
	v_add_co_ci_u32_e32 v1, vcc_lo, v1, v49, vcc_lo
	v_sub_co_ci_u32_e64 v5, null, s15, 0, s1
	s_mov_b32 s10, 0
	s_delay_alu instid0(VALU_DEP_2)
	v_cmp_gt_i64_e32 vcc_lo, v[0:1], v[28:29]
	s_mov_b32 s4, exec_lo
	v_dual_mov_b32 v53, v27 :: v_dual_mov_b32 v52, v26
	v_dual_cndmask_b32 v1, v29, v1 :: v_dual_cndmask_b32 v0, v28, v0
	v_add_co_u32 v3, vcc_lo, v4, v3
	v_add_co_ci_u32_e32 v2, vcc_lo, v5, v2, vcc_lo
	s_delay_alu instid0(VALU_DEP_2) | instskip(NEXT) | instid1(VALU_DEP_2)
	v_add_co_u32 v0, vcc_lo, v3, v0
	v_add_co_ci_u32_e32 v1, vcc_lo, v2, v1, vcc_lo
	s_delay_alu instid0(VALU_DEP_2) | instskip(NEXT) | instid1(VALU_DEP_1)
	v_lshrrev_b32_e32 v2, 3, v0
	v_dual_mov_b32 v39, 0 :: v_dual_add_nc_u32 v2, 1, v2
	s_delay_alu instid0(VALU_DEP_1)
	v_dual_mov_b32 v50, v30 :: v_dual_mov_b32 v47, v39
	v_dual_mov_b32 v46, v38 :: v_dual_mov_b32 v45, v39
	;; [unrolled: 1-line block ×4, first 2 shown]
	v_mov_b32_e32 v34, v38
	v_mov_b32_e32 v40, v38
	;; [unrolled: 1-line block ×3, first 2 shown]
	v_dual_mov_b32 v42, v38 :: v_dual_mov_b32 v33, v39
	v_dual_mov_b32 v35, v39 :: v_dual_and_b32 v2, 3, v2
	v_mov_b32_e32 v37, v39
	s_delay_alu instid0(VALU_DEP_2)
	v_cmpx_ne_u32_e32 0, v2
	s_cbranch_execz .LBB56_23
; %bb.20:
	v_lshlrev_b64 v[4:5], 3, v[26:27]
	v_dual_mov_b32 v3, 0 :: v_dual_mov_b32 v36, 0
	v_dual_mov_b32 v37, 0 :: v_dual_lshlrev_b32 v2, 3, v2
	v_dual_mov_b32 v53, v27 :: v_dual_mov_b32 v52, v26
	s_delay_alu instid0(VALU_DEP_4)
	v_add_co_u32 v4, vcc_lo, s8, v4
	v_add_co_ci_u32_e32 v5, vcc_lo, s9, v5, vcc_lo
	v_dual_mov_b32 v51, v31 :: v_dual_mov_b32 v50, v30
	v_dual_mov_b32 v41, v37 :: v_dual_mov_b32 v40, v36
	;; [unrolled: 1-line block ×8, first 2 shown]
.LBB56_21:                              ; =>This Inner Loop Header: Depth=1
	global_load_b64 v[14:15], v[4:5], off
	s_clause 0x7
	global_load_b128 v[6:9], v[50:51], off offset:16
	global_load_b128 v[10:13], v[50:51], off
	global_load_b128 v[54:57], v[50:51], off offset:80
	global_load_b128 v[61:64], v[50:51], off offset:64
	;; [unrolled: 1-line block ×6, first 2 shown]
	v_add_co_u32 v4, s1, v4, 64
	s_delay_alu instid0(VALU_DEP_1) | instskip(SKIP_3) | instid1(VALU_DEP_1)
	v_add_co_ci_u32_e64 v5, s1, 0, v5, s1
	s_waitcnt vmcnt(8)
	v_sub_co_u32 v14, vcc_lo, v14, s12
	v_subrev_co_ci_u32_e32 v15, vcc_lo, s15, v15, vcc_lo
	v_lshlrev_b64 v[14:15], 6, v[14:15]
	s_waitcnt lgkmcnt(0)
	s_delay_alu instid0(VALU_DEP_1) | instskip(NEXT) | instid1(VALU_DEP_2)
	v_add_co_u32 v14, vcc_lo, s6, v14
	v_add_co_ci_u32_e32 v15, vcc_lo, s7, v15, vcc_lo
	s_clause 0x1
	global_load_b128 v[81:84], v[14:15], off
	global_load_b128 v[85:88], v[14:15], off offset:16
	s_clause 0x7
	global_load_b128 v[89:92], v[50:51], off offset:48
	global_load_b128 v[93:96], v[50:51], off offset:32
	;; [unrolled: 1-line block ×8, first 2 shown]
	s_clause 0x1
	global_load_b128 v[121:124], v[14:15], off offset:32
	global_load_b128 v[125:128], v[14:15], off offset:48
	v_add_co_u32 v50, vcc_lo, 0x800, v50
	v_add_co_ci_u32_e32 v51, vcc_lo, 0, v51, vcc_lo
	v_add_co_u32 v2, vcc_lo, v2, -8
	v_add_co_ci_u32_e32 v3, vcc_lo, -1, v3, vcc_lo
	v_add_co_u32 v52, vcc_lo, v52, 8
	v_add_co_ci_u32_e32 v53, vcc_lo, 0, v53, vcc_lo
	s_delay_alu instid0(VALU_DEP_3)
	v_cmp_eq_u64_e32 vcc_lo, 0, v[2:3]
	s_or_b32 s10, vcc_lo, s10
	s_waitcnt vmcnt(11)
	v_fma_f64 v[14:15], v[10:11], v[81:82], v[40:41]
	v_fma_f64 v[36:37], v[12:13], v[81:82], v[36:37]
	v_fma_f64 v[40:41], v[61:62], v[81:82], v[46:47]
	v_fma_f64 v[38:39], v[63:64], v[81:82], v[38:39]
	v_fma_f64 v[42:43], v[69:70], v[81:82], v[42:43]
	v_fma_f64 v[44:45], v[71:72], v[81:82], v[44:45]
	v_fma_f64 v[34:35], v[77:78], v[81:82], v[34:35]
	v_fma_f64 v[32:33], v[79:80], v[81:82], v[32:33]
	v_fma_f64 v[12:13], -v[12:13], v[83:84], v[14:15]
	v_fma_f64 v[10:11], v[10:11], v[83:84], v[36:37]
	v_fma_f64 v[14:15], -v[63:64], v[83:84], v[40:41]
	v_fma_f64 v[36:37], v[61:62], v[83:84], v[38:39]
	v_fma_f64 v[38:39], -v[71:72], v[83:84], v[42:43]
	v_fma_f64 v[40:41], v[69:70], v[83:84], v[44:45]
	v_fma_f64 v[34:35], -v[79:80], v[83:84], v[34:35]
	v_fma_f64 v[32:33], v[77:78], v[83:84], v[32:33]
	s_waitcnt vmcnt(10)
	v_fma_f64 v[12:13], v[6:7], v[85:86], v[12:13]
	v_fma_f64 v[10:11], v[8:9], v[85:86], v[10:11]
	v_fma_f64 v[14:15], v[54:55], v[85:86], v[14:15]
	v_fma_f64 v[36:37], v[56:57], v[85:86], v[36:37]
	v_fma_f64 v[38:39], v[65:66], v[85:86], v[38:39]
	v_fma_f64 v[40:41], v[67:68], v[85:86], v[40:41]
	v_fma_f64 v[34:35], v[73:74], v[85:86], v[34:35]
	v_fma_f64 v[32:33], v[75:76], v[85:86], v[32:33]
	v_fma_f64 v[8:9], -v[8:9], v[87:88], v[12:13]
	v_fma_f64 v[6:7], v[6:7], v[87:88], v[10:11]
	v_fma_f64 v[10:11], -v[56:57], v[87:88], v[14:15]
	v_fma_f64 v[12:13], v[54:55], v[87:88], v[36:37]
	v_fma_f64 v[14:15], -v[67:68], v[87:88], v[38:39]
	v_fma_f64 v[36:37], v[65:66], v[87:88], v[40:41]
	v_fma_f64 v[34:35], -v[75:76], v[87:88], v[34:35]
	v_fma_f64 v[32:33], v[73:74], v[87:88], v[32:33]
	;; [unrolled: 17-line block ×4, first 2 shown]
	s_and_not1_b32 exec_lo, exec_lo, s10
	s_cbranch_execnz .LBB56_21
; %bb.22:
	s_or_b32 exec_lo, exec_lo, s10
.LBB56_23:
	s_delay_alu instid0(SALU_CYCLE_1) | instskip(NEXT) | instid1(SALU_CYCLE_1)
	s_or_b32 exec_lo, exec_lo, s4
	s_mov_b32 s10, exec_lo
	v_cmpx_lt_u64_e32 23, v[0:1]
	s_cbranch_execz .LBB56_27
; %bb.24:
	v_lshlrev_b64 v[0:1], 3, v[52:53]
	s_mov_b32 s11, 0
	s_delay_alu instid0(VALU_DEP_1) | instskip(NEXT) | instid1(VALU_DEP_2)
	v_add_co_u32 v0, vcc_lo, v0, s8
	v_add_co_ci_u32_e32 v1, vcc_lo, s9, v1, vcc_lo
	s_delay_alu instid0(VALU_DEP_2) | instskip(NEXT) | instid1(VALU_DEP_2)
	v_add_co_u32 v54, vcc_lo, 0x80, v0
	v_add_co_ci_u32_e32 v55, vcc_lo, 0, v1, vcc_lo
.LBB56_25:                              ; =>This Inner Loop Header: Depth=1
	s_clause 0x1
	global_load_b64 v[56:57], v[54:55], off offset:-128
	global_load_b64 v[58:59], v[54:55], off offset:-64
	s_clause 0x3
	global_load_b128 v[0:3], v[50:51], off
	global_load_b128 v[4:7], v[50:51], off offset:64
	global_load_b128 v[8:11], v[50:51], off offset:128
	;; [unrolled: 1-line block ×3, first 2 shown]
	s_waitcnt vmcnt(5)
	v_sub_co_u32 v56, vcc_lo, v56, s12
	v_subrev_co_ci_u32_e32 v57, vcc_lo, s15, v57, vcc_lo
	s_delay_alu instid0(VALU_DEP_1) | instskip(SKIP_1) | instid1(VALU_DEP_1)
	v_lshlrev_b64 v[56:57], 6, v[56:57]
	s_waitcnt lgkmcnt(0)
	v_add_co_u32 v56, vcc_lo, s6, v56
	s_delay_alu instid0(VALU_DEP_2)
	v_add_co_ci_u32_e32 v57, vcc_lo, s7, v57, vcc_lo
	global_load_b128 v[61:64], v[56:57], off
	s_clause 0x3
	global_load_b128 v[65:68], v[50:51], off offset:16
	global_load_b128 v[69:72], v[50:51], off offset:80
	global_load_b128 v[73:76], v[50:51], off offset:144
	global_load_b128 v[77:80], v[50:51], off offset:208
	global_load_b128 v[81:84], v[56:57], off offset:16
	s_clause 0x3
	global_load_b128 v[85:88], v[50:51], off offset:32
	global_load_b128 v[89:92], v[50:51], off offset:96
	global_load_b128 v[93:96], v[50:51], off offset:160
	global_load_b128 v[97:100], v[50:51], off offset:224
	global_load_b128 v[101:104], v[56:57], off offset:32
	;; [unrolled: 6-line block ×3, first 2 shown]
	global_load_b64 v[141:142], v[54:55], off
	s_clause 0x3
	global_load_b128 v[125:128], v[50:51], off offset:2048
	global_load_b128 v[129:132], v[50:51], off offset:2112
	global_load_b128 v[133:136], v[50:51], off offset:2176
	global_load_b128 v[137:140], v[50:51], off offset:2240
	s_waitcnt vmcnt(25)
	v_sub_co_u32 v56, vcc_lo, v58, s12
	v_subrev_co_ci_u32_e32 v57, vcc_lo, s15, v59, vcc_lo
	s_delay_alu instid0(VALU_DEP_1) | instskip(NEXT) | instid1(VALU_DEP_1)
	v_lshlrev_b64 v[56:57], 6, v[56:57]
	v_add_co_u32 v143, vcc_lo, s6, v56
	s_delay_alu instid0(VALU_DEP_2)
	v_add_co_ci_u32_e32 v144, vcc_lo, s7, v57, vcc_lo
	v_add_co_u32 v159, vcc_lo, 0x1000, v50
	v_add_co_ci_u32_e32 v160, vcc_lo, 0, v51, vcc_lo
	global_load_b128 v[56:59], v[143:144], off
	s_waitcnt vmcnt(21)
	v_fma_f64 v[40:41], v[0:1], v[61:62], v[40:41]
	v_fma_f64 v[36:37], v[2:3], v[61:62], v[36:37]
	;; [unrolled: 1-line block ×8, first 2 shown]
	s_waitcnt vmcnt(5)
	v_sub_co_u32 v141, vcc_lo, v141, s12
	v_subrev_co_ci_u32_e32 v142, vcc_lo, s15, v142, vcc_lo
	v_fma_f64 v[40:41], -v[2:3], v[63:64], v[40:41]
	v_fma_f64 v[36:37], v[0:1], v[63:64], v[36:37]
	v_fma_f64 v[46:47], -v[6:7], v[63:64], v[46:47]
	v_fma_f64 v[38:39], v[4:5], v[63:64], v[38:39]
	;; [unrolled: 2-line block ×4, first 2 shown]
	s_clause 0x3
	global_load_b128 v[0:3], v[50:51], off offset:2064
	global_load_b128 v[4:7], v[50:51], off offset:2128
	;; [unrolled: 1-line block ×5, first 2 shown]
	v_fma_f64 v[40:41], v[65:66], v[81:82], v[40:41]
	v_fma_f64 v[36:37], v[67:68], v[81:82], v[36:37]
	;; [unrolled: 1-line block ×8, first 2 shown]
	v_fma_f64 v[81:82], -v[67:68], v[83:84], v[40:41]
	v_fma_f64 v[145:146], v[65:66], v[83:84], v[36:37]
	v_fma_f64 v[71:72], -v[71:72], v[83:84], v[46:47]
	v_fma_f64 v[69:70], v[69:70], v[83:84], v[38:39]
	;; [unrolled: 2-line block ×4, first 2 shown]
	s_clause 0x3
	global_load_b128 v[36:39], v[50:51], off offset:2080
	global_load_b128 v[40:43], v[50:51], off offset:2144
	;; [unrolled: 1-line block ×5, first 2 shown]
	v_fma_f64 v[81:82], v[85:86], v[101:102], v[81:82]
	v_fma_f64 v[83:84], v[87:88], v[101:102], v[145:146]
	;; [unrolled: 1-line block ×8, first 2 shown]
	v_fma_f64 v[101:102], -v[87:88], v[103:104], v[81:82]
	v_fma_f64 v[145:146], v[85:86], v[103:104], v[83:84]
	v_fma_f64 v[91:92], -v[91:92], v[103:104], v[71:72]
	v_fma_f64 v[89:90], v[89:90], v[103:104], v[69:70]
	;; [unrolled: 2-line block ×4, first 2 shown]
	s_clause 0x3
	global_load_b128 v[69:72], v[50:51], off offset:2096
	global_load_b128 v[73:76], v[50:51], off offset:2160
	;; [unrolled: 1-line block ×5, first 2 shown]
	global_load_b64 v[157:158], v[54:55], off offset:64
	v_add_co_u32 v50, s1, 0x2000, v50
	v_fma_f64 v[143:144], v[105:106], v[121:122], v[101:102]
	v_fma_f64 v[145:146], v[107:108], v[121:122], v[145:146]
	v_fma_f64 v[147:148], v[109:110], v[121:122], v[91:92]
	v_fma_f64 v[149:150], v[111:112], v[121:122], v[89:90]
	v_fma_f64 v[151:152], v[113:114], v[121:122], v[95:96]
	v_fma_f64 v[153:154], v[115:116], v[121:122], v[93:94]
	v_fma_f64 v[155:156], v[117:118], v[121:122], v[99:100]
	v_fma_f64 v[121:122], v[119:120], v[121:122], v[97:98]
	s_clause 0x3
	global_load_b128 v[89:92], v[159:160], off
	global_load_b128 v[93:96], v[159:160], off offset:64
	global_load_b128 v[97:100], v[159:160], off offset:128
	;; [unrolled: 1-line block ×3, first 2 shown]
	v_fma_f64 v[143:144], -v[107:108], v[123:124], v[143:144]
	v_fma_f64 v[145:146], v[105:106], v[123:124], v[145:146]
	v_fma_f64 v[111:112], -v[111:112], v[123:124], v[147:148]
	v_fma_f64 v[109:110], v[109:110], v[123:124], v[149:150]
	;; [unrolled: 2-line block ×4, first 2 shown]
	v_lshlrev_b64 v[105:106], 6, v[141:142]
	s_delay_alu instid0(VALU_DEP_1) | instskip(NEXT) | instid1(VALU_DEP_2)
	v_add_co_u32 v141, vcc_lo, s6, v105
	v_add_co_ci_u32_e32 v142, vcc_lo, s7, v106, vcc_lo
	global_load_b128 v[105:108], v[141:142], off
	s_waitcnt vmcnt(21)
	v_fma_f64 v[121:122], v[125:126], v[56:57], v[143:144]
	v_fma_f64 v[123:124], v[127:128], v[56:57], v[145:146]
	v_fma_f64 v[111:112], v[129:130], v[56:57], v[111:112]
	v_fma_f64 v[109:110], v[131:132], v[56:57], v[109:110]
	v_fma_f64 v[115:116], v[133:134], v[56:57], v[115:116]
	v_fma_f64 v[113:114], v[135:136], v[56:57], v[113:114]
	v_fma_f64 v[119:120], v[137:138], v[56:57], v[119:120]
	v_fma_f64 v[56:57], v[139:140], v[56:57], v[117:118]
	v_fma_f64 v[127:128], -v[127:128], v[58:59], v[121:122]
	v_fma_f64 v[125:126], v[125:126], v[58:59], v[123:124]
	v_fma_f64 v[131:132], -v[131:132], v[58:59], v[111:112]
	v_fma_f64 v[129:130], v[129:130], v[58:59], v[109:110]
	v_fma_f64 v[135:136], -v[135:136], v[58:59], v[115:116]
	v_fma_f64 v[133:134], v[133:134], v[58:59], v[113:114]
	v_fma_f64 v[139:140], -v[139:140], v[58:59], v[119:120]
	v_fma_f64 v[137:138], v[137:138], v[58:59], v[56:57]
	s_clause 0x3
	global_load_b128 v[56:59], v[159:160], off offset:80
	global_load_b128 v[109:112], v[159:160], off offset:144
	global_load_b128 v[113:116], v[159:160], off offset:208
	global_load_b128 v[117:120], v[159:160], off offset:16
	global_load_b128 v[121:124], v[141:142], off offset:16
	s_waitcnt vmcnt(21)
	v_fma_f64 v[127:128], v[0:1], v[32:33], v[127:128]
	v_fma_f64 v[125:126], v[2:3], v[32:33], v[125:126]
	v_fma_f64 v[131:132], v[4:5], v[32:33], v[131:132]
	v_fma_f64 v[129:130], v[6:7], v[32:33], v[129:130]
	v_fma_f64 v[135:136], v[8:9], v[32:33], v[135:136]
	v_fma_f64 v[133:134], v[10:11], v[32:33], v[133:134]
	v_fma_f64 v[139:140], v[12:13], v[32:33], v[139:140]
	v_fma_f64 v[32:33], v[14:15], v[32:33], v[137:138]
	v_fma_f64 v[127:128], -v[2:3], v[34:35], v[127:128]
	v_fma_f64 v[125:126], v[0:1], v[34:35], v[125:126]
	v_fma_f64 v[131:132], -v[6:7], v[34:35], v[131:132]
	v_fma_f64 v[129:130], v[4:5], v[34:35], v[129:130]
	v_fma_f64 v[135:136], -v[10:11], v[34:35], v[135:136]
	v_fma_f64 v[133:134], v[8:9], v[34:35], v[133:134]
	v_fma_f64 v[137:138], -v[14:15], v[34:35], v[139:140]
	v_fma_f64 v[139:140], v[12:13], v[34:35], v[32:33]
	s_clause 0x3
	global_load_b128 v[0:3], v[159:160], off offset:32
	global_load_b128 v[4:7], v[159:160], off offset:96
	global_load_b128 v[8:11], v[159:160], off offset:160
	global_load_b128 v[12:15], v[159:160], off offset:224
	global_load_b128 v[32:35], v[141:142], off offset:32
	s_waitcnt vmcnt(21)
	v_fma_f64 v[127:128], v[36:37], v[65:66], v[127:128]
	v_fma_f64 v[125:126], v[38:39], v[65:66], v[125:126]
	v_fma_f64 v[131:132], v[40:41], v[65:66], v[131:132]
	v_fma_f64 v[129:130], v[42:43], v[65:66], v[129:130]
	v_fma_f64 v[135:136], v[44:45], v[65:66], v[135:136]
	v_fma_f64 v[133:134], v[46:47], v[65:66], v[133:134]
	v_fma_f64 v[137:138], v[61:62], v[65:66], v[137:138]
	v_fma_f64 v[65:66], v[63:64], v[65:66], v[139:140]
	v_fma_f64 v[127:128], -v[38:39], v[67:68], v[127:128]
	v_fma_f64 v[125:126], v[36:37], v[67:68], v[125:126]
	v_fma_f64 v[131:132], -v[42:43], v[67:68], v[131:132]
	v_fma_f64 v[129:130], v[40:41], v[67:68], v[129:130]
	v_fma_f64 v[135:136], -v[46:47], v[67:68], v[135:136]
	v_fma_f64 v[133:134], v[44:45], v[67:68], v[133:134]
	v_fma_f64 v[137:138], -v[63:64], v[67:68], v[137:138]
	v_fma_f64 v[139:140], v[61:62], v[67:68], v[65:66]
	s_clause 0x3
	global_load_b128 v[36:39], v[159:160], off offset:48
	global_load_b128 v[40:43], v[159:160], off offset:112
	global_load_b128 v[44:47], v[159:160], off offset:176
	global_load_b128 v[61:64], v[159:160], off offset:240
	global_load_b128 v[65:68], v[141:142], off offset:48
	s_waitcnt vmcnt(20)
	v_sub_co_u32 v155, vcc_lo, v157, s12
	v_subrev_co_ci_u32_e32 v156, vcc_lo, s15, v158, vcc_lo
	v_fma_f64 v[141:142], v[69:70], v[85:86], v[127:128]
	v_fma_f64 v[143:144], v[71:72], v[85:86], v[125:126]
	;; [unrolled: 1-line block ×8, first 2 shown]
	s_clause 0x3
	global_load_b128 v[125:128], v[159:160], off offset:2048
	global_load_b128 v[129:132], v[159:160], off offset:2112
	;; [unrolled: 1-line block ×4, first 2 shown]
	v_fma_f64 v[141:142], -v[71:72], v[87:88], v[141:142]
	v_fma_f64 v[143:144], v[69:70], v[87:88], v[143:144]
	v_fma_f64 v[75:76], -v[75:76], v[87:88], v[145:146]
	v_fma_f64 v[73:74], v[73:74], v[87:88], v[147:148]
	;; [unrolled: 2-line block ×4, first 2 shown]
	v_lshlrev_b64 v[69:70], 6, v[155:156]
	s_delay_alu instid0(VALU_DEP_1) | instskip(NEXT) | instid1(VALU_DEP_2)
	v_add_co_u32 v145, vcc_lo, s6, v69
	v_add_co_ci_u32_e32 v146, vcc_lo, s7, v70, vcc_lo
	v_add_co_u32 v52, vcc_lo, v52, 32
	v_add_co_ci_u32_e32 v53, vcc_lo, 0, v53, vcc_lo
	global_load_b128 v[69:72], v[145:146], off
	v_add_co_u32 v54, vcc_lo, 0x100, v54
	v_cmp_ge_i64_e64 s4, v[52:53], v[28:29]
	v_add_co_ci_u32_e32 v55, vcc_lo, 0, v55, vcc_lo
	v_add_co_ci_u32_e64 v51, vcc_lo, 0, v51, s1
	s_delay_alu instid0(VALU_DEP_3)
	s_or_b32 s11, s4, s11
	s_waitcnt vmcnt(20)
	v_fma_f64 v[85:86], v[89:90], v[105:106], v[141:142]
	v_fma_f64 v[87:88], v[91:92], v[105:106], v[143:144]
	v_fma_f64 v[75:76], v[93:94], v[105:106], v[75:76]
	v_fma_f64 v[73:74], v[95:96], v[105:106], v[73:74]
	v_fma_f64 v[79:80], v[97:98], v[105:106], v[79:80]
	v_fma_f64 v[77:78], v[99:100], v[105:106], v[77:78]
	v_fma_f64 v[83:84], v[101:102], v[105:106], v[83:84]
	v_fma_f64 v[81:82], v[103:104], v[105:106], v[81:82]
	v_fma_f64 v[105:106], -v[91:92], v[107:108], v[85:86]
	v_fma_f64 v[141:142], v[89:90], v[107:108], v[87:88]
	v_fma_f64 v[95:96], -v[95:96], v[107:108], v[75:76]
	v_fma_f64 v[93:94], v[93:94], v[107:108], v[73:74]
	v_fma_f64 v[99:100], -v[99:100], v[107:108], v[79:80]
	v_fma_f64 v[97:98], v[97:98], v[107:108], v[77:78]
	v_fma_f64 v[103:104], -v[103:104], v[107:108], v[83:84]
	v_fma_f64 v[101:102], v[101:102], v[107:108], v[81:82]
	s_clause 0x3
	global_load_b128 v[73:76], v[159:160], off offset:2064
	global_load_b128 v[77:80], v[159:160], off offset:2128
	global_load_b128 v[81:84], v[159:160], off offset:2192
	global_load_b128 v[85:88], v[159:160], off offset:2256
	global_load_b128 v[89:92], v[145:146], off offset:16
	s_waitcnt vmcnt(20)
	v_fma_f64 v[105:106], v[117:118], v[121:122], v[105:106]
	v_fma_f64 v[107:108], v[119:120], v[121:122], v[141:142]
	v_fma_f64 v[95:96], v[56:57], v[121:122], v[95:96]
	v_fma_f64 v[93:94], v[58:59], v[121:122], v[93:94]
	v_fma_f64 v[99:100], v[109:110], v[121:122], v[99:100]
	v_fma_f64 v[97:98], v[111:112], v[121:122], v[97:98]
	v_fma_f64 v[103:104], v[113:114], v[121:122], v[103:104]
	v_fma_f64 v[101:102], v[115:116], v[121:122], v[101:102]
	v_fma_f64 v[119:120], -v[119:120], v[123:124], v[105:106]
	v_fma_f64 v[117:118], v[117:118], v[123:124], v[107:108]
	v_fma_f64 v[121:122], -v[58:59], v[123:124], v[95:96]
	v_fma_f64 v[141:142], v[56:57], v[123:124], v[93:94]
	v_fma_f64 v[111:112], -v[111:112], v[123:124], v[99:100]
	v_fma_f64 v[109:110], v[109:110], v[123:124], v[97:98]
	v_fma_f64 v[115:116], -v[115:116], v[123:124], v[103:104]
	v_fma_f64 v[113:114], v[113:114], v[123:124], v[101:102]
	s_clause 0x3
	global_load_b128 v[56:59], v[159:160], off offset:2080
	global_load_b128 v[93:96], v[159:160], off offset:2144
	global_load_b128 v[97:100], v[159:160], off offset:2208
	global_load_b128 v[101:104], v[159:160], off offset:2272
	global_load_b128 v[105:108], v[145:146], off offset:32
	;; [unrolled: 23-line block ×3, first 2 shown]
	s_waitcnt vmcnt(20)
	v_fma_f64 v[34:35], v[36:37], v[65:66], v[113:114]
	v_fma_f64 v[113:114], v[38:39], v[65:66], v[117:118]
	v_fma_f64 v[117:118], v[40:41], v[65:66], v[119:120]
	v_fma_f64 v[119:120], v[42:43], v[65:66], v[121:122]
	v_fma_f64 v[121:122], v[44:45], v[65:66], v[123:124]
	v_fma_f64 v[123:124], v[46:47], v[65:66], v[141:142]
	v_fma_f64 v[115:116], v[61:62], v[65:66], v[115:116]
	v_fma_f64 v[32:33], v[63:64], v[65:66], v[32:33]
	v_fma_f64 v[34:35], -v[38:39], v[67:68], v[34:35]
	v_fma_f64 v[36:37], v[36:37], v[67:68], v[113:114]
	v_fma_f64 v[38:39], -v[42:43], v[67:68], v[117:118]
	v_fma_f64 v[40:41], v[40:41], v[67:68], v[119:120]
	v_fma_f64 v[42:43], -v[46:47], v[67:68], v[121:122]
	v_fma_f64 v[44:45], v[44:45], v[67:68], v[123:124]
	v_fma_f64 v[46:47], -v[63:64], v[67:68], v[115:116]
	v_fma_f64 v[32:33], v[61:62], v[67:68], v[32:33]
	s_waitcnt vmcnt(15)
	v_fma_f64 v[34:35], v[125:126], v[69:70], v[34:35]
	v_fma_f64 v[36:37], v[127:128], v[69:70], v[36:37]
	v_fma_f64 v[38:39], v[129:130], v[69:70], v[38:39]
	v_fma_f64 v[40:41], v[131:132], v[69:70], v[40:41]
	v_fma_f64 v[42:43], v[133:134], v[69:70], v[42:43]
	v_fma_f64 v[44:45], v[135:136], v[69:70], v[44:45]
	v_fma_f64 v[46:47], v[137:138], v[69:70], v[46:47]
	v_fma_f64 v[32:33], v[139:140], v[69:70], v[32:33]
	v_fma_f64 v[34:35], -v[127:128], v[71:72], v[34:35]
	v_fma_f64 v[36:37], v[125:126], v[71:72], v[36:37]
	v_fma_f64 v[38:39], -v[131:132], v[71:72], v[38:39]
	v_fma_f64 v[40:41], v[129:130], v[71:72], v[40:41]
	v_fma_f64 v[42:43], -v[135:136], v[71:72], v[42:43]
	v_fma_f64 v[44:45], v[133:134], v[71:72], v[44:45]
	v_fma_f64 v[46:47], -v[139:140], v[71:72], v[46:47]
	v_fma_f64 v[32:33], v[137:138], v[71:72], v[32:33]
	;; [unrolled: 17-line block ×5, first 2 shown]
	s_and_not1_b32 exec_lo, exec_lo, s11
	s_cbranch_execnz .LBB56_25
; %bb.26:
	s_or_b32 exec_lo, exec_lo, s11
.LBB56_27:
	s_delay_alu instid0(SALU_CYCLE_1)
	s_or_b32 exec_lo, exec_lo, s10
.LBB56_28:
	s_delay_alu instid0(SALU_CYCLE_1)
	s_or_b32 exec_lo, exec_lo, s5
	s_cbranch_execz .LBB56_30
	s_branch .LBB56_41
.LBB56_29:
                                        ; implicit-def: $vgpr36_vgpr37
                                        ; implicit-def: $vgpr40_vgpr41
                                        ; implicit-def: $vgpr34_vgpr35
                                        ; implicit-def: $vgpr32_vgpr33
                                        ; implicit-def: $vgpr42_vgpr43
                                        ; implicit-def: $vgpr44_vgpr45
                                        ; implicit-def: $vgpr46_vgpr47
                                        ; implicit-def: $vgpr38_vgpr39
.LBB56_30:
	v_mov_b32_e32 v36, 0
	v_mov_b32_e32 v37, 0
	s_delay_alu instid0(VALU_DEP_2) | instskip(NEXT) | instid1(VALU_DEP_2)
	v_mov_b32_e32 v34, v36
	v_dual_mov_b32 v32, v36 :: v_dual_mov_b32 v33, v37
	v_dual_mov_b32 v41, v37 :: v_dual_mov_b32 v40, v36
	v_mov_b32_e32 v35, v37
	v_dual_mov_b32 v43, v37 :: v_dual_mov_b32 v42, v36
	v_dual_mov_b32 v45, v37 :: v_dual_mov_b32 v44, v36
	;; [unrolled: 1-line block ×4, first 2 shown]
	s_and_saveexec_b32 s1, s0
	s_cbranch_execz .LBB56_40
; %bb.31:
	v_or_b32_e32 v0, 8, v60
	v_not_b32_e32 v3, v48
	v_not_b32_e32 v2, v49
	v_mov_b32_e32 v38, 0
	s_mov_b32 s5, 0
	v_sub_co_u32 v0, s0, v0, s12
	s_delay_alu instid0(VALU_DEP_1) | instskip(SKIP_1) | instid1(VALU_DEP_3)
	v_sub_co_ci_u32_e64 v1, null, 0, s15, s0
	v_sub_co_u32 v4, s0, s12, v60
	v_add_co_u32 v0, vcc_lo, v0, v48
	s_delay_alu instid0(VALU_DEP_3) | instskip(SKIP_2) | instid1(VALU_DEP_2)
	v_add_co_ci_u32_e32 v1, vcc_lo, v1, v49, vcc_lo
	v_sub_co_ci_u32_e64 v5, null, s15, 0, s0
	s_mov_b32 s4, exec_lo
	v_cmp_gt_i64_e32 vcc_lo, v[0:1], v[28:29]
	v_dual_cndmask_b32 v1, v29, v1 :: v_dual_cndmask_b32 v0, v28, v0
	v_add_co_u32 v3, vcc_lo, v4, v3
	v_add_co_ci_u32_e32 v2, vcc_lo, v5, v2, vcc_lo
	s_delay_alu instid0(VALU_DEP_2) | instskip(NEXT) | instid1(VALU_DEP_2)
	v_add_co_u32 v0, vcc_lo, v3, v0
	v_add_co_ci_u32_e32 v1, vcc_lo, v2, v1, vcc_lo
	s_delay_alu instid0(VALU_DEP_2) | instskip(NEXT) | instid1(VALU_DEP_1)
	v_lshrrev_b32_e32 v2, 3, v0
	v_dual_mov_b32 v39, 0 :: v_dual_add_nc_u32 v2, 1, v2
	s_delay_alu instid0(VALU_DEP_1) | instskip(SKIP_1) | instid1(VALU_DEP_3)
	v_dual_mov_b32 v32, v38 :: v_dual_mov_b32 v43, v39
	v_dual_mov_b32 v34, v38 :: v_dual_mov_b32 v41, v39
	v_and_b32_e32 v2, 3, v2
	v_dual_mov_b32 v36, v38 :: v_dual_mov_b32 v47, v39
	v_dual_mov_b32 v46, v38 :: v_dual_mov_b32 v45, v39
	v_mov_b32_e32 v44, v38
	v_dual_mov_b32 v42, v38 :: v_dual_mov_b32 v33, v39
	v_dual_mov_b32 v35, v39 :: v_dual_mov_b32 v40, v38
	v_mov_b32_e32 v37, v39
	v_cmpx_ne_u32_e32 0, v2
	s_cbranch_execz .LBB56_35
; %bb.32:
	v_lshlrev_b64 v[4:5], 3, v[26:27]
	v_dual_mov_b32 v3, 0 :: v_dual_mov_b32 v36, 0
	v_dual_mov_b32 v37, 0 :: v_dual_lshlrev_b32 v2, 3, v2
	s_delay_alu instid0(VALU_DEP_2) | instskip(NEXT) | instid1(VALU_DEP_4)
	v_mov_b32_e32 v34, v36
	v_add_co_u32 v4, vcc_lo, s8, v4
	s_delay_alu instid0(VALU_DEP_3)
	v_mov_b32_e32 v35, v37
	v_add_co_ci_u32_e32 v5, vcc_lo, s9, v5, vcc_lo
	v_dual_mov_b32 v41, v37 :: v_dual_mov_b32 v40, v36
	v_dual_mov_b32 v32, v36 :: v_dual_mov_b32 v33, v37
	;; [unrolled: 1-line block ×6, first 2 shown]
.LBB56_33:                              ; =>This Inner Loop Header: Depth=1
	global_load_b64 v[14:15], v[4:5], off
	s_clause 0x3
	global_load_b128 v[6:9], v[30:31], off offset:48
	global_load_b128 v[10:13], v[30:31], off offset:32
	;; [unrolled: 1-line block ×3, first 2 shown]
	global_load_b128 v[52:55], v[30:31], off
	v_add_co_u32 v4, s0, v4, 64
	s_delay_alu instid0(VALU_DEP_1) | instskip(SKIP_3) | instid1(VALU_DEP_1)
	v_add_co_ci_u32_e64 v5, s0, 0, v5, s0
	s_waitcnt vmcnt(4)
	v_sub_co_u32 v14, vcc_lo, v14, s12
	v_subrev_co_ci_u32_e32 v15, vcc_lo, s15, v15, vcc_lo
	v_lshlrev_b64 v[14:15], 6, v[14:15]
	s_waitcnt lgkmcnt(0)
	s_delay_alu instid0(VALU_DEP_1) | instskip(NEXT) | instid1(VALU_DEP_2)
	v_add_co_u32 v14, vcc_lo, s6, v14
	v_add_co_ci_u32_e32 v15, vcc_lo, s7, v15, vcc_lo
	s_clause 0x1
	global_load_b128 v[56:59], v[14:15], off
	global_load_b128 v[61:64], v[14:15], off offset:16
	s_clause 0x7
	global_load_b128 v[65:68], v[30:31], off offset:64
	global_load_b128 v[69:72], v[30:31], off offset:80
	;; [unrolled: 1-line block ×8, first 2 shown]
	s_clause 0x1
	global_load_b128 v[97:100], v[14:15], off offset:32
	global_load_b128 v[101:104], v[14:15], off offset:48
	s_clause 0x3
	global_load_b128 v[105:108], v[30:31], off offset:192
	global_load_b128 v[109:112], v[30:31], off offset:208
	;; [unrolled: 1-line block ×4, first 2 shown]
	v_add_co_u32 v30, vcc_lo, 0x800, v30
	v_add_co_ci_u32_e32 v31, vcc_lo, 0, v31, vcc_lo
	v_add_co_u32 v2, vcc_lo, v2, -8
	v_add_co_ci_u32_e32 v3, vcc_lo, -1, v3, vcc_lo
	v_add_co_u32 v26, vcc_lo, v26, 8
	v_add_co_ci_u32_e32 v27, vcc_lo, 0, v27, vcc_lo
	s_delay_alu instid0(VALU_DEP_3)
	v_cmp_eq_u64_e32 vcc_lo, 0, v[2:3]
	s_or_b32 s5, vcc_lo, s5
	s_waitcnt vmcnt(15)
	v_fma_f64 v[14:15], v[52:53], v[56:57], v[40:41]
	v_fma_f64 v[36:37], v[54:55], v[56:57], v[36:37]
	;; [unrolled: 1-line block ×8, first 2 shown]
	v_fma_f64 v[14:15], -v[54:55], v[58:59], v[14:15]
	v_fma_f64 v[36:37], v[52:53], v[58:59], v[36:37]
	v_fma_f64 v[40:41], -v[50:51], v[58:59], v[40:41]
	v_fma_f64 v[38:39], v[48:49], v[58:59], v[38:39]
	;; [unrolled: 2-line block ×4, first 2 shown]
	s_waitcnt vmcnt(13)
	v_fma_f64 v[14:15], v[65:66], v[61:62], v[14:15]
	v_fma_f64 v[32:33], v[67:68], v[61:62], v[36:37]
	s_waitcnt vmcnt(12)
	v_fma_f64 v[34:35], v[69:70], v[61:62], v[40:41]
	v_fma_f64 v[36:37], v[71:72], v[61:62], v[38:39]
	;; [unrolled: 3-line block ×4, first 2 shown]
	v_fma_f64 v[14:15], -v[67:68], v[63:64], v[14:15]
	v_fma_f64 v[32:33], v[65:66], v[63:64], v[32:33]
	v_fma_f64 v[34:35], -v[71:72], v[63:64], v[34:35]
	v_fma_f64 v[36:37], v[69:70], v[63:64], v[36:37]
	;; [unrolled: 2-line block ×4, first 2 shown]
	s_waitcnt vmcnt(5)
	v_fma_f64 v[14:15], v[93:94], v[97:98], v[14:15]
	v_fma_f64 v[32:33], v[95:96], v[97:98], v[32:33]
	;; [unrolled: 1-line block ×8, first 2 shown]
	v_fma_f64 v[14:15], -v[95:96], v[99:100], v[14:15]
	v_fma_f64 v[32:33], v[93:94], v[99:100], v[32:33]
	v_fma_f64 v[34:35], -v[91:92], v[99:100], v[34:35]
	v_fma_f64 v[36:37], v[89:90], v[99:100], v[36:37]
	;; [unrolled: 2-line block ×4, first 2 shown]
	s_waitcnt vmcnt(3)
	v_fma_f64 v[14:15], v[105:106], v[101:102], v[14:15]
	v_fma_f64 v[32:33], v[107:108], v[101:102], v[32:33]
	s_waitcnt vmcnt(2)
	v_fma_f64 v[34:35], v[109:110], v[101:102], v[34:35]
	v_fma_f64 v[38:39], v[111:112], v[101:102], v[36:37]
	;; [unrolled: 3-line block ×4, first 2 shown]
	v_fma_f64 v[40:41], -v[107:108], v[103:104], v[14:15]
	v_fma_f64 v[36:37], v[105:106], v[103:104], v[32:33]
	v_fma_f64 v[46:47], -v[111:112], v[103:104], v[34:35]
	v_fma_f64 v[38:39], v[109:110], v[103:104], v[38:39]
	;; [unrolled: 2-line block ×4, first 2 shown]
	s_and_not1_b32 exec_lo, exec_lo, s5
	s_cbranch_execnz .LBB56_33
; %bb.34:
	s_or_b32 exec_lo, exec_lo, s5
.LBB56_35:
	s_delay_alu instid0(SALU_CYCLE_1) | instskip(NEXT) | instid1(SALU_CYCLE_1)
	s_or_b32 exec_lo, exec_lo, s4
	s_mov_b32 s4, exec_lo
	v_cmpx_lt_u64_e32 23, v[0:1]
	s_cbranch_execz .LBB56_39
; %bb.36:
	v_lshlrev_b64 v[0:1], 3, v[26:27]
	s_mov_b32 s5, 0
	s_delay_alu instid0(VALU_DEP_1) | instskip(NEXT) | instid1(VALU_DEP_2)
	v_add_co_u32 v0, vcc_lo, v0, s8
	v_add_co_ci_u32_e32 v1, vcc_lo, s9, v1, vcc_lo
	s_delay_alu instid0(VALU_DEP_2) | instskip(NEXT) | instid1(VALU_DEP_2)
	v_add_co_u32 v48, vcc_lo, 0x80, v0
	v_add_co_ci_u32_e32 v49, vcc_lo, 0, v1, vcc_lo
.LBB56_37:                              ; =>This Inner Loop Header: Depth=1
	s_clause 0x1
	global_load_b64 v[50:51], v[48:49], off offset:-128
	global_load_b64 v[52:53], v[48:49], off offset:-64
	s_clause 0x3
	global_load_b128 v[0:3], v[30:31], off offset:48
	global_load_b128 v[4:7], v[30:31], off offset:32
	;; [unrolled: 1-line block ×3, first 2 shown]
	global_load_b128 v[12:15], v[30:31], off
	s_clause 0x1
	global_load_b64 v[58:59], v[48:49], off
	global_load_b64 v[137:138], v[48:49], off offset:64
	s_waitcnt vmcnt(7)
	v_sub_co_u32 v50, vcc_lo, v50, s12
	v_subrev_co_ci_u32_e32 v51, vcc_lo, s15, v51, vcc_lo
	s_delay_alu instid0(VALU_DEP_1) | instskip(SKIP_1) | instid1(VALU_DEP_1)
	v_lshlrev_b64 v[50:51], 6, v[50:51]
	s_waitcnt lgkmcnt(0)
	v_add_co_u32 v50, vcc_lo, s6, v50
	s_delay_alu instid0(VALU_DEP_2)
	v_add_co_ci_u32_e32 v51, vcc_lo, s7, v51, vcc_lo
	global_load_b128 v[54:57], v[50:51], off
	s_clause 0x3
	global_load_b128 v[61:64], v[30:31], off offset:64
	global_load_b128 v[65:68], v[30:31], off offset:80
	global_load_b128 v[69:72], v[30:31], off offset:96
	global_load_b128 v[73:76], v[30:31], off offset:112
	global_load_b128 v[77:80], v[50:51], off offset:16
	s_clause 0x3
	global_load_b128 v[81:84], v[30:31], off offset:176
	global_load_b128 v[85:88], v[30:31], off offset:160
	global_load_b128 v[89:92], v[30:31], off offset:144
	global_load_b128 v[93:96], v[30:31], off offset:128
	global_load_b128 v[97:100], v[50:51], off offset:32
	;; [unrolled: 6-line block ×3, first 2 shown]
	s_clause 0x3
	global_load_b128 v[121:124], v[30:31], off offset:2096
	global_load_b128 v[125:128], v[30:31], off offset:2080
	;; [unrolled: 1-line block ×4, first 2 shown]
	s_waitcnt vmcnt(26)
	v_sub_co_u32 v50, vcc_lo, v52, s12
	v_subrev_co_ci_u32_e32 v51, vcc_lo, s15, v53, vcc_lo
	s_delay_alu instid0(VALU_DEP_1) | instskip(NEXT) | instid1(VALU_DEP_1)
	v_lshlrev_b64 v[50:51], 6, v[50:51]
	v_add_co_u32 v139, vcc_lo, s6, v50
	s_delay_alu instid0(VALU_DEP_2)
	v_add_co_ci_u32_e32 v140, vcc_lo, s7, v51, vcc_lo
	v_add_co_u32 v153, vcc_lo, 0x1000, v30
	v_add_co_ci_u32_e32 v154, vcc_lo, 0, v31, vcc_lo
	global_load_b128 v[50:53], v[139:140], off
	s_waitcnt vmcnt(22)
	v_sub_co_u32 v58, vcc_lo, v58, s12
	v_subrev_co_ci_u32_e32 v59, vcc_lo, s15, v59, vcc_lo
	s_delay_alu instid0(VALU_DEP_1) | instskip(NEXT) | instid1(VALU_DEP_1)
	v_lshlrev_b64 v[58:59], 6, v[58:59]
	v_add_co_u32 v58, vcc_lo, s6, v58
	s_delay_alu instid0(VALU_DEP_2)
	v_add_co_ci_u32_e32 v59, vcc_lo, s7, v59, vcc_lo
	s_waitcnt vmcnt(21)
	v_sub_co_u32 v137, vcc_lo, v137, s12
	v_subrev_co_ci_u32_e32 v138, vcc_lo, s15, v138, vcc_lo
	s_waitcnt vmcnt(20)
	v_fma_f64 v[40:41], v[12:13], v[54:55], v[40:41]
	v_fma_f64 v[36:37], v[14:15], v[54:55], v[36:37]
	v_fma_f64 v[46:47], v[8:9], v[54:55], v[46:47]
	v_fma_f64 v[38:39], v[10:11], v[54:55], v[38:39]
	v_fma_f64 v[42:43], v[4:5], v[54:55], v[42:43]
	v_fma_f64 v[44:45], v[6:7], v[54:55], v[44:45]
	v_fma_f64 v[34:35], v[0:1], v[54:55], v[34:35]
	v_fma_f64 v[32:33], v[2:3], v[54:55], v[32:33]
	v_fma_f64 v[40:41], -v[14:15], v[56:57], v[40:41]
	v_fma_f64 v[36:37], v[12:13], v[56:57], v[36:37]
	v_fma_f64 v[46:47], -v[10:11], v[56:57], v[46:47]
	v_fma_f64 v[38:39], v[8:9], v[56:57], v[38:39]
	v_fma_f64 v[42:43], -v[6:7], v[56:57], v[42:43]
	v_fma_f64 v[44:45], v[4:5], v[56:57], v[44:45]
	v_fma_f64 v[54:55], -v[2:3], v[56:57], v[34:35]
	v_fma_f64 v[56:57], v[0:1], v[56:57], v[32:33]
	s_clause 0x3
	global_load_b128 v[0:3], v[30:31], off offset:2112
	global_load_b128 v[4:7], v[30:31], off offset:2128
	global_load_b128 v[8:11], v[30:31], off offset:2144
	global_load_b128 v[12:15], v[30:31], off offset:2160
	global_load_b128 v[32:35], v[139:140], off offset:16
	s_waitcnt vmcnt(20)
	v_fma_f64 v[40:41], v[61:62], v[77:78], v[40:41]
	v_fma_f64 v[36:37], v[63:64], v[77:78], v[36:37]
	v_fma_f64 v[46:47], v[65:66], v[77:78], v[46:47]
	v_fma_f64 v[38:39], v[67:68], v[77:78], v[38:39]
	v_fma_f64 v[42:43], v[69:70], v[77:78], v[42:43]
	v_fma_f64 v[44:45], v[71:72], v[77:78], v[44:45]
	v_fma_f64 v[54:55], v[73:74], v[77:78], v[54:55]
	v_fma_f64 v[56:57], v[75:76], v[77:78], v[56:57]
	v_fma_f64 v[77:78], -v[63:64], v[79:80], v[40:41]
	v_fma_f64 v[141:142], v[61:62], v[79:80], v[36:37]
	v_fma_f64 v[67:68], -v[67:68], v[79:80], v[46:47]
	v_fma_f64 v[65:66], v[65:66], v[79:80], v[38:39]
	v_fma_f64 v[71:72], -v[71:72], v[79:80], v[42:43]
	v_fma_f64 v[69:70], v[69:70], v[79:80], v[44:45]
	v_fma_f64 v[75:76], -v[75:76], v[79:80], v[54:55]
	v_fma_f64 v[73:74], v[73:74], v[79:80], v[56:57]
	s_clause 0x3
	global_load_b128 v[36:39], v[30:31], off offset:2224
	global_load_b128 v[40:43], v[30:31], off offset:2208
	global_load_b128 v[44:47], v[30:31], off offset:2192
	global_load_b128 v[54:57], v[30:31], off offset:2176
	global_load_b128 v[61:64], v[139:140], off offset:32
	s_waitcnt vmcnt(20)
	v_fma_f64 v[77:78], v[93:94], v[97:98], v[77:78]
	v_fma_f64 v[79:80], v[95:96], v[97:98], v[141:142]
	v_fma_f64 v[67:68], v[89:90], v[97:98], v[67:68]
	v_fma_f64 v[65:66], v[91:92], v[97:98], v[65:66]
	v_fma_f64 v[71:72], v[85:86], v[97:98], v[71:72]
	v_fma_f64 v[69:70], v[87:88], v[97:98], v[69:70]
	v_fma_f64 v[75:76], v[81:82], v[97:98], v[75:76]
	v_fma_f64 v[73:74], v[83:84], v[97:98], v[73:74]
	v_fma_f64 v[95:96], -v[95:96], v[99:100], v[77:78]
	v_fma_f64 v[93:94], v[93:94], v[99:100], v[79:80]
	v_fma_f64 v[91:92], -v[91:92], v[99:100], v[67:68]
	v_fma_f64 v[89:90], v[89:90], v[99:100], v[65:66]
	v_fma_f64 v[87:88], -v[87:88], v[99:100], v[71:72]
	v_fma_f64 v[85:86], v[85:86], v[99:100], v[69:70]
	v_fma_f64 v[97:98], -v[83:84], v[99:100], v[75:76]
	v_fma_f64 v[99:100], v[81:82], v[99:100], v[73:74]
	s_clause 0x3
	global_load_b128 v[65:68], v[30:31], off offset:2240
	global_load_b128 v[69:72], v[30:31], off offset:2256
	global_load_b128 v[73:76], v[30:31], off offset:2272
	global_load_b128 v[77:80], v[30:31], off offset:2288
	global_load_b128 v[81:84], v[139:140], off offset:48
	v_add_co_u32 v30, s0, 0x2000, v30
	s_delay_alu instid0(VALU_DEP_1)
	v_add_co_ci_u32_e64 v31, s0, 0, v31, s0
	s_waitcnt vmcnt(20)
	v_fma_f64 v[139:140], v[101:102], v[117:118], v[95:96]
	v_fma_f64 v[141:142], v[103:104], v[117:118], v[93:94]
	;; [unrolled: 1-line block ×8, first 2 shown]
	s_clause 0x3
	global_load_b128 v[85:88], v[153:154], off offset:48
	global_load_b128 v[89:92], v[153:154], off offset:32
	global_load_b128 v[93:96], v[153:154], off
	global_load_b128 v[97:100], v[153:154], off offset:16
	v_fma_f64 v[139:140], -v[103:104], v[119:120], v[139:140]
	v_fma_f64 v[141:142], v[101:102], v[119:120], v[141:142]
	v_fma_f64 v[107:108], -v[107:108], v[119:120], v[143:144]
	v_fma_f64 v[105:106], v[105:106], v[119:120], v[145:146]
	;; [unrolled: 2-line block ×4, first 2 shown]
	global_load_b128 v[101:104], v[58:59], off
	s_waitcnt vmcnt(20)
	v_fma_f64 v[117:118], v[133:134], v[50:51], v[139:140]
	v_fma_f64 v[119:120], v[135:136], v[50:51], v[141:142]
	v_fma_f64 v[107:108], v[129:130], v[50:51], v[107:108]
	v_fma_f64 v[105:106], v[131:132], v[50:51], v[105:106]
	v_fma_f64 v[111:112], v[125:126], v[50:51], v[111:112]
	v_fma_f64 v[109:110], v[127:128], v[50:51], v[109:110]
	v_fma_f64 v[115:116], v[121:122], v[50:51], v[115:116]
	v_fma_f64 v[50:51], v[123:124], v[50:51], v[113:114]
	v_fma_f64 v[135:136], -v[135:136], v[52:53], v[117:118]
	v_fma_f64 v[133:134], v[133:134], v[52:53], v[119:120]
	v_fma_f64 v[131:132], -v[131:132], v[52:53], v[107:108]
	v_fma_f64 v[129:130], v[129:130], v[52:53], v[105:106]
	v_fma_f64 v[127:128], -v[127:128], v[52:53], v[111:112]
	v_fma_f64 v[125:126], v[125:126], v[52:53], v[109:110]
	v_fma_f64 v[123:124], -v[123:124], v[52:53], v[115:116]
	v_fma_f64 v[121:122], v[121:122], v[52:53], v[50:51]
	s_clause 0x3
	global_load_b128 v[50:53], v[153:154], off offset:64
	global_load_b128 v[105:108], v[153:154], off offset:80
	global_load_b128 v[109:112], v[153:154], off offset:96
	global_load_b128 v[113:116], v[153:154], off offset:112
	global_load_b128 v[117:120], v[58:59], off offset:16
	s_waitcnt vmcnt(20)
	v_fma_f64 v[135:136], v[0:1], v[32:33], v[135:136]
	v_fma_f64 v[133:134], v[2:3], v[32:33], v[133:134]
	v_fma_f64 v[131:132], v[4:5], v[32:33], v[131:132]
	v_fma_f64 v[129:130], v[6:7], v[32:33], v[129:130]
	v_fma_f64 v[127:128], v[8:9], v[32:33], v[127:128]
	v_fma_f64 v[125:126], v[10:11], v[32:33], v[125:126]
	v_fma_f64 v[123:124], v[12:13], v[32:33], v[123:124]
	v_fma_f64 v[32:33], v[14:15], v[32:33], v[121:122]
	v_fma_f64 v[121:122], -v[2:3], v[34:35], v[135:136]
	v_fma_f64 v[133:134], v[0:1], v[34:35], v[133:134]
	v_fma_f64 v[131:132], -v[6:7], v[34:35], v[131:132]
	v_fma_f64 v[129:130], v[4:5], v[34:35], v[129:130]
	v_fma_f64 v[127:128], -v[10:11], v[34:35], v[127:128]
	v_fma_f64 v[125:126], v[8:9], v[34:35], v[125:126]
	v_fma_f64 v[123:124], -v[14:15], v[34:35], v[123:124]
	v_fma_f64 v[135:136], v[12:13], v[34:35], v[32:33]
	s_clause 0x3
	global_load_b128 v[0:3], v[153:154], off offset:176
	global_load_b128 v[4:7], v[153:154], off offset:160
	global_load_b128 v[8:11], v[153:154], off offset:144
	global_load_b128 v[12:15], v[153:154], off offset:128
	global_load_b128 v[32:35], v[58:59], off offset:32
	;; [unrolled: 23-line block ×3, first 2 shown]
	s_waitcnt vmcnt(20)
	v_fma_f64 v[58:59], v[65:66], v[81:82], v[121:122]
	v_fma_f64 v[139:140], v[67:68], v[81:82], v[133:134]
	v_fma_f64 v[141:142], v[69:70], v[81:82], v[131:132]
	v_fma_f64 v[143:144], v[71:72], v[81:82], v[129:130]
	v_fma_f64 v[145:146], v[73:74], v[81:82], v[127:128]
	v_fma_f64 v[147:148], v[75:76], v[81:82], v[125:126]
	v_fma_f64 v[149:150], v[77:78], v[81:82], v[123:124]
	v_fma_f64 v[81:82], v[79:80], v[81:82], v[135:136]
	s_clause 0x3
	global_load_b128 v[121:124], v[153:154], off offset:2096
	global_load_b128 v[125:128], v[153:154], off offset:2080
	;; [unrolled: 1-line block ×4, first 2 shown]
	v_fma_f64 v[58:59], -v[67:68], v[83:84], v[58:59]
	v_fma_f64 v[139:140], v[65:66], v[83:84], v[139:140]
	v_fma_f64 v[71:72], -v[71:72], v[83:84], v[141:142]
	v_fma_f64 v[69:70], v[69:70], v[83:84], v[143:144]
	v_fma_f64 v[75:76], -v[75:76], v[83:84], v[145:146]
	v_fma_f64 v[73:74], v[73:74], v[83:84], v[147:148]
	v_fma_f64 v[79:80], -v[79:80], v[83:84], v[149:150]
	v_fma_f64 v[77:78], v[77:78], v[83:84], v[81:82]
	v_lshlrev_b64 v[65:66], 6, v[137:138]
	s_delay_alu instid0(VALU_DEP_1) | instskip(NEXT) | instid1(VALU_DEP_2)
	v_add_co_u32 v137, vcc_lo, s6, v65
	v_add_co_ci_u32_e32 v138, vcc_lo, s7, v66, vcc_lo
	v_add_co_u32 v26, vcc_lo, v26, 32
	v_add_co_ci_u32_e32 v27, vcc_lo, 0, v27, vcc_lo
	global_load_b128 v[65:68], v[137:138], off
	v_add_co_u32 v48, vcc_lo, 0x100, v48
	v_add_co_ci_u32_e32 v49, vcc_lo, 0, v49, vcc_lo
	v_cmp_ge_i64_e32 vcc_lo, v[26:27], v[28:29]
	s_or_b32 s5, vcc_lo, s5
	s_waitcnt vmcnt(20)
	v_fma_f64 v[58:59], v[93:94], v[101:102], v[58:59]
	v_fma_f64 v[81:82], v[95:96], v[101:102], v[139:140]
	v_fma_f64 v[71:72], v[97:98], v[101:102], v[71:72]
	v_fma_f64 v[69:70], v[99:100], v[101:102], v[69:70]
	v_fma_f64 v[75:76], v[89:90], v[101:102], v[75:76]
	v_fma_f64 v[73:74], v[91:92], v[101:102], v[73:74]
	v_fma_f64 v[79:80], v[85:86], v[101:102], v[79:80]
	v_fma_f64 v[77:78], v[87:88], v[101:102], v[77:78]
	v_fma_f64 v[58:59], -v[95:96], v[103:104], v[58:59]
	v_fma_f64 v[93:94], v[93:94], v[103:104], v[81:82]
	v_fma_f64 v[95:96], -v[99:100], v[103:104], v[71:72]
	v_fma_f64 v[97:98], v[97:98], v[103:104], v[69:70]
	v_fma_f64 v[91:92], -v[91:92], v[103:104], v[75:76]
	v_fma_f64 v[89:90], v[89:90], v[103:104], v[73:74]
	v_fma_f64 v[99:100], -v[87:88], v[103:104], v[79:80]
	v_fma_f64 v[101:102], v[85:86], v[103:104], v[77:78]
	s_clause 0x3
	global_load_b128 v[69:72], v[153:154], off offset:2112
	global_load_b128 v[73:76], v[153:154], off offset:2128
	global_load_b128 v[77:80], v[153:154], off offset:2144
	global_load_b128 v[81:84], v[153:154], off offset:2160
	global_load_b128 v[85:88], v[137:138], off offset:16
	s_waitcnt vmcnt(20)
	v_fma_f64 v[58:59], v[50:51], v[117:118], v[58:59]
	v_fma_f64 v[93:94], v[52:53], v[117:118], v[93:94]
	v_fma_f64 v[95:96], v[105:106], v[117:118], v[95:96]
	v_fma_f64 v[97:98], v[107:108], v[117:118], v[97:98]
	v_fma_f64 v[91:92], v[109:110], v[117:118], v[91:92]
	v_fma_f64 v[89:90], v[111:112], v[117:118], v[89:90]
	v_fma_f64 v[99:100], v[113:114], v[117:118], v[99:100]
	v_fma_f64 v[101:102], v[115:116], v[117:118], v[101:102]
	v_fma_f64 v[58:59], -v[52:53], v[119:120], v[58:59]
	v_fma_f64 v[117:118], v[50:51], v[119:120], v[93:94]
	v_fma_f64 v[107:108], -v[107:108], v[119:120], v[95:96]
	v_fma_f64 v[105:106], v[105:106], v[119:120], v[97:98]
	v_fma_f64 v[111:112], -v[111:112], v[119:120], v[91:92]
	v_fma_f64 v[109:110], v[109:110], v[119:120], v[89:90]
	v_fma_f64 v[115:116], -v[115:116], v[119:120], v[99:100]
	v_fma_f64 v[113:114], v[113:114], v[119:120], v[101:102]
	s_clause 0x3
	global_load_b128 v[50:53], v[153:154], off offset:2224
	global_load_b128 v[89:92], v[153:154], off offset:2208
	global_load_b128 v[93:96], v[153:154], off offset:2192
	global_load_b128 v[97:100], v[153:154], off offset:2176
	global_load_b128 v[101:104], v[137:138], off offset:32
	s_waitcnt vmcnt(20)
	v_fma_f64 v[58:59], v[12:13], v[32:33], v[58:59]
	v_fma_f64 v[117:118], v[14:15], v[32:33], v[117:118]
	v_fma_f64 v[107:108], v[8:9], v[32:33], v[107:108]
	v_fma_f64 v[105:106], v[10:11], v[32:33], v[105:106]
	v_fma_f64 v[111:112], v[4:5], v[32:33], v[111:112]
	v_fma_f64 v[109:110], v[6:7], v[32:33], v[109:110]
	v_fma_f64 v[115:116], v[0:1], v[32:33], v[115:116]
	v_fma_f64 v[32:33], v[2:3], v[32:33], v[113:114]
	v_fma_f64 v[58:59], -v[14:15], v[34:35], v[58:59]
	v_fma_f64 v[113:114], v[12:13], v[34:35], v[117:118]
	v_fma_f64 v[117:118], -v[10:11], v[34:35], v[107:108]
	v_fma_f64 v[119:120], v[8:9], v[34:35], v[105:106]
	v_fma_f64 v[111:112], -v[6:7], v[34:35], v[111:112]
	v_fma_f64 v[109:110], v[4:5], v[34:35], v[109:110]
	v_fma_f64 v[115:116], -v[2:3], v[34:35], v[115:116]
	v_fma_f64 v[32:33], v[0:1], v[34:35], v[32:33]
	s_clause 0x3
	global_load_b128 v[0:3], v[153:154], off offset:2240
	global_load_b128 v[4:7], v[153:154], off offset:2256
	global_load_b128 v[8:11], v[153:154], off offset:2272
	global_load_b128 v[12:15], v[153:154], off offset:2288
	global_load_b128 v[105:108], v[137:138], off offset:48
	s_waitcnt vmcnt(20)
	v_fma_f64 v[34:35], v[36:37], v[61:62], v[58:59]
	v_fma_f64 v[58:59], v[38:39], v[61:62], v[113:114]
	v_fma_f64 v[113:114], v[40:41], v[61:62], v[117:118]
	v_fma_f64 v[117:118], v[42:43], v[61:62], v[119:120]
	v_fma_f64 v[111:112], v[44:45], v[61:62], v[111:112]
	v_fma_f64 v[109:110], v[46:47], v[61:62], v[109:110]
	v_fma_f64 v[115:116], v[54:55], v[61:62], v[115:116]
	v_fma_f64 v[32:33], v[56:57], v[61:62], v[32:33]
	v_fma_f64 v[34:35], -v[38:39], v[63:64], v[34:35]
	v_fma_f64 v[36:37], v[36:37], v[63:64], v[58:59]
	v_fma_f64 v[38:39], -v[42:43], v[63:64], v[113:114]
	v_fma_f64 v[40:41], v[40:41], v[63:64], v[117:118]
	v_fma_f64 v[42:43], -v[46:47], v[63:64], v[111:112]
	v_fma_f64 v[44:45], v[44:45], v[63:64], v[109:110]
	v_fma_f64 v[46:47], -v[56:57], v[63:64], v[115:116]
	v_fma_f64 v[32:33], v[54:55], v[63:64], v[32:33]
	s_waitcnt vmcnt(15)
	v_fma_f64 v[34:35], v[133:134], v[65:66], v[34:35]
	v_fma_f64 v[36:37], v[135:136], v[65:66], v[36:37]
	v_fma_f64 v[38:39], v[129:130], v[65:66], v[38:39]
	v_fma_f64 v[40:41], v[131:132], v[65:66], v[40:41]
	v_fma_f64 v[42:43], v[125:126], v[65:66], v[42:43]
	v_fma_f64 v[44:45], v[127:128], v[65:66], v[44:45]
	v_fma_f64 v[46:47], v[121:122], v[65:66], v[46:47]
	v_fma_f64 v[32:33], v[123:124], v[65:66], v[32:33]
	v_fma_f64 v[34:35], -v[135:136], v[67:68], v[34:35]
	v_fma_f64 v[36:37], v[133:134], v[67:68], v[36:37]
	v_fma_f64 v[38:39], -v[131:132], v[67:68], v[38:39]
	v_fma_f64 v[40:41], v[129:130], v[67:68], v[40:41]
	v_fma_f64 v[42:43], -v[127:128], v[67:68], v[42:43]
	v_fma_f64 v[44:45], v[125:126], v[67:68], v[44:45]
	v_fma_f64 v[46:47], -v[123:124], v[67:68], v[46:47]
	v_fma_f64 v[32:33], v[121:122], v[67:68], v[32:33]
	;; [unrolled: 17-line block ×5, first 2 shown]
	s_and_not1_b32 exec_lo, exec_lo, s5
	s_cbranch_execnz .LBB56_37
; %bb.38:
	s_or_b32 exec_lo, exec_lo, s5
.LBB56_39:
	s_delay_alu instid0(SALU_CYCLE_1)
	s_or_b32 exec_lo, exec_lo, s4
.LBB56_40:
	s_delay_alu instid0(SALU_CYCLE_1)
	s_or_b32 exec_lo, exec_lo, s1
.LBB56_41:
	v_mbcnt_lo_u32_b32 v48, -1, 0
	s_delay_alu instid0(VALU_DEP_1) | instskip(NEXT) | instid1(VALU_DEP_1)
	v_xor_b32_e32 v0, 4, v48
	v_cmp_gt_i32_e32 vcc_lo, 32, v0
	v_cndmask_b32_e32 v0, v48, v0, vcc_lo
	s_delay_alu instid0(VALU_DEP_1)
	v_lshlrev_b32_e32 v15, 2, v0
	ds_bpermute_b32 v0, v15, v40
	ds_bpermute_b32 v1, v15, v41
	;; [unrolled: 1-line block ×16, first 2 shown]
	s_waitcnt lgkmcnt(0)
	v_add_f64 v[0:1], v[40:41], v[0:1]
	v_add_f64 v[2:3], v[36:37], v[2:3]
	;; [unrolled: 1-line block ×8, first 2 shown]
	v_xor_b32_e32 v14, 2, v48
	s_delay_alu instid0(VALU_DEP_1) | instskip(SKIP_1) | instid1(VALU_DEP_1)
	v_cmp_gt_i32_e32 vcc_lo, 32, v14
	v_cndmask_b32_e32 v14, v48, v14, vcc_lo
	v_lshlrev_b32_e32 v41, 2, v14
	ds_bpermute_b32 v14, v41, v0
	ds_bpermute_b32 v15, v41, v1
	;; [unrolled: 1-line block ×16, first 2 shown]
	s_waitcnt lgkmcnt(14)
	v_add_f64 v[0:1], v[0:1], v[14:15]
	s_waitcnt lgkmcnt(12)
	v_add_f64 v[28:29], v[2:3], v[28:29]
	;; [unrolled: 2-line block ×7, first 2 shown]
	v_xor_b32_e32 v12, 1, v48
	s_waitcnt lgkmcnt(0)
	v_add_f64 v[8:9], v[26:27], v[40:41]
	s_delay_alu instid0(VALU_DEP_2) | instskip(SKIP_2) | instid1(VALU_DEP_2)
	v_cmp_gt_i32_e32 vcc_lo, 32, v12
	v_cndmask_b32_e32 v12, v48, v12, vcc_lo
	v_cmp_eq_u32_e32 vcc_lo, 7, v60
	v_lshlrev_b32_e32 v35, 2, v12
	ds_bpermute_b32 v12, v35, v0
	ds_bpermute_b32 v13, v35, v1
	;; [unrolled: 1-line block ×16, first 2 shown]
	s_and_b32 exec_lo, exec_lo, vcc_lo
	s_cbranch_execz .LBB56_12
; %bb.42:
	s_waitcnt lgkmcnt(12)
	v_add_f64 v[28:29], v[28:29], v[40:41]
	s_waitcnt lgkmcnt(8)
	v_add_f64 v[14:15], v[14:15], v[38:39]
	;; [unrolled: 2-line block ×4, first 2 shown]
	v_add_f64 v[0:1], v[0:1], v[12:13]
	v_add_f64 v[2:3], v[2:3], v[26:27]
	;; [unrolled: 1-line block ×4, first 2 shown]
	v_cmp_eq_f64_e32 vcc_lo, 0, v[16:17]
	v_cmp_eq_f64_e64 s0, 0, v[18:19]
	s_load_b64 s[2:3], s[2:3], 0x68
	v_mul_f64 v[4:5], v[28:29], -v[22:23]
	v_mul_f64 v[6:7], v[20:21], v[28:29]
	v_mul_f64 v[28:29], v[14:15], -v[22:23]
	v_mul_f64 v[32:33], v[20:21], v[14:15]
	;; [unrolled: 2-line block ×4, first 2 shown]
	s_and_b32 s0, vcc_lo, s0
	v_fma_f64 v[12:13], v[20:21], v[0:1], v[4:5]
	v_fma_f64 v[14:15], v[22:23], v[0:1], v[6:7]
	;; [unrolled: 1-line block ×8, first 2 shown]
	v_lshlrev_b64 v[20:21], 6, v[24:25]
	s_and_saveexec_b32 s1, s0
	s_delay_alu instid0(SALU_CYCLE_1)
	s_xor_b32 s0, exec_lo, s1
	s_cbranch_execz .LBB56_44
; %bb.43:
	s_waitcnt lgkmcnt(0)
	s_delay_alu instid0(VALU_DEP_1)
	v_add_co_u32 v16, vcc_lo, s2, v20
	v_add_co_ci_u32_e32 v17, vcc_lo, s3, v21, vcc_lo
                                        ; implicit-def: $vgpr18_vgpr19
                                        ; implicit-def: $vgpr20_vgpr21
	s_clause 0x3
	global_store_b128 v[16:17], v[12:15], off
	global_store_b128 v[16:17], v[8:11], off offset:16
	global_store_b128 v[16:17], v[4:7], off offset:32
	;; [unrolled: 1-line block ×3, first 2 shown]
                                        ; implicit-def: $vgpr16_vgpr17
                                        ; implicit-def: $vgpr12_vgpr13
                                        ; implicit-def: $vgpr8_vgpr9
                                        ; implicit-def: $vgpr4_vgpr5
                                        ; implicit-def: $vgpr0_vgpr1
.LBB56_44:
	s_and_not1_saveexec_b32 s0, s0
	s_cbranch_execz .LBB56_12
; %bb.45:
	s_waitcnt lgkmcnt(0)
	v_add_co_u32 v36, vcc_lo, s2, v20
	v_add_co_ci_u32_e32 v37, vcc_lo, s3, v21, vcc_lo
	s_clause 0x3
	global_load_b128 v[20:23], v[36:37], off
	global_load_b128 v[24:27], v[36:37], off offset:16
	global_load_b128 v[28:31], v[36:37], off offset:32
	;; [unrolled: 1-line block ×3, first 2 shown]
	s_waitcnt vmcnt(3)
	v_fma_f64 v[12:13], v[16:17], v[20:21], v[12:13]
	v_fma_f64 v[14:15], v[18:19], v[20:21], v[14:15]
	s_waitcnt vmcnt(2)
	v_fma_f64 v[8:9], v[16:17], v[24:25], v[8:9]
	v_fma_f64 v[10:11], v[18:19], v[24:25], v[10:11]
	;; [unrolled: 3-line block ×4, first 2 shown]
	v_fma_f64 v[0:1], -v[18:19], v[22:23], v[12:13]
	v_fma_f64 v[2:3], v[16:17], v[22:23], v[14:15]
	v_fma_f64 v[4:5], -v[18:19], v[26:27], v[8:9]
	v_fma_f64 v[6:7], v[16:17], v[26:27], v[10:11]
	;; [unrolled: 2-line block ×4, first 2 shown]
	s_clause 0x3
	global_store_b128 v[36:37], v[0:3], off
	global_store_b128 v[36:37], v[4:7], off offset:16
	global_store_b128 v[36:37], v[8:11], off offset:32
	;; [unrolled: 1-line block ×3, first 2 shown]
	s_nop 0
	s_sendmsg sendmsg(MSG_DEALLOC_VGPRS)
	s_endpgm
	.section	.rodata,"a",@progbits
	.p2align	6, 0x0
	.amdhsa_kernel _ZN9rocsparseL18bsrxmvn_4x4_kernelILj128ELj8E21rocsparse_complex_numIdEllS2_S2_S2_EEvT3_20rocsparse_direction_NS_24const_host_device_scalarIT1_EES3_PKS3_PKT2_SC_S9_PKT4_PKT5_S7_PT6_21rocsparse_index_base_b
		.amdhsa_group_segment_fixed_size 2048
		.amdhsa_private_segment_fixed_size 0
		.amdhsa_kernarg_size 120
		.amdhsa_user_sgpr_count 15
		.amdhsa_user_sgpr_dispatch_ptr 1
		.amdhsa_user_sgpr_queue_ptr 0
		.amdhsa_user_sgpr_kernarg_segment_ptr 1
		.amdhsa_user_sgpr_dispatch_id 0
		.amdhsa_user_sgpr_private_segment_size 0
		.amdhsa_wavefront_size32 1
		.amdhsa_uses_dynamic_stack 0
		.amdhsa_enable_private_segment 0
		.amdhsa_system_sgpr_workgroup_id_x 1
		.amdhsa_system_sgpr_workgroup_id_y 0
		.amdhsa_system_sgpr_workgroup_id_z 0
		.amdhsa_system_sgpr_workgroup_info 0
		.amdhsa_system_vgpr_workitem_id 2
		.amdhsa_next_free_vgpr 161
		.amdhsa_next_free_sgpr 18
		.amdhsa_reserve_vcc 1
		.amdhsa_float_round_mode_32 0
		.amdhsa_float_round_mode_16_64 0
		.amdhsa_float_denorm_mode_32 3
		.amdhsa_float_denorm_mode_16_64 3
		.amdhsa_dx10_clamp 1
		.amdhsa_ieee_mode 1
		.amdhsa_fp16_overflow 0
		.amdhsa_workgroup_processor_mode 1
		.amdhsa_memory_ordered 1
		.amdhsa_forward_progress 0
		.amdhsa_shared_vgpr_count 0
		.amdhsa_exception_fp_ieee_invalid_op 0
		.amdhsa_exception_fp_denorm_src 0
		.amdhsa_exception_fp_ieee_div_zero 0
		.amdhsa_exception_fp_ieee_overflow 0
		.amdhsa_exception_fp_ieee_underflow 0
		.amdhsa_exception_fp_ieee_inexact 0
		.amdhsa_exception_int_div_zero 0
	.end_amdhsa_kernel
	.section	.text._ZN9rocsparseL18bsrxmvn_4x4_kernelILj128ELj8E21rocsparse_complex_numIdEllS2_S2_S2_EEvT3_20rocsparse_direction_NS_24const_host_device_scalarIT1_EES3_PKS3_PKT2_SC_S9_PKT4_PKT5_S7_PT6_21rocsparse_index_base_b,"axG",@progbits,_ZN9rocsparseL18bsrxmvn_4x4_kernelILj128ELj8E21rocsparse_complex_numIdEllS2_S2_S2_EEvT3_20rocsparse_direction_NS_24const_host_device_scalarIT1_EES3_PKS3_PKT2_SC_S9_PKT4_PKT5_S7_PT6_21rocsparse_index_base_b,comdat
.Lfunc_end56:
	.size	_ZN9rocsparseL18bsrxmvn_4x4_kernelILj128ELj8E21rocsparse_complex_numIdEllS2_S2_S2_EEvT3_20rocsparse_direction_NS_24const_host_device_scalarIT1_EES3_PKS3_PKT2_SC_S9_PKT4_PKT5_S7_PT6_21rocsparse_index_base_b, .Lfunc_end56-_ZN9rocsparseL18bsrxmvn_4x4_kernelILj128ELj8E21rocsparse_complex_numIdEllS2_S2_S2_EEvT3_20rocsparse_direction_NS_24const_host_device_scalarIT1_EES3_PKS3_PKT2_SC_S9_PKT4_PKT5_S7_PT6_21rocsparse_index_base_b
                                        ; -- End function
	.section	.AMDGPU.csdata,"",@progbits
; Kernel info:
; codeLenInByte = 10868
; NumSgprs: 20
; NumVgprs: 161
; ScratchSize: 0
; MemoryBound: 1
; FloatMode: 240
; IeeeMode: 1
; LDSByteSize: 2048 bytes/workgroup (compile time only)
; SGPRBlocks: 2
; VGPRBlocks: 20
; NumSGPRsForWavesPerEU: 20
; NumVGPRsForWavesPerEU: 161
; Occupancy: 9
; WaveLimiterHint : 1
; COMPUTE_PGM_RSRC2:SCRATCH_EN: 0
; COMPUTE_PGM_RSRC2:USER_SGPR: 15
; COMPUTE_PGM_RSRC2:TRAP_HANDLER: 0
; COMPUTE_PGM_RSRC2:TGID_X_EN: 1
; COMPUTE_PGM_RSRC2:TGID_Y_EN: 0
; COMPUTE_PGM_RSRC2:TGID_Z_EN: 0
; COMPUTE_PGM_RSRC2:TIDIG_COMP_CNT: 2
	.section	.text._ZN9rocsparseL18bsrxmvn_4x4_kernelILj128ELj16E21rocsparse_complex_numIdEllS2_S2_S2_EEvT3_20rocsparse_direction_NS_24const_host_device_scalarIT1_EES3_PKS3_PKT2_SC_S9_PKT4_PKT5_S7_PT6_21rocsparse_index_base_b,"axG",@progbits,_ZN9rocsparseL18bsrxmvn_4x4_kernelILj128ELj16E21rocsparse_complex_numIdEllS2_S2_S2_EEvT3_20rocsparse_direction_NS_24const_host_device_scalarIT1_EES3_PKS3_PKT2_SC_S9_PKT4_PKT5_S7_PT6_21rocsparse_index_base_b,comdat
	.globl	_ZN9rocsparseL18bsrxmvn_4x4_kernelILj128ELj16E21rocsparse_complex_numIdEllS2_S2_S2_EEvT3_20rocsparse_direction_NS_24const_host_device_scalarIT1_EES3_PKS3_PKT2_SC_S9_PKT4_PKT5_S7_PT6_21rocsparse_index_base_b ; -- Begin function _ZN9rocsparseL18bsrxmvn_4x4_kernelILj128ELj16E21rocsparse_complex_numIdEllS2_S2_S2_EEvT3_20rocsparse_direction_NS_24const_host_device_scalarIT1_EES3_PKS3_PKT2_SC_S9_PKT4_PKT5_S7_PT6_21rocsparse_index_base_b
	.p2align	8
	.type	_ZN9rocsparseL18bsrxmvn_4x4_kernelILj128ELj16E21rocsparse_complex_numIdEllS2_S2_S2_EEvT3_20rocsparse_direction_NS_24const_host_device_scalarIT1_EES3_PKS3_PKT2_SC_S9_PKT4_PKT5_S7_PT6_21rocsparse_index_base_b,@function
_ZN9rocsparseL18bsrxmvn_4x4_kernelILj128ELj16E21rocsparse_complex_numIdEllS2_S2_S2_EEvT3_20rocsparse_direction_NS_24const_host_device_scalarIT1_EES3_PKS3_PKT2_SC_S9_PKT4_PKT5_S7_PT6_21rocsparse_index_base_b: ; @_ZN9rocsparseL18bsrxmvn_4x4_kernelILj128ELj16E21rocsparse_complex_numIdEllS2_S2_S2_EEvT3_20rocsparse_direction_NS_24const_host_device_scalarIT1_EES3_PKS3_PKT2_SC_S9_PKT4_PKT5_S7_PT6_21rocsparse_index_base_b
; %bb.0:
	s_load_b64 s[12:13], s[2:3], 0x70
	s_load_b64 s[16:17], s[0:1], 0x4
	s_load_b128 s[8:11], s[2:3], 0x10
	v_bfe_u32 v1, v0, 10, 10
	s_mov_b64 s[0:1], src_shared_base
	s_load_b128 s[4:7], s[2:3], 0x58
	v_and_b32_e32 v2, 0x3ff, v0
	v_bfe_u32 v0, v0, 20, 10
	s_waitcnt lgkmcnt(0)
	s_bitcmp1_b32 s13, 0
	v_mul_u32_u24_e32 v1, s17, v1
	v_mov_b32_e32 v3, s8
	s_cselect_b32 s0, -1, 0
	v_mov_b32_e32 v23, s11
	s_and_b32 vcc_lo, s0, exec_lo
	s_cselect_b32 s13, s1, s9
	s_lshr_b32 s14, s16, 16
	v_dual_mov_b32 v6, s5 :: v_dual_mov_b32 v5, s4
	s_mul_i32 s14, s14, s17
	v_mov_b32_e32 v8, s13
	v_mad_u32_u24 v1, s14, v2, v1
	v_mov_b32_e32 v22, s10
	s_xor_b32 s10, s0, -1
	v_mov_b32_e32 v4, s9
	s_delay_alu instid0(VALU_DEP_3) | instskip(NEXT) | instid1(VALU_DEP_1)
	v_add_lshl_u32 v0, v1, v0, 3
	v_add_nc_u32_e32 v1, 0x400, v0
	ds_store_2addr_stride64_b64 v0, v[5:6], v[3:4] offset1:2
	v_cndmask_b32_e64 v7, s8, v1, s0
	flat_load_b64 v[20:21], v[7:8]
	s_cbranch_vccnz .LBB57_2
; %bb.1:
	v_dual_mov_b32 v3, s8 :: v_dual_mov_b32 v4, s9
	flat_load_b64 v[22:23], v[3:4] offset:8
.LBB57_2:
	s_and_b32 s8, s0, exec_lo
	s_cselect_b32 s1, s1, s5
	v_cndmask_b32_e64 v0, s4, v0, s0
	v_mov_b32_e32 v1, s1
	v_dual_mov_b32 v19, s7 :: v_dual_mov_b32 v18, s6
	s_and_not1_b32 vcc_lo, exec_lo, s10
	flat_load_b64 v[16:17], v[0:1]
	s_cbranch_vccnz .LBB57_4
; %bb.3:
	v_dual_mov_b32 v0, s4 :: v_dual_mov_b32 v1, s5
	flat_load_b64 v[18:19], v[0:1] offset:8
.LBB57_4:
	s_waitcnt vmcnt(1) lgkmcnt(1)
	v_cmp_eq_f64_e32 vcc_lo, 0, v[20:21]
	v_cmp_eq_f64_e64 s0, 0, v[22:23]
	s_delay_alu instid0(VALU_DEP_1)
	s_and_b32 s4, vcc_lo, s0
	s_mov_b32 s0, -1
	s_and_saveexec_b32 s1, s4
	s_cbranch_execz .LBB57_6
; %bb.5:
	s_waitcnt vmcnt(0) lgkmcnt(0)
	v_cmp_neq_f64_e32 vcc_lo, 1.0, v[16:17]
	v_cmp_neq_f64_e64 s0, 0, v[18:19]
	s_delay_alu instid0(VALU_DEP_1) | instskip(NEXT) | instid1(SALU_CYCLE_1)
	s_or_b32 s0, vcc_lo, s0
	s_or_not1_b32 s0, s0, exec_lo
.LBB57_6:
	s_or_b32 exec_lo, exec_lo, s1
	s_and_saveexec_b32 s1, s0
	s_cbranch_execz .LBB57_12
; %bb.7:
	s_load_b64 s[0:1], s[2:3], 0x28
	v_lshrrev_b32_e32 v0, 4, v2
	v_mov_b32_e32 v1, 0
	s_mov_b32 s4, 0
	s_delay_alu instid0(VALU_DEP_2)
	v_lshl_or_b32 v0, s15, 3, v0
	s_waitcnt lgkmcnt(0)
	s_cmp_lg_u64 s[0:1], 0
	s_cbranch_scc0 .LBB57_13
; %bb.8:
	s_load_b64 s[4:5], s[2:3], 0x20
                                        ; implicit-def: $vgpr24_vgpr25
	s_waitcnt lgkmcnt(0)
	v_cmp_gt_i64_e32 vcc_lo, s[4:5], v[0:1]
	s_mov_b32 s5, 0
	s_mov_b32 s4, 0
	s_and_saveexec_b32 s6, vcc_lo
	s_delay_alu instid0(SALU_CYCLE_1)
	s_xor_b32 s6, exec_lo, s6
                                        ; implicit-def: $sgpr14_sgpr15
	s_cbranch_execz .LBB57_10
; %bb.9:
	v_lshlrev_b64 v[3:4], 3, v[0:1]
	s_mov_b32 s4, exec_lo
	s_mov_b32 s15, 0
	s_delay_alu instid0(VALU_DEP_1) | instskip(NEXT) | instid1(VALU_DEP_2)
	v_add_co_u32 v3, vcc_lo, s0, v3
	v_add_co_ci_u32_e32 v4, vcc_lo, s1, v4, vcc_lo
	global_load_b64 v[3:4], v[3:4], off
	s_waitcnt vmcnt(0)
	v_sub_co_u32 v24, vcc_lo, v3, s12
	v_subrev_co_ci_u32_e32 v25, vcc_lo, 0, v4, vcc_lo
.LBB57_10:
	s_or_b32 exec_lo, exec_lo, s6
	s_delay_alu instid0(SALU_CYCLE_1)
	s_and_b32 vcc_lo, exec_lo, s5
	s_cbranch_vccnz .LBB57_14
.LBB57_11:
	s_and_b32 exec_lo, exec_lo, s4
	s_cbranch_execnz .LBB57_17
.LBB57_12:
	s_nop 0
	s_sendmsg sendmsg(MSG_DEALLOC_VGPRS)
	s_endpgm
.LBB57_13:
                                        ; implicit-def: $vgpr24_vgpr25
                                        ; implicit-def: $sgpr14_sgpr15
	s_cbranch_execz .LBB57_11
.LBB57_14:
	s_load_b64 s[0:1], s[2:3], 0x0
                                        ; implicit-def: $vgpr24_vgpr25
	s_waitcnt lgkmcnt(0)
	v_cmp_gt_i64_e32 vcc_lo, s[0:1], v[0:1]
	s_and_saveexec_b32 s0, vcc_lo
                                        ; implicit-def: $sgpr14_sgpr15
; %bb.15:
	v_dual_mov_b32 v25, v1 :: v_dual_mov_b32 v24, v0
	s_mov_b32 s15, 0
	s_or_b32 s4, s4, exec_lo
; %bb.16:
	s_or_b32 exec_lo, exec_lo, s0
	s_delay_alu instid0(SALU_CYCLE_1)
	s_and_b32 exec_lo, exec_lo, s4
	s_cbranch_execz .LBB57_12
.LBB57_17:
	s_load_b256 s[4:11], s[2:3], 0x30
	v_lshlrev_b64 v[0:1], 3, v[24:25]
	v_and_b32_e32 v60, 15, v2
	s_load_b32 s1, s[2:3], 0x8
	s_waitcnt lgkmcnt(0)
	s_delay_alu instid0(VALU_DEP_2) | instskip(NEXT) | instid1(VALU_DEP_3)
	v_add_co_u32 v3, vcc_lo, s4, v0
	v_add_co_ci_u32_e32 v4, vcc_lo, s5, v1, vcc_lo
	v_add_co_u32 v0, vcc_lo, s6, v0
	v_add_co_ci_u32_e32 v1, vcc_lo, s7, v1, vcc_lo
	s_delay_alu instid0(VALU_DEP_4) | instskip(NEXT) | instid1(VALU_DEP_4)
	v_add_co_u32 v5, vcc_lo, v3, 8
	v_add_co_ci_u32_e32 v6, vcc_lo, 0, v4, vcc_lo
	global_load_b64 v[48:49], v[3:4], off
	s_cmp_eq_u64 s[6:7], 0
	s_load_b64 s[4:5], s[2:3], 0x50
	s_cselect_b32 vcc_lo, -1, 0
	s_cmp_eq_u32 s1, 1
	v_dual_cndmask_b32 v1, v1, v6 :: v_dual_cndmask_b32 v0, v0, v5
	global_load_b64 v[0:1], v[0:1], off
	s_waitcnt vmcnt(1)
	v_sub_co_u32 v2, vcc_lo, v48, s12
	v_subrev_co_ci_u32_e32 v3, vcc_lo, s15, v49, vcc_lo
	s_delay_alu instid0(VALU_DEP_2) | instskip(NEXT) | instid1(VALU_DEP_2)
	v_add_co_u32 v26, vcc_lo, v2, v60
	v_add_co_ci_u32_e32 v27, vcc_lo, 0, v3, vcc_lo
	s_waitcnt vmcnt(0)
	v_sub_co_u32 v28, vcc_lo, v0, s12
	v_subrev_co_ci_u32_e32 v29, vcc_lo, s15, v1, vcc_lo
	s_delay_alu instid0(VALU_DEP_3) | instskip(NEXT) | instid1(VALU_DEP_2)
	v_lshlrev_b64 v[0:1], 8, v[26:27]
	v_cmp_lt_i64_e64 s0, v[26:27], v[28:29]
	s_delay_alu instid0(VALU_DEP_2) | instskip(NEXT) | instid1(VALU_DEP_3)
	v_add_co_u32 v30, vcc_lo, s10, v0
	v_add_co_ci_u32_e32 v31, vcc_lo, s11, v1, vcc_lo
	s_cbranch_scc1 .LBB57_29
; %bb.18:
	v_mov_b32_e32 v36, 0
	v_mov_b32_e32 v37, 0
	s_delay_alu instid0(VALU_DEP_2) | instskip(NEXT) | instid1(VALU_DEP_2)
	v_mov_b32_e32 v34, v36
	v_dual_mov_b32 v32, v36 :: v_dual_mov_b32 v33, v37
	v_dual_mov_b32 v41, v37 :: v_dual_mov_b32 v40, v36
	v_mov_b32_e32 v35, v37
	v_dual_mov_b32 v43, v37 :: v_dual_mov_b32 v42, v36
	v_dual_mov_b32 v45, v37 :: v_dual_mov_b32 v44, v36
	;; [unrolled: 1-line block ×4, first 2 shown]
	s_and_saveexec_b32 s6, s0
	s_cbranch_execz .LBB57_28
; %bb.19:
	v_or_b32_e32 v0, 16, v60
	v_not_b32_e32 v3, v48
	v_not_b32_e32 v2, v49
	v_dual_mov_b32 v38, 0 :: v_dual_mov_b32 v51, v31
	s_delay_alu instid0(VALU_DEP_4) | instskip(NEXT) | instid1(VALU_DEP_1)
	v_sub_co_u32 v0, s1, v0, s12
	v_sub_co_ci_u32_e64 v1, null, 0, s15, s1
	v_sub_co_u32 v4, s1, s12, v60
	s_delay_alu instid0(VALU_DEP_3) | instskip(NEXT) | instid1(VALU_DEP_3)
	v_add_co_u32 v0, vcc_lo, v0, v48
	v_add_co_ci_u32_e32 v1, vcc_lo, v1, v49, vcc_lo
	v_sub_co_ci_u32_e64 v5, null, s15, 0, s1
	s_mov_b32 s10, 0
	s_delay_alu instid0(VALU_DEP_2)
	v_cmp_gt_i64_e32 vcc_lo, v[0:1], v[28:29]
	s_mov_b32 s7, exec_lo
	v_dual_mov_b32 v53, v27 :: v_dual_mov_b32 v52, v26
	v_dual_cndmask_b32 v1, v29, v1 :: v_dual_cndmask_b32 v0, v28, v0
	v_add_co_u32 v3, vcc_lo, v4, v3
	v_add_co_ci_u32_e32 v2, vcc_lo, v5, v2, vcc_lo
	s_delay_alu instid0(VALU_DEP_2) | instskip(NEXT) | instid1(VALU_DEP_2)
	v_add_co_u32 v0, vcc_lo, v3, v0
	v_add_co_ci_u32_e32 v1, vcc_lo, v2, v1, vcc_lo
	s_delay_alu instid0(VALU_DEP_2) | instskip(NEXT) | instid1(VALU_DEP_1)
	v_lshrrev_b32_e32 v2, 4, v0
	v_dual_mov_b32 v39, 0 :: v_dual_add_nc_u32 v2, 1, v2
	s_delay_alu instid0(VALU_DEP_1)
	v_dual_mov_b32 v50, v30 :: v_dual_mov_b32 v47, v39
	v_dual_mov_b32 v46, v38 :: v_dual_mov_b32 v45, v39
	;; [unrolled: 1-line block ×4, first 2 shown]
	v_mov_b32_e32 v34, v38
	v_mov_b32_e32 v40, v38
	;; [unrolled: 1-line block ×3, first 2 shown]
	v_dual_mov_b32 v42, v38 :: v_dual_mov_b32 v33, v39
	v_dual_mov_b32 v35, v39 :: v_dual_and_b32 v2, 3, v2
	v_mov_b32_e32 v37, v39
	s_delay_alu instid0(VALU_DEP_2)
	v_cmpx_ne_u32_e32 0, v2
	s_cbranch_execz .LBB57_23
; %bb.20:
	v_lshlrev_b64 v[4:5], 3, v[26:27]
	v_dual_mov_b32 v3, 0 :: v_dual_mov_b32 v36, 0
	v_dual_mov_b32 v37, 0 :: v_dual_lshlrev_b32 v2, 3, v2
	v_dual_mov_b32 v53, v27 :: v_dual_mov_b32 v52, v26
	s_delay_alu instid0(VALU_DEP_4)
	v_add_co_u32 v4, vcc_lo, s8, v4
	v_add_co_ci_u32_e32 v5, vcc_lo, s9, v5, vcc_lo
	v_dual_mov_b32 v51, v31 :: v_dual_mov_b32 v50, v30
	v_dual_mov_b32 v41, v37 :: v_dual_mov_b32 v40, v36
	;; [unrolled: 1-line block ×8, first 2 shown]
.LBB57_21:                              ; =>This Inner Loop Header: Depth=1
	global_load_b64 v[14:15], v[4:5], off
	s_clause 0x7
	global_load_b128 v[6:9], v[50:51], off offset:16
	global_load_b128 v[10:13], v[50:51], off
	global_load_b128 v[54:57], v[50:51], off offset:80
	global_load_b128 v[61:64], v[50:51], off offset:64
	;; [unrolled: 1-line block ×6, first 2 shown]
	v_add_co_u32 v4, s1, 0x80, v4
	s_delay_alu instid0(VALU_DEP_1) | instskip(SKIP_3) | instid1(VALU_DEP_1)
	v_add_co_ci_u32_e64 v5, s1, 0, v5, s1
	s_waitcnt vmcnt(8)
	v_sub_co_u32 v14, vcc_lo, v14, s12
	v_subrev_co_ci_u32_e32 v15, vcc_lo, s15, v15, vcc_lo
	v_lshlrev_b64 v[14:15], 6, v[14:15]
	s_waitcnt lgkmcnt(0)
	s_delay_alu instid0(VALU_DEP_1) | instskip(NEXT) | instid1(VALU_DEP_2)
	v_add_co_u32 v14, vcc_lo, s4, v14
	v_add_co_ci_u32_e32 v15, vcc_lo, s5, v15, vcc_lo
	s_clause 0x1
	global_load_b128 v[81:84], v[14:15], off
	global_load_b128 v[85:88], v[14:15], off offset:16
	s_clause 0x7
	global_load_b128 v[89:92], v[50:51], off offset:48
	global_load_b128 v[93:96], v[50:51], off offset:32
	global_load_b128 v[97:100], v[50:51], off offset:112
	global_load_b128 v[101:104], v[50:51], off offset:96
	global_load_b128 v[105:108], v[50:51], off offset:176
	global_load_b128 v[109:112], v[50:51], off offset:160
	global_load_b128 v[113:116], v[50:51], off offset:240
	global_load_b128 v[117:120], v[50:51], off offset:224
	s_clause 0x1
	global_load_b128 v[121:124], v[14:15], off offset:32
	global_load_b128 v[125:128], v[14:15], off offset:48
	v_add_co_u32 v50, vcc_lo, 0x1000, v50
	v_add_co_ci_u32_e32 v51, vcc_lo, 0, v51, vcc_lo
	v_add_co_u32 v2, vcc_lo, v2, -8
	v_add_co_ci_u32_e32 v3, vcc_lo, -1, v3, vcc_lo
	v_add_co_u32 v52, vcc_lo, v52, 16
	v_add_co_ci_u32_e32 v53, vcc_lo, 0, v53, vcc_lo
	s_delay_alu instid0(VALU_DEP_3)
	v_cmp_eq_u64_e32 vcc_lo, 0, v[2:3]
	s_or_b32 s10, vcc_lo, s10
	s_waitcnt vmcnt(11)
	v_fma_f64 v[14:15], v[10:11], v[81:82], v[40:41]
	v_fma_f64 v[36:37], v[12:13], v[81:82], v[36:37]
	v_fma_f64 v[40:41], v[61:62], v[81:82], v[46:47]
	v_fma_f64 v[38:39], v[63:64], v[81:82], v[38:39]
	v_fma_f64 v[42:43], v[69:70], v[81:82], v[42:43]
	v_fma_f64 v[44:45], v[71:72], v[81:82], v[44:45]
	v_fma_f64 v[34:35], v[77:78], v[81:82], v[34:35]
	v_fma_f64 v[32:33], v[79:80], v[81:82], v[32:33]
	v_fma_f64 v[12:13], -v[12:13], v[83:84], v[14:15]
	v_fma_f64 v[10:11], v[10:11], v[83:84], v[36:37]
	v_fma_f64 v[14:15], -v[63:64], v[83:84], v[40:41]
	v_fma_f64 v[36:37], v[61:62], v[83:84], v[38:39]
	v_fma_f64 v[38:39], -v[71:72], v[83:84], v[42:43]
	v_fma_f64 v[40:41], v[69:70], v[83:84], v[44:45]
	v_fma_f64 v[34:35], -v[79:80], v[83:84], v[34:35]
	v_fma_f64 v[32:33], v[77:78], v[83:84], v[32:33]
	s_waitcnt vmcnt(10)
	v_fma_f64 v[12:13], v[6:7], v[85:86], v[12:13]
	v_fma_f64 v[10:11], v[8:9], v[85:86], v[10:11]
	v_fma_f64 v[14:15], v[54:55], v[85:86], v[14:15]
	v_fma_f64 v[36:37], v[56:57], v[85:86], v[36:37]
	v_fma_f64 v[38:39], v[65:66], v[85:86], v[38:39]
	v_fma_f64 v[40:41], v[67:68], v[85:86], v[40:41]
	v_fma_f64 v[34:35], v[73:74], v[85:86], v[34:35]
	v_fma_f64 v[32:33], v[75:76], v[85:86], v[32:33]
	v_fma_f64 v[8:9], -v[8:9], v[87:88], v[12:13]
	v_fma_f64 v[6:7], v[6:7], v[87:88], v[10:11]
	v_fma_f64 v[10:11], -v[56:57], v[87:88], v[14:15]
	v_fma_f64 v[12:13], v[54:55], v[87:88], v[36:37]
	v_fma_f64 v[14:15], -v[67:68], v[87:88], v[38:39]
	v_fma_f64 v[36:37], v[65:66], v[87:88], v[40:41]
	v_fma_f64 v[34:35], -v[75:76], v[87:88], v[34:35]
	v_fma_f64 v[32:33], v[73:74], v[87:88], v[32:33]
	s_waitcnt vmcnt(1)
	v_fma_f64 v[8:9], v[93:94], v[121:122], v[8:9]
	v_fma_f64 v[6:7], v[95:96], v[121:122], v[6:7]
	v_fma_f64 v[10:11], v[101:102], v[121:122], v[10:11]
	v_fma_f64 v[12:13], v[103:104], v[121:122], v[12:13]
	v_fma_f64 v[14:15], v[109:110], v[121:122], v[14:15]
	v_fma_f64 v[36:37], v[111:112], v[121:122], v[36:37]
	v_fma_f64 v[34:35], v[117:118], v[121:122], v[34:35]
	v_fma_f64 v[32:33], v[119:120], v[121:122], v[32:33]
	v_fma_f64 v[8:9], -v[95:96], v[123:124], v[8:9]
	v_fma_f64 v[6:7], v[93:94], v[123:124], v[6:7]
	v_fma_f64 v[10:11], -v[103:104], v[123:124], v[10:11]
	v_fma_f64 v[12:13], v[101:102], v[123:124], v[12:13]
	v_fma_f64 v[14:15], -v[111:112], v[123:124], v[14:15]
	v_fma_f64 v[36:37], v[109:110], v[123:124], v[36:37]
	v_fma_f64 v[34:35], -v[119:120], v[123:124], v[34:35]
	v_fma_f64 v[32:33], v[117:118], v[123:124], v[32:33]
	s_waitcnt vmcnt(0)
	v_fma_f64 v[8:9], v[89:90], v[125:126], v[8:9]
	v_fma_f64 v[6:7], v[91:92], v[125:126], v[6:7]
	v_fma_f64 v[10:11], v[97:98], v[125:126], v[10:11]
	v_fma_f64 v[12:13], v[99:100], v[125:126], v[12:13]
	v_fma_f64 v[14:15], v[105:106], v[125:126], v[14:15]
	v_fma_f64 v[44:45], v[107:108], v[125:126], v[36:37]
	v_fma_f64 v[34:35], v[113:114], v[125:126], v[34:35]
	v_fma_f64 v[32:33], v[115:116], v[125:126], v[32:33]
	v_fma_f64 v[40:41], -v[91:92], v[127:128], v[8:9]
	v_fma_f64 v[36:37], v[89:90], v[127:128], v[6:7]
	v_fma_f64 v[46:47], -v[99:100], v[127:128], v[10:11]
	v_fma_f64 v[38:39], v[97:98], v[127:128], v[12:13]
	v_fma_f64 v[42:43], -v[107:108], v[127:128], v[14:15]
	v_fma_f64 v[44:45], v[105:106], v[127:128], v[44:45]
	v_fma_f64 v[34:35], -v[115:116], v[127:128], v[34:35]
	v_fma_f64 v[32:33], v[113:114], v[127:128], v[32:33]
	s_and_not1_b32 exec_lo, exec_lo, s10
	s_cbranch_execnz .LBB57_21
; %bb.22:
	s_or_b32 exec_lo, exec_lo, s10
.LBB57_23:
	s_delay_alu instid0(SALU_CYCLE_1) | instskip(NEXT) | instid1(SALU_CYCLE_1)
	s_or_b32 exec_lo, exec_lo, s7
	s_mov_b32 s7, exec_lo
	v_cmpx_lt_u64_e32 47, v[0:1]
	s_cbranch_execz .LBB57_27
; %bb.24:
	v_lshlrev_b64 v[0:1], 3, v[52:53]
	s_mov_b32 s10, 0
	s_delay_alu instid0(VALU_DEP_1) | instskip(NEXT) | instid1(VALU_DEP_2)
	v_add_co_u32 v0, vcc_lo, v0, s8
	v_add_co_ci_u32_e32 v1, vcc_lo, s9, v1, vcc_lo
	s_delay_alu instid0(VALU_DEP_2) | instskip(NEXT) | instid1(VALU_DEP_2)
	v_add_co_u32 v54, vcc_lo, 0x100, v0
	v_add_co_ci_u32_e32 v55, vcc_lo, 0, v1, vcc_lo
.LBB57_25:                              ; =>This Inner Loop Header: Depth=1
	s_clause 0x1
	global_load_b64 v[56:57], v[54:55], off offset:-256
	global_load_b64 v[58:59], v[54:55], off offset:-128
	s_clause 0x3
	global_load_b128 v[0:3], v[50:51], off
	global_load_b128 v[4:7], v[50:51], off offset:64
	global_load_b128 v[8:11], v[50:51], off offset:128
	;; [unrolled: 1-line block ×3, first 2 shown]
	s_clause 0x1
	global_load_b64 v[141:142], v[54:55], off
	global_load_b64 v[143:144], v[54:55], off offset:128
	s_waitcnt vmcnt(7)
	v_sub_co_u32 v56, vcc_lo, v56, s12
	v_subrev_co_ci_u32_e32 v57, vcc_lo, s15, v57, vcc_lo
	s_delay_alu instid0(VALU_DEP_1) | instskip(SKIP_1) | instid1(VALU_DEP_1)
	v_lshlrev_b64 v[56:57], 6, v[56:57]
	s_waitcnt lgkmcnt(0)
	v_add_co_u32 v56, vcc_lo, s4, v56
	s_delay_alu instid0(VALU_DEP_2)
	v_add_co_ci_u32_e32 v57, vcc_lo, s5, v57, vcc_lo
	v_add_co_u32 v145, vcc_lo, v50, 0x2000
	v_add_co_ci_u32_e32 v146, vcc_lo, 0, v51, vcc_lo
	global_load_b128 v[61:64], v[56:57], off
	s_clause 0x3
	global_load_b128 v[65:68], v[50:51], off offset:16
	global_load_b128 v[69:72], v[50:51], off offset:80
	global_load_b128 v[73:76], v[50:51], off offset:144
	global_load_b128 v[77:80], v[50:51], off offset:208
	global_load_b128 v[81:84], v[56:57], off offset:16
	s_clause 0x3
	global_load_b128 v[85:88], v[50:51], off offset:96
	global_load_b128 v[89:92], v[50:51], off offset:160
	global_load_b128 v[93:96], v[50:51], off offset:224
	global_load_b128 v[97:100], v[50:51], off offset:32
	global_load_b128 v[101:104], v[56:57], off offset:32
	;; [unrolled: 6-line block ×3, first 2 shown]
	v_add_co_u32 v147, vcc_lo, 0x1000, v50
	v_add_co_ci_u32_e32 v148, vcc_lo, 0, v51, vcc_lo
	s_waitcnt vmcnt(22)
	v_sub_co_u32 v56, vcc_lo, v58, s12
	v_subrev_co_ci_u32_e32 v57, vcc_lo, s15, v59, vcc_lo
	s_clause 0x3
	global_load_b128 v[125:128], v[145:146], off offset:-4096
	global_load_b128 v[129:132], v[147:148], off offset:64
	global_load_b128 v[133:136], v[147:148], off offset:128
	;; [unrolled: 1-line block ×3, first 2 shown]
	v_lshlrev_b64 v[56:57], 6, v[56:57]
	s_delay_alu instid0(VALU_DEP_1) | instskip(NEXT) | instid1(VALU_DEP_2)
	v_add_co_u32 v149, vcc_lo, s4, v56
	v_add_co_ci_u32_e32 v150, vcc_lo, s5, v57, vcc_lo
	v_add_co_u32 v161, vcc_lo, 0x2000, v50
	v_add_co_ci_u32_e32 v162, vcc_lo, 0, v51, vcc_lo
	global_load_b128 v[56:59], v[149:150], off
	s_waitcnt vmcnt(22)
	v_sub_co_u32 v141, vcc_lo, v141, s12
	v_subrev_co_ci_u32_e32 v142, vcc_lo, s15, v142, vcc_lo
	s_waitcnt vmcnt(20)
	v_fma_f64 v[40:41], v[0:1], v[61:62], v[40:41]
	v_fma_f64 v[36:37], v[2:3], v[61:62], v[36:37]
	v_fma_f64 v[46:47], v[4:5], v[61:62], v[46:47]
	v_fma_f64 v[38:39], v[6:7], v[61:62], v[38:39]
	v_fma_f64 v[42:43], v[8:9], v[61:62], v[42:43]
	v_fma_f64 v[44:45], v[10:11], v[61:62], v[44:45]
	v_fma_f64 v[34:35], v[12:13], v[61:62], v[34:35]
	v_fma_f64 v[32:33], v[14:15], v[61:62], v[32:33]
	v_fma_f64 v[40:41], -v[2:3], v[63:64], v[40:41]
	v_fma_f64 v[36:37], v[0:1], v[63:64], v[36:37]
	v_fma_f64 v[46:47], -v[6:7], v[63:64], v[46:47]
	v_fma_f64 v[38:39], v[4:5], v[63:64], v[38:39]
	v_fma_f64 v[42:43], -v[10:11], v[63:64], v[42:43]
	v_fma_f64 v[44:45], v[8:9], v[63:64], v[44:45]
	v_fma_f64 v[61:62], -v[14:15], v[63:64], v[34:35]
	v_fma_f64 v[63:64], v[12:13], v[63:64], v[32:33]
	s_clause 0x3
	global_load_b128 v[0:3], v[147:148], off offset:16
	global_load_b128 v[4:7], v[147:148], off offset:80
	global_load_b128 v[8:11], v[147:148], off offset:144
	global_load_b128 v[12:15], v[147:148], off offset:208
	global_load_b128 v[32:35], v[149:150], off offset:16
	s_waitcnt vmcnt(20)
	v_fma_f64 v[40:41], v[65:66], v[81:82], v[40:41]
	v_fma_f64 v[36:37], v[67:68], v[81:82], v[36:37]
	v_fma_f64 v[46:47], v[69:70], v[81:82], v[46:47]
	v_fma_f64 v[38:39], v[71:72], v[81:82], v[38:39]
	v_fma_f64 v[42:43], v[73:74], v[81:82], v[42:43]
	v_fma_f64 v[44:45], v[75:76], v[81:82], v[44:45]
	v_fma_f64 v[61:62], v[77:78], v[81:82], v[61:62]
	v_fma_f64 v[63:64], v[79:80], v[81:82], v[63:64]
	v_fma_f64 v[81:82], -v[67:68], v[83:84], v[40:41]
	v_fma_f64 v[151:152], v[65:66], v[83:84], v[36:37]
	v_fma_f64 v[71:72], -v[71:72], v[83:84], v[46:47]
	v_fma_f64 v[69:70], v[69:70], v[83:84], v[38:39]
	v_fma_f64 v[75:76], -v[75:76], v[83:84], v[42:43]
	v_fma_f64 v[73:74], v[73:74], v[83:84], v[44:45]
	v_fma_f64 v[79:80], -v[79:80], v[83:84], v[61:62]
	v_fma_f64 v[77:78], v[77:78], v[83:84], v[63:64]
	s_clause 0x3
	global_load_b128 v[36:39], v[147:148], off offset:32
	global_load_b128 v[40:43], v[147:148], off offset:96
	global_load_b128 v[44:47], v[147:148], off offset:160
	global_load_b128 v[61:64], v[147:148], off offset:224
	global_load_b128 v[65:68], v[149:150], off offset:32
	;; [unrolled: 23-line block ×3, first 2 shown]
	s_waitcnt vmcnt(20)
	v_fma_f64 v[147:148], v[105:106], v[121:122], v[99:100]
	v_fma_f64 v[149:150], v[107:108], v[121:122], v[97:98]
	;; [unrolled: 1-line block ×8, first 2 shown]
	s_clause 0x3
	global_load_b128 v[89:92], v[145:146], off
	global_load_b128 v[93:96], v[161:162], off offset:64
	global_load_b128 v[97:100], v[161:162], off offset:128
	;; [unrolled: 1-line block ×3, first 2 shown]
	v_fma_f64 v[145:146], -v[107:108], v[123:124], v[147:148]
	v_fma_f64 v[147:148], v[105:106], v[123:124], v[149:150]
	v_fma_f64 v[111:112], -v[111:112], v[123:124], v[153:154]
	v_fma_f64 v[109:110], v[109:110], v[123:124], v[151:152]
	;; [unrolled: 2-line block ×4, first 2 shown]
	v_lshlrev_b64 v[105:106], 6, v[141:142]
	s_delay_alu instid0(VALU_DEP_1) | instskip(NEXT) | instid1(VALU_DEP_2)
	v_add_co_u32 v141, vcc_lo, s4, v105
	v_add_co_ci_u32_e32 v142, vcc_lo, s5, v106, vcc_lo
	v_add_co_u32 v157, vcc_lo, 0x3000, v50
	v_add_co_ci_u32_e32 v158, vcc_lo, 0, v51, vcc_lo
	global_load_b128 v[105:108], v[141:142], off
	v_sub_co_u32 v143, vcc_lo, v143, s12
	v_subrev_co_ci_u32_e32 v144, vcc_lo, s15, v144, vcc_lo
	v_add_co_u32 v50, s1, 0x4000, v50
	s_delay_alu instid0(VALU_DEP_1)
	v_add_co_ci_u32_e64 v51, s1, 0, v51, s1
	s_waitcnt vmcnt(20)
	v_fma_f64 v[121:122], v[125:126], v[56:57], v[145:146]
	v_fma_f64 v[123:124], v[127:128], v[56:57], v[147:148]
	v_fma_f64 v[111:112], v[129:130], v[56:57], v[111:112]
	v_fma_f64 v[109:110], v[131:132], v[56:57], v[109:110]
	v_fma_f64 v[115:116], v[133:134], v[56:57], v[115:116]
	v_fma_f64 v[113:114], v[135:136], v[56:57], v[113:114]
	v_fma_f64 v[119:120], v[137:138], v[56:57], v[119:120]
	v_fma_f64 v[56:57], v[139:140], v[56:57], v[117:118]
	v_fma_f64 v[127:128], -v[127:128], v[58:59], v[121:122]
	v_fma_f64 v[125:126], v[125:126], v[58:59], v[123:124]
	v_fma_f64 v[131:132], -v[131:132], v[58:59], v[111:112]
	v_fma_f64 v[129:130], v[129:130], v[58:59], v[109:110]
	v_fma_f64 v[135:136], -v[135:136], v[58:59], v[115:116]
	v_fma_f64 v[133:134], v[133:134], v[58:59], v[113:114]
	v_fma_f64 v[139:140], -v[139:140], v[58:59], v[119:120]
	v_fma_f64 v[137:138], v[137:138], v[58:59], v[56:57]
	s_clause 0x3
	global_load_b128 v[56:59], v[161:162], off offset:16
	global_load_b128 v[109:112], v[161:162], off offset:80
	global_load_b128 v[113:116], v[161:162], off offset:144
	global_load_b128 v[117:120], v[161:162], off offset:208
	global_load_b128 v[121:124], v[141:142], off offset:16
	s_waitcnt vmcnt(20)
	v_fma_f64 v[127:128], v[0:1], v[32:33], v[127:128]
	v_fma_f64 v[125:126], v[2:3], v[32:33], v[125:126]
	v_fma_f64 v[131:132], v[4:5], v[32:33], v[131:132]
	v_fma_f64 v[129:130], v[6:7], v[32:33], v[129:130]
	v_fma_f64 v[135:136], v[8:9], v[32:33], v[135:136]
	v_fma_f64 v[133:134], v[10:11], v[32:33], v[133:134]
	v_fma_f64 v[139:140], v[12:13], v[32:33], v[139:140]
	v_fma_f64 v[32:33], v[14:15], v[32:33], v[137:138]
	v_fma_f64 v[127:128], -v[2:3], v[34:35], v[127:128]
	v_fma_f64 v[125:126], v[0:1], v[34:35], v[125:126]
	v_fma_f64 v[131:132], -v[6:7], v[34:35], v[131:132]
	v_fma_f64 v[129:130], v[4:5], v[34:35], v[129:130]
	v_fma_f64 v[135:136], -v[10:11], v[34:35], v[135:136]
	v_fma_f64 v[133:134], v[8:9], v[34:35], v[133:134]
	v_fma_f64 v[137:138], -v[14:15], v[34:35], v[139:140]
	v_fma_f64 v[139:140], v[12:13], v[34:35], v[32:33]
	s_clause 0x3
	global_load_b128 v[0:3], v[161:162], off offset:32
	global_load_b128 v[4:7], v[161:162], off offset:96
	global_load_b128 v[8:11], v[161:162], off offset:160
	global_load_b128 v[12:15], v[161:162], off offset:224
	global_load_b128 v[32:35], v[141:142], off offset:32
	;; [unrolled: 23-line block ×3, first 2 shown]
	s_waitcnt vmcnt(20)
	v_fma_f64 v[141:142], v[69:70], v[85:86], v[127:128]
	v_fma_f64 v[145:146], v[71:72], v[85:86], v[125:126]
	;; [unrolled: 1-line block ×8, first 2 shown]
	s_clause 0x3
	global_load_b128 v[125:128], v[157:158], off
	global_load_b128 v[129:132], v[157:158], off offset:64
	global_load_b128 v[133:136], v[157:158], off offset:128
	;; [unrolled: 1-line block ×3, first 2 shown]
	v_fma_f64 v[141:142], -v[71:72], v[87:88], v[141:142]
	v_fma_f64 v[145:146], v[69:70], v[87:88], v[145:146]
	v_fma_f64 v[75:76], -v[75:76], v[87:88], v[147:148]
	v_fma_f64 v[73:74], v[73:74], v[87:88], v[149:150]
	;; [unrolled: 2-line block ×4, first 2 shown]
	v_lshlrev_b64 v[69:70], 6, v[143:144]
	s_delay_alu instid0(VALU_DEP_1) | instskip(NEXT) | instid1(VALU_DEP_2)
	v_add_co_u32 v143, vcc_lo, s4, v69
	v_add_co_ci_u32_e32 v144, vcc_lo, s5, v70, vcc_lo
	v_add_co_u32 v52, vcc_lo, v52, 64
	v_add_co_ci_u32_e32 v53, vcc_lo, 0, v53, vcc_lo
	global_load_b128 v[69:72], v[143:144], off
	v_add_co_u32 v54, vcc_lo, 0x200, v54
	v_add_co_ci_u32_e32 v55, vcc_lo, 0, v55, vcc_lo
	v_cmp_ge_i64_e32 vcc_lo, v[52:53], v[28:29]
	s_or_b32 s10, vcc_lo, s10
	s_waitcnt vmcnt(20)
	v_fma_f64 v[85:86], v[89:90], v[105:106], v[141:142]
	v_fma_f64 v[87:88], v[91:92], v[105:106], v[145:146]
	v_fma_f64 v[75:76], v[93:94], v[105:106], v[75:76]
	v_fma_f64 v[73:74], v[95:96], v[105:106], v[73:74]
	v_fma_f64 v[79:80], v[97:98], v[105:106], v[79:80]
	v_fma_f64 v[77:78], v[99:100], v[105:106], v[77:78]
	v_fma_f64 v[83:84], v[101:102], v[105:106], v[83:84]
	v_fma_f64 v[81:82], v[103:104], v[105:106], v[81:82]
	v_fma_f64 v[105:106], -v[91:92], v[107:108], v[85:86]
	v_fma_f64 v[141:142], v[89:90], v[107:108], v[87:88]
	v_fma_f64 v[95:96], -v[95:96], v[107:108], v[75:76]
	v_fma_f64 v[93:94], v[93:94], v[107:108], v[73:74]
	v_fma_f64 v[99:100], -v[99:100], v[107:108], v[79:80]
	v_fma_f64 v[97:98], v[97:98], v[107:108], v[77:78]
	v_fma_f64 v[103:104], -v[103:104], v[107:108], v[83:84]
	v_fma_f64 v[101:102], v[101:102], v[107:108], v[81:82]
	s_clause 0x3
	global_load_b128 v[73:76], v[157:158], off offset:80
	global_load_b128 v[77:80], v[157:158], off offset:144
	global_load_b128 v[81:84], v[157:158], off offset:208
	global_load_b128 v[85:88], v[157:158], off offset:16
	global_load_b128 v[89:92], v[143:144], off offset:16
	s_waitcnt vmcnt(20)
	v_fma_f64 v[105:106], v[56:57], v[121:122], v[105:106]
	v_fma_f64 v[107:108], v[58:59], v[121:122], v[141:142]
	v_fma_f64 v[95:96], v[109:110], v[121:122], v[95:96]
	v_fma_f64 v[93:94], v[111:112], v[121:122], v[93:94]
	v_fma_f64 v[99:100], v[113:114], v[121:122], v[99:100]
	v_fma_f64 v[97:98], v[115:116], v[121:122], v[97:98]
	v_fma_f64 v[103:104], v[117:118], v[121:122], v[103:104]
	v_fma_f64 v[101:102], v[119:120], v[121:122], v[101:102]
	v_fma_f64 v[121:122], -v[58:59], v[123:124], v[105:106]
	v_fma_f64 v[141:142], v[56:57], v[123:124], v[107:108]
	v_fma_f64 v[111:112], -v[111:112], v[123:124], v[95:96]
	v_fma_f64 v[109:110], v[109:110], v[123:124], v[93:94]
	v_fma_f64 v[115:116], -v[115:116], v[123:124], v[99:100]
	v_fma_f64 v[113:114], v[113:114], v[123:124], v[97:98]
	v_fma_f64 v[119:120], -v[119:120], v[123:124], v[103:104]
	v_fma_f64 v[117:118], v[117:118], v[123:124], v[101:102]
	s_clause 0x3
	global_load_b128 v[56:59], v[157:158], off offset:96
	global_load_b128 v[93:96], v[157:158], off offset:160
	global_load_b128 v[97:100], v[157:158], off offset:224
	global_load_b128 v[101:104], v[157:158], off offset:32
	global_load_b128 v[105:108], v[143:144], off offset:32
	;; [unrolled: 23-line block ×3, first 2 shown]
	s_waitcnt vmcnt(20)
	v_fma_f64 v[34:35], v[36:37], v[65:66], v[117:118]
	v_fma_f64 v[117:118], v[38:39], v[65:66], v[121:122]
	v_fma_f64 v[121:122], v[40:41], v[65:66], v[123:124]
	v_fma_f64 v[123:124], v[42:43], v[65:66], v[141:142]
	v_fma_f64 v[115:116], v[44:45], v[65:66], v[115:116]
	v_fma_f64 v[113:114], v[46:47], v[65:66], v[113:114]
	v_fma_f64 v[119:120], v[61:62], v[65:66], v[119:120]
	v_fma_f64 v[32:33], v[63:64], v[65:66], v[32:33]
	v_fma_f64 v[34:35], -v[38:39], v[67:68], v[34:35]
	v_fma_f64 v[36:37], v[36:37], v[67:68], v[117:118]
	v_fma_f64 v[38:39], -v[42:43], v[67:68], v[121:122]
	v_fma_f64 v[40:41], v[40:41], v[67:68], v[123:124]
	v_fma_f64 v[42:43], -v[46:47], v[67:68], v[115:116]
	v_fma_f64 v[44:45], v[44:45], v[67:68], v[113:114]
	v_fma_f64 v[46:47], -v[63:64], v[67:68], v[119:120]
	v_fma_f64 v[32:33], v[61:62], v[67:68], v[32:33]
	s_waitcnt vmcnt(15)
	v_fma_f64 v[34:35], v[125:126], v[69:70], v[34:35]
	v_fma_f64 v[36:37], v[127:128], v[69:70], v[36:37]
	v_fma_f64 v[38:39], v[129:130], v[69:70], v[38:39]
	v_fma_f64 v[40:41], v[131:132], v[69:70], v[40:41]
	v_fma_f64 v[42:43], v[133:134], v[69:70], v[42:43]
	v_fma_f64 v[44:45], v[135:136], v[69:70], v[44:45]
	v_fma_f64 v[46:47], v[137:138], v[69:70], v[46:47]
	v_fma_f64 v[32:33], v[139:140], v[69:70], v[32:33]
	v_fma_f64 v[34:35], -v[127:128], v[71:72], v[34:35]
	v_fma_f64 v[36:37], v[125:126], v[71:72], v[36:37]
	v_fma_f64 v[38:39], -v[131:132], v[71:72], v[38:39]
	v_fma_f64 v[40:41], v[129:130], v[71:72], v[40:41]
	v_fma_f64 v[42:43], -v[135:136], v[71:72], v[42:43]
	v_fma_f64 v[44:45], v[133:134], v[71:72], v[44:45]
	v_fma_f64 v[46:47], -v[139:140], v[71:72], v[46:47]
	v_fma_f64 v[32:33], v[137:138], v[71:72], v[32:33]
	;; [unrolled: 17-line block ×5, first 2 shown]
	s_and_not1_b32 exec_lo, exec_lo, s10
	s_cbranch_execnz .LBB57_25
; %bb.26:
	s_or_b32 exec_lo, exec_lo, s10
.LBB57_27:
	s_delay_alu instid0(SALU_CYCLE_1)
	s_or_b32 exec_lo, exec_lo, s7
.LBB57_28:
	s_delay_alu instid0(SALU_CYCLE_1)
	s_or_b32 exec_lo, exec_lo, s6
	s_cbranch_execz .LBB57_30
	s_branch .LBB57_41
.LBB57_29:
                                        ; implicit-def: $vgpr36_vgpr37
                                        ; implicit-def: $vgpr40_vgpr41
                                        ; implicit-def: $vgpr34_vgpr35
                                        ; implicit-def: $vgpr32_vgpr33
                                        ; implicit-def: $vgpr42_vgpr43
                                        ; implicit-def: $vgpr44_vgpr45
                                        ; implicit-def: $vgpr46_vgpr47
                                        ; implicit-def: $vgpr38_vgpr39
.LBB57_30:
	v_mov_b32_e32 v36, 0
	v_mov_b32_e32 v37, 0
	s_delay_alu instid0(VALU_DEP_2) | instskip(NEXT) | instid1(VALU_DEP_2)
	v_mov_b32_e32 v34, v36
	v_dual_mov_b32 v32, v36 :: v_dual_mov_b32 v33, v37
	v_dual_mov_b32 v41, v37 :: v_dual_mov_b32 v40, v36
	v_mov_b32_e32 v35, v37
	v_dual_mov_b32 v43, v37 :: v_dual_mov_b32 v42, v36
	v_dual_mov_b32 v45, v37 :: v_dual_mov_b32 v44, v36
	;; [unrolled: 1-line block ×4, first 2 shown]
	s_and_saveexec_b32 s1, s0
	s_cbranch_execz .LBB57_40
; %bb.31:
	v_or_b32_e32 v0, 16, v60
	v_not_b32_e32 v3, v48
	v_not_b32_e32 v2, v49
	v_mov_b32_e32 v38, 0
	s_mov_b32 s7, 0
	v_sub_co_u32 v0, s0, v0, s12
	s_delay_alu instid0(VALU_DEP_1) | instskip(SKIP_1) | instid1(VALU_DEP_3)
	v_sub_co_ci_u32_e64 v1, null, 0, s15, s0
	v_sub_co_u32 v4, s0, s12, v60
	v_add_co_u32 v0, vcc_lo, v0, v48
	s_delay_alu instid0(VALU_DEP_3) | instskip(SKIP_2) | instid1(VALU_DEP_2)
	v_add_co_ci_u32_e32 v1, vcc_lo, v1, v49, vcc_lo
	v_sub_co_ci_u32_e64 v5, null, s15, 0, s0
	s_mov_b32 s6, exec_lo
	v_cmp_gt_i64_e32 vcc_lo, v[0:1], v[28:29]
	v_dual_cndmask_b32 v1, v29, v1 :: v_dual_cndmask_b32 v0, v28, v0
	v_add_co_u32 v3, vcc_lo, v4, v3
	v_add_co_ci_u32_e32 v2, vcc_lo, v5, v2, vcc_lo
	s_delay_alu instid0(VALU_DEP_2) | instskip(NEXT) | instid1(VALU_DEP_2)
	v_add_co_u32 v0, vcc_lo, v3, v0
	v_add_co_ci_u32_e32 v1, vcc_lo, v2, v1, vcc_lo
	s_delay_alu instid0(VALU_DEP_2) | instskip(NEXT) | instid1(VALU_DEP_1)
	v_lshrrev_b32_e32 v2, 4, v0
	v_dual_mov_b32 v39, 0 :: v_dual_add_nc_u32 v2, 1, v2
	s_delay_alu instid0(VALU_DEP_1) | instskip(SKIP_1) | instid1(VALU_DEP_3)
	v_dual_mov_b32 v32, v38 :: v_dual_mov_b32 v43, v39
	v_dual_mov_b32 v34, v38 :: v_dual_mov_b32 v41, v39
	v_and_b32_e32 v2, 3, v2
	v_dual_mov_b32 v36, v38 :: v_dual_mov_b32 v47, v39
	v_dual_mov_b32 v46, v38 :: v_dual_mov_b32 v45, v39
	v_mov_b32_e32 v44, v38
	v_dual_mov_b32 v42, v38 :: v_dual_mov_b32 v33, v39
	v_dual_mov_b32 v35, v39 :: v_dual_mov_b32 v40, v38
	v_mov_b32_e32 v37, v39
	v_cmpx_ne_u32_e32 0, v2
	s_cbranch_execz .LBB57_35
; %bb.32:
	v_lshlrev_b64 v[4:5], 3, v[26:27]
	v_dual_mov_b32 v3, 0 :: v_dual_mov_b32 v36, 0
	v_dual_mov_b32 v37, 0 :: v_dual_lshlrev_b32 v2, 3, v2
	s_delay_alu instid0(VALU_DEP_2) | instskip(NEXT) | instid1(VALU_DEP_4)
	v_mov_b32_e32 v34, v36
	v_add_co_u32 v4, vcc_lo, s8, v4
	s_delay_alu instid0(VALU_DEP_3)
	v_mov_b32_e32 v35, v37
	v_add_co_ci_u32_e32 v5, vcc_lo, s9, v5, vcc_lo
	v_dual_mov_b32 v41, v37 :: v_dual_mov_b32 v40, v36
	v_dual_mov_b32 v32, v36 :: v_dual_mov_b32 v33, v37
	;; [unrolled: 1-line block ×6, first 2 shown]
.LBB57_33:                              ; =>This Inner Loop Header: Depth=1
	global_load_b64 v[14:15], v[4:5], off
	s_clause 0x3
	global_load_b128 v[6:9], v[30:31], off offset:48
	global_load_b128 v[10:13], v[30:31], off offset:32
	global_load_b128 v[48:51], v[30:31], off offset:16
	global_load_b128 v[52:55], v[30:31], off
	v_add_co_u32 v4, s0, 0x80, v4
	s_delay_alu instid0(VALU_DEP_1) | instskip(SKIP_3) | instid1(VALU_DEP_1)
	v_add_co_ci_u32_e64 v5, s0, 0, v5, s0
	s_waitcnt vmcnt(4)
	v_sub_co_u32 v14, vcc_lo, v14, s12
	v_subrev_co_ci_u32_e32 v15, vcc_lo, s15, v15, vcc_lo
	v_lshlrev_b64 v[14:15], 6, v[14:15]
	s_waitcnt lgkmcnt(0)
	s_delay_alu instid0(VALU_DEP_1) | instskip(NEXT) | instid1(VALU_DEP_2)
	v_add_co_u32 v14, vcc_lo, s4, v14
	v_add_co_ci_u32_e32 v15, vcc_lo, s5, v15, vcc_lo
	s_clause 0x1
	global_load_b128 v[56:59], v[14:15], off
	global_load_b128 v[61:64], v[14:15], off offset:16
	s_clause 0x7
	global_load_b128 v[65:68], v[30:31], off offset:64
	global_load_b128 v[69:72], v[30:31], off offset:80
	;; [unrolled: 1-line block ×8, first 2 shown]
	s_clause 0x1
	global_load_b128 v[97:100], v[14:15], off offset:32
	global_load_b128 v[101:104], v[14:15], off offset:48
	s_clause 0x3
	global_load_b128 v[105:108], v[30:31], off offset:192
	global_load_b128 v[109:112], v[30:31], off offset:208
	;; [unrolled: 1-line block ×4, first 2 shown]
	v_add_co_u32 v30, vcc_lo, 0x1000, v30
	v_add_co_ci_u32_e32 v31, vcc_lo, 0, v31, vcc_lo
	v_add_co_u32 v2, vcc_lo, v2, -8
	v_add_co_ci_u32_e32 v3, vcc_lo, -1, v3, vcc_lo
	v_add_co_u32 v26, vcc_lo, v26, 16
	v_add_co_ci_u32_e32 v27, vcc_lo, 0, v27, vcc_lo
	s_delay_alu instid0(VALU_DEP_3)
	v_cmp_eq_u64_e32 vcc_lo, 0, v[2:3]
	s_or_b32 s7, vcc_lo, s7
	s_waitcnt vmcnt(15)
	v_fma_f64 v[14:15], v[52:53], v[56:57], v[40:41]
	v_fma_f64 v[36:37], v[54:55], v[56:57], v[36:37]
	;; [unrolled: 1-line block ×8, first 2 shown]
	v_fma_f64 v[14:15], -v[54:55], v[58:59], v[14:15]
	v_fma_f64 v[36:37], v[52:53], v[58:59], v[36:37]
	v_fma_f64 v[40:41], -v[50:51], v[58:59], v[40:41]
	v_fma_f64 v[38:39], v[48:49], v[58:59], v[38:39]
	;; [unrolled: 2-line block ×4, first 2 shown]
	s_waitcnt vmcnt(13)
	v_fma_f64 v[14:15], v[65:66], v[61:62], v[14:15]
	v_fma_f64 v[32:33], v[67:68], v[61:62], v[36:37]
	s_waitcnt vmcnt(12)
	v_fma_f64 v[34:35], v[69:70], v[61:62], v[40:41]
	v_fma_f64 v[36:37], v[71:72], v[61:62], v[38:39]
	;; [unrolled: 3-line block ×4, first 2 shown]
	v_fma_f64 v[14:15], -v[67:68], v[63:64], v[14:15]
	v_fma_f64 v[32:33], v[65:66], v[63:64], v[32:33]
	v_fma_f64 v[34:35], -v[71:72], v[63:64], v[34:35]
	v_fma_f64 v[36:37], v[69:70], v[63:64], v[36:37]
	;; [unrolled: 2-line block ×4, first 2 shown]
	s_waitcnt vmcnt(5)
	v_fma_f64 v[14:15], v[93:94], v[97:98], v[14:15]
	v_fma_f64 v[32:33], v[95:96], v[97:98], v[32:33]
	v_fma_f64 v[34:35], v[89:90], v[97:98], v[34:35]
	v_fma_f64 v[36:37], v[91:92], v[97:98], v[36:37]
	v_fma_f64 v[12:13], v[85:86], v[97:98], v[12:13]
	v_fma_f64 v[10:11], v[87:88], v[97:98], v[10:11]
	v_fma_f64 v[8:9], v[81:82], v[97:98], v[8:9]
	v_fma_f64 v[6:7], v[83:84], v[97:98], v[6:7]
	v_fma_f64 v[14:15], -v[95:96], v[99:100], v[14:15]
	v_fma_f64 v[32:33], v[93:94], v[99:100], v[32:33]
	v_fma_f64 v[34:35], -v[91:92], v[99:100], v[34:35]
	v_fma_f64 v[36:37], v[89:90], v[99:100], v[36:37]
	;; [unrolled: 2-line block ×4, first 2 shown]
	s_waitcnt vmcnt(3)
	v_fma_f64 v[14:15], v[105:106], v[101:102], v[14:15]
	v_fma_f64 v[32:33], v[107:108], v[101:102], v[32:33]
	s_waitcnt vmcnt(2)
	v_fma_f64 v[34:35], v[109:110], v[101:102], v[34:35]
	v_fma_f64 v[38:39], v[111:112], v[101:102], v[36:37]
	;; [unrolled: 3-line block ×4, first 2 shown]
	v_fma_f64 v[40:41], -v[107:108], v[103:104], v[14:15]
	v_fma_f64 v[36:37], v[105:106], v[103:104], v[32:33]
	v_fma_f64 v[46:47], -v[111:112], v[103:104], v[34:35]
	v_fma_f64 v[38:39], v[109:110], v[103:104], v[38:39]
	;; [unrolled: 2-line block ×4, first 2 shown]
	s_and_not1_b32 exec_lo, exec_lo, s7
	s_cbranch_execnz .LBB57_33
; %bb.34:
	s_or_b32 exec_lo, exec_lo, s7
.LBB57_35:
	s_delay_alu instid0(SALU_CYCLE_1) | instskip(NEXT) | instid1(SALU_CYCLE_1)
	s_or_b32 exec_lo, exec_lo, s6
	s_mov_b32 s6, exec_lo
	v_cmpx_lt_u64_e32 47, v[0:1]
	s_cbranch_execz .LBB57_39
; %bb.36:
	v_lshlrev_b64 v[0:1], 3, v[26:27]
	s_mov_b32 s7, 0
	s_delay_alu instid0(VALU_DEP_1) | instskip(NEXT) | instid1(VALU_DEP_2)
	v_add_co_u32 v0, vcc_lo, v0, s8
	v_add_co_ci_u32_e32 v1, vcc_lo, s9, v1, vcc_lo
	s_delay_alu instid0(VALU_DEP_2) | instskip(NEXT) | instid1(VALU_DEP_2)
	v_add_co_u32 v48, vcc_lo, 0x100, v0
	v_add_co_ci_u32_e32 v49, vcc_lo, 0, v1, vcc_lo
.LBB57_37:                              ; =>This Inner Loop Header: Depth=1
	s_clause 0x1
	global_load_b64 v[50:51], v[48:49], off offset:-256
	global_load_b64 v[52:53], v[48:49], off offset:-128
	s_clause 0x3
	global_load_b128 v[0:3], v[30:31], off offset:48
	global_load_b128 v[4:7], v[30:31], off offset:32
	;; [unrolled: 1-line block ×3, first 2 shown]
	global_load_b128 v[12:15], v[30:31], off
	s_clause 0x1
	global_load_b64 v[58:59], v[48:49], off
	global_load_b64 v[137:138], v[48:49], off offset:128
	s_waitcnt vmcnt(7)
	v_sub_co_u32 v50, vcc_lo, v50, s12
	v_subrev_co_ci_u32_e32 v51, vcc_lo, s15, v51, vcc_lo
	s_delay_alu instid0(VALU_DEP_1) | instskip(SKIP_1) | instid1(VALU_DEP_1)
	v_lshlrev_b64 v[50:51], 6, v[50:51]
	s_waitcnt lgkmcnt(0)
	v_add_co_u32 v50, vcc_lo, s4, v50
	s_delay_alu instid0(VALU_DEP_2)
	v_add_co_ci_u32_e32 v51, vcc_lo, s5, v51, vcc_lo
	v_add_co_u32 v139, vcc_lo, v30, 0x2000
	v_add_co_ci_u32_e32 v140, vcc_lo, 0, v31, vcc_lo
	global_load_b128 v[54:57], v[50:51], off
	s_clause 0x3
	global_load_b128 v[61:64], v[30:31], off offset:64
	global_load_b128 v[65:68], v[30:31], off offset:80
	global_load_b128 v[69:72], v[30:31], off offset:96
	global_load_b128 v[73:76], v[30:31], off offset:112
	global_load_b128 v[77:80], v[50:51], off offset:16
	s_clause 0x3
	global_load_b128 v[81:84], v[30:31], off offset:176
	global_load_b128 v[85:88], v[30:31], off offset:160
	global_load_b128 v[89:92], v[30:31], off offset:144
	global_load_b128 v[93:96], v[30:31], off offset:128
	global_load_b128 v[97:100], v[50:51], off offset:32
	s_clause 0x3
	global_load_b128 v[101:104], v[30:31], off offset:192
	global_load_b128 v[105:108], v[30:31], off offset:208
	global_load_b128 v[109:112], v[30:31], off offset:224
	global_load_b128 v[113:116], v[30:31], off offset:240
	global_load_b128 v[117:120], v[50:51], off offset:48
	v_add_co_u32 v141, vcc_lo, 0x1000, v30
	v_add_co_ci_u32_e32 v142, vcc_lo, 0, v31, vcc_lo
	s_waitcnt vmcnt(22)
	v_sub_co_u32 v50, vcc_lo, v52, s12
	v_subrev_co_ci_u32_e32 v51, vcc_lo, s15, v53, vcc_lo
	s_clause 0x3
	global_load_b128 v[121:124], v[139:140], off offset:-4096
	global_load_b128 v[125:128], v[141:142], off offset:48
	global_load_b128 v[129:132], v[141:142], off offset:32
	;; [unrolled: 1-line block ×3, first 2 shown]
	v_lshlrev_b64 v[50:51], 6, v[50:51]
	s_delay_alu instid0(VALU_DEP_1) | instskip(NEXT) | instid1(VALU_DEP_2)
	v_add_co_u32 v143, vcc_lo, s4, v50
	v_add_co_ci_u32_e32 v144, vcc_lo, s5, v51, vcc_lo
	v_add_co_u32 v155, vcc_lo, 0x2000, v30
	v_add_co_ci_u32_e32 v156, vcc_lo, 0, v31, vcc_lo
	global_load_b128 v[50:53], v[143:144], off
	s_waitcnt vmcnt(22)
	v_sub_co_u32 v58, vcc_lo, v58, s12
	v_subrev_co_ci_u32_e32 v59, vcc_lo, s15, v59, vcc_lo
	s_delay_alu instid0(VALU_DEP_1) | instskip(NEXT) | instid1(VALU_DEP_1)
	v_lshlrev_b64 v[58:59], 6, v[58:59]
	v_add_co_u32 v58, vcc_lo, s4, v58
	s_delay_alu instid0(VALU_DEP_2)
	v_add_co_ci_u32_e32 v59, vcc_lo, s5, v59, vcc_lo
	s_waitcnt vmcnt(20)
	v_fma_f64 v[40:41], v[12:13], v[54:55], v[40:41]
	v_fma_f64 v[36:37], v[14:15], v[54:55], v[36:37]
	v_fma_f64 v[46:47], v[8:9], v[54:55], v[46:47]
	v_fma_f64 v[38:39], v[10:11], v[54:55], v[38:39]
	v_fma_f64 v[42:43], v[4:5], v[54:55], v[42:43]
	v_fma_f64 v[44:45], v[6:7], v[54:55], v[44:45]
	v_fma_f64 v[34:35], v[0:1], v[54:55], v[34:35]
	v_fma_f64 v[32:33], v[2:3], v[54:55], v[32:33]
	v_fma_f64 v[40:41], -v[14:15], v[56:57], v[40:41]
	v_fma_f64 v[36:37], v[12:13], v[56:57], v[36:37]
	v_fma_f64 v[46:47], -v[10:11], v[56:57], v[46:47]
	v_fma_f64 v[38:39], v[8:9], v[56:57], v[38:39]
	v_fma_f64 v[42:43], -v[6:7], v[56:57], v[42:43]
	v_fma_f64 v[44:45], v[4:5], v[56:57], v[44:45]
	v_fma_f64 v[54:55], -v[2:3], v[56:57], v[34:35]
	v_fma_f64 v[56:57], v[0:1], v[56:57], v[32:33]
	s_clause 0x3
	global_load_b128 v[0:3], v[141:142], off offset:64
	global_load_b128 v[4:7], v[141:142], off offset:80
	global_load_b128 v[8:11], v[141:142], off offset:96
	global_load_b128 v[12:15], v[141:142], off offset:112
	global_load_b128 v[32:35], v[143:144], off offset:16
	s_waitcnt vmcnt(20)
	v_fma_f64 v[40:41], v[61:62], v[77:78], v[40:41]
	v_fma_f64 v[36:37], v[63:64], v[77:78], v[36:37]
	v_fma_f64 v[46:47], v[65:66], v[77:78], v[46:47]
	v_fma_f64 v[38:39], v[67:68], v[77:78], v[38:39]
	v_fma_f64 v[42:43], v[69:70], v[77:78], v[42:43]
	v_fma_f64 v[44:45], v[71:72], v[77:78], v[44:45]
	v_fma_f64 v[54:55], v[73:74], v[77:78], v[54:55]
	v_fma_f64 v[56:57], v[75:76], v[77:78], v[56:57]
	v_fma_f64 v[77:78], -v[63:64], v[79:80], v[40:41]
	v_fma_f64 v[145:146], v[61:62], v[79:80], v[36:37]
	v_fma_f64 v[67:68], -v[67:68], v[79:80], v[46:47]
	v_fma_f64 v[65:66], v[65:66], v[79:80], v[38:39]
	v_fma_f64 v[71:72], -v[71:72], v[79:80], v[42:43]
	v_fma_f64 v[69:70], v[69:70], v[79:80], v[44:45]
	v_fma_f64 v[75:76], -v[75:76], v[79:80], v[54:55]
	v_fma_f64 v[73:74], v[73:74], v[79:80], v[56:57]
	s_clause 0x3
	global_load_b128 v[36:39], v[141:142], off offset:160
	global_load_b128 v[40:43], v[141:142], off offset:144
	global_load_b128 v[44:47], v[141:142], off offset:128
	global_load_b128 v[54:57], v[141:142], off offset:176
	global_load_b128 v[61:64], v[143:144], off offset:32
	;; [unrolled: 23-line block ×3, first 2 shown]
	s_waitcnt vmcnt(20)
	v_fma_f64 v[141:142], v[101:102], v[117:118], v[95:96]
	v_fma_f64 v[143:144], v[103:104], v[117:118], v[93:94]
	;; [unrolled: 1-line block ×8, first 2 shown]
	s_clause 0x3
	global_load_b128 v[85:88], v[139:140], off
	global_load_b128 v[89:92], v[155:156], off offset:48
	global_load_b128 v[93:96], v[155:156], off offset:32
	;; [unrolled: 1-line block ×3, first 2 shown]
	v_fma_f64 v[139:140], -v[103:104], v[119:120], v[141:142]
	v_fma_f64 v[141:142], v[101:102], v[119:120], v[143:144]
	v_fma_f64 v[107:108], -v[107:108], v[119:120], v[145:146]
	v_fma_f64 v[105:106], v[105:106], v[119:120], v[147:148]
	;; [unrolled: 2-line block ×4, first 2 shown]
	global_load_b128 v[101:104], v[58:59], off
	v_add_co_u32 v151, vcc_lo, 0x3000, v30
	v_add_co_ci_u32_e32 v152, vcc_lo, 0, v31, vcc_lo
	v_sub_co_u32 v137, vcc_lo, v137, s12
	v_subrev_co_ci_u32_e32 v138, vcc_lo, s15, v138, vcc_lo
	v_add_co_u32 v30, s0, 0x4000, v30
	s_delay_alu instid0(VALU_DEP_1)
	v_add_co_ci_u32_e64 v31, s0, 0, v31, s0
	s_waitcnt vmcnt(20)
	v_fma_f64 v[117:118], v[121:122], v[50:51], v[139:140]
	v_fma_f64 v[119:120], v[123:124], v[50:51], v[141:142]
	v_fma_f64 v[107:108], v[133:134], v[50:51], v[107:108]
	v_fma_f64 v[105:106], v[135:136], v[50:51], v[105:106]
	v_fma_f64 v[111:112], v[129:130], v[50:51], v[111:112]
	v_fma_f64 v[109:110], v[131:132], v[50:51], v[109:110]
	v_fma_f64 v[115:116], v[125:126], v[50:51], v[115:116]
	v_fma_f64 v[50:51], v[127:128], v[50:51], v[113:114]
	v_fma_f64 v[123:124], -v[123:124], v[52:53], v[117:118]
	v_fma_f64 v[121:122], v[121:122], v[52:53], v[119:120]
	v_fma_f64 v[135:136], -v[135:136], v[52:53], v[107:108]
	v_fma_f64 v[133:134], v[133:134], v[52:53], v[105:106]
	v_fma_f64 v[131:132], -v[131:132], v[52:53], v[111:112]
	v_fma_f64 v[129:130], v[129:130], v[52:53], v[109:110]
	v_fma_f64 v[127:128], -v[127:128], v[52:53], v[115:116]
	v_fma_f64 v[125:126], v[125:126], v[52:53], v[50:51]
	s_clause 0x3
	global_load_b128 v[50:53], v[155:156], off offset:64
	global_load_b128 v[105:108], v[155:156], off offset:80
	global_load_b128 v[109:112], v[155:156], off offset:96
	global_load_b128 v[113:116], v[155:156], off offset:112
	global_load_b128 v[117:120], v[58:59], off offset:16
	s_waitcnt vmcnt(20)
	v_fma_f64 v[123:124], v[0:1], v[32:33], v[123:124]
	v_fma_f64 v[121:122], v[2:3], v[32:33], v[121:122]
	v_fma_f64 v[135:136], v[4:5], v[32:33], v[135:136]
	v_fma_f64 v[133:134], v[6:7], v[32:33], v[133:134]
	v_fma_f64 v[131:132], v[8:9], v[32:33], v[131:132]
	v_fma_f64 v[129:130], v[10:11], v[32:33], v[129:130]
	v_fma_f64 v[127:128], v[12:13], v[32:33], v[127:128]
	v_fma_f64 v[32:33], v[14:15], v[32:33], v[125:126]
	v_fma_f64 v[123:124], -v[2:3], v[34:35], v[123:124]
	v_fma_f64 v[121:122], v[0:1], v[34:35], v[121:122]
	v_fma_f64 v[125:126], -v[6:7], v[34:35], v[135:136]
	v_fma_f64 v[133:134], v[4:5], v[34:35], v[133:134]
	v_fma_f64 v[131:132], -v[10:11], v[34:35], v[131:132]
	v_fma_f64 v[129:130], v[8:9], v[34:35], v[129:130]
	v_fma_f64 v[127:128], -v[14:15], v[34:35], v[127:128]
	v_fma_f64 v[135:136], v[12:13], v[34:35], v[32:33]
	s_clause 0x3
	global_load_b128 v[0:3], v[155:156], off offset:160
	global_load_b128 v[4:7], v[155:156], off offset:144
	global_load_b128 v[8:11], v[155:156], off offset:128
	global_load_b128 v[12:15], v[155:156], off offset:176
	global_load_b128 v[32:35], v[58:59], off offset:32
	;; [unrolled: 23-line block ×3, first 2 shown]
	s_waitcnt vmcnt(20)
	v_fma_f64 v[58:59], v[65:66], v[81:82], v[123:124]
	v_fma_f64 v[139:140], v[67:68], v[81:82], v[121:122]
	;; [unrolled: 1-line block ×8, first 2 shown]
	s_clause 0x3
	global_load_b128 v[121:124], v[151:152], off offset:48
	global_load_b128 v[125:128], v[151:152], off offset:32
	global_load_b128 v[129:132], v[151:152], off
	global_load_b128 v[133:136], v[151:152], off offset:16
	v_fma_f64 v[58:59], -v[67:68], v[83:84], v[58:59]
	v_fma_f64 v[139:140], v[65:66], v[83:84], v[139:140]
	v_fma_f64 v[71:72], -v[71:72], v[83:84], v[141:142]
	v_fma_f64 v[69:70], v[69:70], v[83:84], v[143:144]
	;; [unrolled: 2-line block ×4, first 2 shown]
	v_lshlrev_b64 v[65:66], 6, v[137:138]
	s_delay_alu instid0(VALU_DEP_1) | instskip(NEXT) | instid1(VALU_DEP_2)
	v_add_co_u32 v137, vcc_lo, s4, v65
	v_add_co_ci_u32_e32 v138, vcc_lo, s5, v66, vcc_lo
	v_add_co_u32 v26, vcc_lo, v26, 64
	v_add_co_ci_u32_e32 v27, vcc_lo, 0, v27, vcc_lo
	global_load_b128 v[65:68], v[137:138], off
	v_add_co_u32 v48, vcc_lo, 0x200, v48
	v_add_co_ci_u32_e32 v49, vcc_lo, 0, v49, vcc_lo
	v_cmp_ge_i64_e32 vcc_lo, v[26:27], v[28:29]
	s_or_b32 s7, vcc_lo, s7
	s_waitcnt vmcnt(20)
	v_fma_f64 v[58:59], v[85:86], v[101:102], v[58:59]
	v_fma_f64 v[81:82], v[87:88], v[101:102], v[139:140]
	v_fma_f64 v[71:72], v[97:98], v[101:102], v[71:72]
	v_fma_f64 v[69:70], v[99:100], v[101:102], v[69:70]
	v_fma_f64 v[75:76], v[93:94], v[101:102], v[75:76]
	v_fma_f64 v[73:74], v[95:96], v[101:102], v[73:74]
	v_fma_f64 v[79:80], v[89:90], v[101:102], v[79:80]
	v_fma_f64 v[77:78], v[91:92], v[101:102], v[77:78]
	v_fma_f64 v[58:59], -v[87:88], v[103:104], v[58:59]
	v_fma_f64 v[101:102], v[85:86], v[103:104], v[81:82]
	v_fma_f64 v[99:100], -v[99:100], v[103:104], v[71:72]
	v_fma_f64 v[97:98], v[97:98], v[103:104], v[69:70]
	v_fma_f64 v[95:96], -v[95:96], v[103:104], v[75:76]
	v_fma_f64 v[93:94], v[93:94], v[103:104], v[73:74]
	v_fma_f64 v[91:92], -v[91:92], v[103:104], v[79:80]
	v_fma_f64 v[89:90], v[89:90], v[103:104], v[77:78]
	s_clause 0x3
	global_load_b128 v[69:72], v[151:152], off offset:64
	global_load_b128 v[73:76], v[151:152], off offset:80
	global_load_b128 v[77:80], v[151:152], off offset:96
	global_load_b128 v[81:84], v[151:152], off offset:112
	global_load_b128 v[85:88], v[137:138], off offset:16
	s_waitcnt vmcnt(20)
	v_fma_f64 v[58:59], v[50:51], v[117:118], v[58:59]
	v_fma_f64 v[101:102], v[52:53], v[117:118], v[101:102]
	v_fma_f64 v[99:100], v[105:106], v[117:118], v[99:100]
	v_fma_f64 v[97:98], v[107:108], v[117:118], v[97:98]
	v_fma_f64 v[95:96], v[109:110], v[117:118], v[95:96]
	v_fma_f64 v[93:94], v[111:112], v[117:118], v[93:94]
	v_fma_f64 v[91:92], v[113:114], v[117:118], v[91:92]
	v_fma_f64 v[89:90], v[115:116], v[117:118], v[89:90]
	v_fma_f64 v[58:59], -v[52:53], v[119:120], v[58:59]
	v_fma_f64 v[117:118], v[50:51], v[119:120], v[101:102]
	v_fma_f64 v[107:108], -v[107:108], v[119:120], v[99:100]
	v_fma_f64 v[105:106], v[105:106], v[119:120], v[97:98]
	v_fma_f64 v[111:112], -v[111:112], v[119:120], v[95:96]
	v_fma_f64 v[109:110], v[109:110], v[119:120], v[93:94]
	v_fma_f64 v[115:116], -v[115:116], v[119:120], v[91:92]
	v_fma_f64 v[113:114], v[113:114], v[119:120], v[89:90]
	s_clause 0x3
	global_load_b128 v[50:53], v[151:152], off offset:176
	global_load_b128 v[89:92], v[151:152], off offset:160
	global_load_b128 v[93:96], v[151:152], off offset:144
	global_load_b128 v[97:100], v[151:152], off offset:128
	global_load_b128 v[101:104], v[137:138], off offset:32
	s_waitcnt vmcnt(20)
	v_fma_f64 v[58:59], v[8:9], v[32:33], v[58:59]
	v_fma_f64 v[117:118], v[10:11], v[32:33], v[117:118]
	v_fma_f64 v[107:108], v[4:5], v[32:33], v[107:108]
	v_fma_f64 v[105:106], v[6:7], v[32:33], v[105:106]
	v_fma_f64 v[111:112], v[0:1], v[32:33], v[111:112]
	v_fma_f64 v[109:110], v[2:3], v[32:33], v[109:110]
	v_fma_f64 v[115:116], v[12:13], v[32:33], v[115:116]
	v_fma_f64 v[32:33], v[14:15], v[32:33], v[113:114]
	v_fma_f64 v[58:59], -v[10:11], v[34:35], v[58:59]
	v_fma_f64 v[113:114], v[8:9], v[34:35], v[117:118]
	v_fma_f64 v[117:118], -v[6:7], v[34:35], v[107:108]
	v_fma_f64 v[119:120], v[4:5], v[34:35], v[105:106]
	v_fma_f64 v[111:112], -v[2:3], v[34:35], v[111:112]
	v_fma_f64 v[109:110], v[0:1], v[34:35], v[109:110]
	v_fma_f64 v[115:116], -v[14:15], v[34:35], v[115:116]
	v_fma_f64 v[32:33], v[12:13], v[34:35], v[32:33]
	s_clause 0x3
	global_load_b128 v[0:3], v[151:152], off offset:192
	global_load_b128 v[4:7], v[151:152], off offset:208
	global_load_b128 v[8:11], v[151:152], off offset:224
	global_load_b128 v[12:15], v[151:152], off offset:240
	global_load_b128 v[105:108], v[137:138], off offset:48
	s_waitcnt vmcnt(20)
	v_fma_f64 v[34:35], v[36:37], v[61:62], v[58:59]
	v_fma_f64 v[58:59], v[38:39], v[61:62], v[113:114]
	v_fma_f64 v[113:114], v[40:41], v[61:62], v[117:118]
	v_fma_f64 v[117:118], v[42:43], v[61:62], v[119:120]
	v_fma_f64 v[111:112], v[44:45], v[61:62], v[111:112]
	v_fma_f64 v[109:110], v[46:47], v[61:62], v[109:110]
	v_fma_f64 v[115:116], v[54:55], v[61:62], v[115:116]
	v_fma_f64 v[32:33], v[56:57], v[61:62], v[32:33]
	v_fma_f64 v[34:35], -v[38:39], v[63:64], v[34:35]
	v_fma_f64 v[36:37], v[36:37], v[63:64], v[58:59]
	v_fma_f64 v[38:39], -v[42:43], v[63:64], v[113:114]
	v_fma_f64 v[40:41], v[40:41], v[63:64], v[117:118]
	v_fma_f64 v[42:43], -v[46:47], v[63:64], v[111:112]
	v_fma_f64 v[44:45], v[44:45], v[63:64], v[109:110]
	v_fma_f64 v[46:47], -v[56:57], v[63:64], v[115:116]
	v_fma_f64 v[32:33], v[54:55], v[63:64], v[32:33]
	s_waitcnt vmcnt(15)
	v_fma_f64 v[34:35], v[129:130], v[65:66], v[34:35]
	v_fma_f64 v[36:37], v[131:132], v[65:66], v[36:37]
	v_fma_f64 v[38:39], v[133:134], v[65:66], v[38:39]
	v_fma_f64 v[40:41], v[135:136], v[65:66], v[40:41]
	v_fma_f64 v[42:43], v[125:126], v[65:66], v[42:43]
	v_fma_f64 v[44:45], v[127:128], v[65:66], v[44:45]
	v_fma_f64 v[46:47], v[121:122], v[65:66], v[46:47]
	v_fma_f64 v[32:33], v[123:124], v[65:66], v[32:33]
	v_fma_f64 v[34:35], -v[131:132], v[67:68], v[34:35]
	v_fma_f64 v[36:37], v[129:130], v[67:68], v[36:37]
	v_fma_f64 v[38:39], -v[135:136], v[67:68], v[38:39]
	v_fma_f64 v[40:41], v[133:134], v[67:68], v[40:41]
	v_fma_f64 v[42:43], -v[127:128], v[67:68], v[42:43]
	v_fma_f64 v[44:45], v[125:126], v[67:68], v[44:45]
	v_fma_f64 v[46:47], -v[123:124], v[67:68], v[46:47]
	v_fma_f64 v[32:33], v[121:122], v[67:68], v[32:33]
	;; [unrolled: 17-line block ×5, first 2 shown]
	s_and_not1_b32 exec_lo, exec_lo, s7
	s_cbranch_execnz .LBB57_37
; %bb.38:
	s_or_b32 exec_lo, exec_lo, s7
.LBB57_39:
	s_delay_alu instid0(SALU_CYCLE_1)
	s_or_b32 exec_lo, exec_lo, s6
.LBB57_40:
	s_delay_alu instid0(SALU_CYCLE_1)
	s_or_b32 exec_lo, exec_lo, s1
.LBB57_41:
	v_mbcnt_lo_u32_b32 v48, -1, 0
	s_delay_alu instid0(VALU_DEP_1) | instskip(SKIP_1) | instid1(VALU_DEP_2)
	v_xor_b32_e32 v0, 8, v48
	v_xor_b32_e32 v26, 4, v48
	v_cmp_gt_i32_e32 vcc_lo, 32, v0
	v_cndmask_b32_e32 v0, v48, v0, vcc_lo
	s_delay_alu instid0(VALU_DEP_3) | instskip(NEXT) | instid1(VALU_DEP_2)
	v_cmp_gt_i32_e32 vcc_lo, 32, v26
	v_dual_cndmask_b32 v26, v48, v26 :: v_dual_lshlrev_b32 v15, 2, v0
	ds_bpermute_b32 v0, v15, v40
	ds_bpermute_b32 v1, v15, v41
	;; [unrolled: 1-line block ×16, first 2 shown]
	s_waitcnt lgkmcnt(0)
	v_add_f64 v[0:1], v[40:41], v[0:1]
	v_lshlrev_b32_e32 v41, 2, v26
	v_add_f64 v[6:7], v[38:39], v[6:7]
	v_add_f64 v[12:13], v[34:35], v[12:13]
	;; [unrolled: 1-line block ×7, first 2 shown]
	ds_bpermute_b32 v26, v41, v0
	ds_bpermute_b32 v27, v41, v1
	;; [unrolled: 1-line block ×16, first 2 shown]
	s_waitcnt lgkmcnt(14)
	v_add_f64 v[0:1], v[0:1], v[26:27]
	s_waitcnt lgkmcnt(12)
	v_add_f64 v[6:7], v[6:7], v[32:33]
	;; [unrolled: 2-line block ×8, first 2 shown]
	v_xor_b32_e32 v14, 2, v48
	s_delay_alu instid0(VALU_DEP_1) | instskip(SKIP_1) | instid1(VALU_DEP_1)
	v_cmp_gt_i32_e32 vcc_lo, 32, v14
	v_cndmask_b32_e32 v14, v48, v14, vcc_lo
	v_lshlrev_b32_e32 v41, 2, v14
	ds_bpermute_b32 v14, v41, v0
	ds_bpermute_b32 v15, v41, v1
	;; [unrolled: 1-line block ×6, first 2 shown]
	s_waitcnt lgkmcnt(4)
	v_add_f64 v[0:1], v[0:1], v[14:15]
	s_waitcnt lgkmcnt(2)
	v_add_f64 v[14:15], v[6:7], v[32:33]
	;; [unrolled: 2-line block ×3, first 2 shown]
	v_xor_b32_e32 v12, 1, v48
	s_delay_alu instid0(VALU_DEP_1)
	v_cmp_gt_i32_e32 vcc_lo, 32, v12
	v_cndmask_b32_e32 v12, v48, v12, vcc_lo
	ds_bpermute_b32 v28, v41, v2
	ds_bpermute_b32 v29, v41, v3
	;; [unrolled: 1-line block ×10, first 2 shown]
	v_cmp_eq_u32_e32 vcc_lo, 15, v60
	s_waitcnt lgkmcnt(8)
	v_add_f64 v[28:29], v[2:3], v[28:29]
	s_waitcnt lgkmcnt(6)
	v_add_f64 v[2:3], v[4:5], v[30:31]
	;; [unrolled: 2-line block ×3, first 2 shown]
	v_lshlrev_b32_e32 v35, 2, v12
	s_waitcnt lgkmcnt(2)
	v_add_f64 v[10:11], v[10:11], v[36:37]
	s_waitcnt lgkmcnt(0)
	v_add_f64 v[8:9], v[26:27], v[40:41]
	ds_bpermute_b32 v12, v35, v0
	ds_bpermute_b32 v13, v35, v1
	;; [unrolled: 1-line block ×16, first 2 shown]
	s_and_b32 exec_lo, exec_lo, vcc_lo
	s_cbranch_execz .LBB57_12
; %bb.42:
	s_waitcnt lgkmcnt(8)
	v_add_f64 v[28:29], v[28:29], v[40:41]
	v_add_f64 v[14:15], v[14:15], v[38:39]
	s_waitcnt lgkmcnt(2)
	v_add_f64 v[10:11], v[10:11], v[36:37]
	s_waitcnt lgkmcnt(0)
	v_add_f64 v[8:9], v[8:9], v[34:35]
	v_add_f64 v[0:1], v[0:1], v[12:13]
	;; [unrolled: 1-line block ×5, first 2 shown]
	v_cmp_eq_f64_e32 vcc_lo, 0, v[16:17]
	v_cmp_eq_f64_e64 s0, 0, v[18:19]
	s_load_b64 s[2:3], s[2:3], 0x68
	v_mul_f64 v[4:5], v[28:29], -v[22:23]
	v_mul_f64 v[6:7], v[20:21], v[28:29]
	v_mul_f64 v[28:29], v[14:15], -v[22:23]
	v_mul_f64 v[32:33], v[20:21], v[14:15]
	v_mul_f64 v[34:35], v[10:11], -v[22:23]
	v_mul_f64 v[36:37], v[20:21], v[10:11]
	v_mul_f64 v[38:39], v[8:9], -v[22:23]
	v_mul_f64 v[40:41], v[20:21], v[8:9]
	s_and_b32 s0, vcc_lo, s0
	v_fma_f64 v[12:13], v[20:21], v[0:1], v[4:5]
	v_fma_f64 v[14:15], v[22:23], v[0:1], v[6:7]
	;; [unrolled: 1-line block ×8, first 2 shown]
	v_lshlrev_b64 v[20:21], 6, v[24:25]
	s_and_saveexec_b32 s1, s0
	s_delay_alu instid0(SALU_CYCLE_1)
	s_xor_b32 s0, exec_lo, s1
	s_cbranch_execz .LBB57_44
; %bb.43:
	s_waitcnt lgkmcnt(0)
	s_delay_alu instid0(VALU_DEP_1)
	v_add_co_u32 v16, vcc_lo, s2, v20
	v_add_co_ci_u32_e32 v17, vcc_lo, s3, v21, vcc_lo
                                        ; implicit-def: $vgpr18_vgpr19
                                        ; implicit-def: $vgpr20_vgpr21
	s_clause 0x3
	global_store_b128 v[16:17], v[12:15], off
	global_store_b128 v[16:17], v[8:11], off offset:16
	global_store_b128 v[16:17], v[4:7], off offset:32
	;; [unrolled: 1-line block ×3, first 2 shown]
                                        ; implicit-def: $vgpr16_vgpr17
                                        ; implicit-def: $vgpr12_vgpr13
                                        ; implicit-def: $vgpr8_vgpr9
                                        ; implicit-def: $vgpr4_vgpr5
                                        ; implicit-def: $vgpr0_vgpr1
.LBB57_44:
	s_and_not1_saveexec_b32 s0, s0
	s_cbranch_execz .LBB57_12
; %bb.45:
	s_waitcnt lgkmcnt(0)
	v_add_co_u32 v36, vcc_lo, s2, v20
	v_add_co_ci_u32_e32 v37, vcc_lo, s3, v21, vcc_lo
	s_clause 0x3
	global_load_b128 v[20:23], v[36:37], off
	global_load_b128 v[24:27], v[36:37], off offset:16
	global_load_b128 v[28:31], v[36:37], off offset:32
	global_load_b128 v[32:35], v[36:37], off offset:48
	s_waitcnt vmcnt(3)
	v_fma_f64 v[12:13], v[16:17], v[20:21], v[12:13]
	v_fma_f64 v[14:15], v[18:19], v[20:21], v[14:15]
	s_waitcnt vmcnt(2)
	v_fma_f64 v[8:9], v[16:17], v[24:25], v[8:9]
	v_fma_f64 v[10:11], v[18:19], v[24:25], v[10:11]
	;; [unrolled: 3-line block ×4, first 2 shown]
	v_fma_f64 v[0:1], -v[18:19], v[22:23], v[12:13]
	v_fma_f64 v[2:3], v[16:17], v[22:23], v[14:15]
	v_fma_f64 v[4:5], -v[18:19], v[26:27], v[8:9]
	v_fma_f64 v[6:7], v[16:17], v[26:27], v[10:11]
	;; [unrolled: 2-line block ×4, first 2 shown]
	s_clause 0x3
	global_store_b128 v[36:37], v[0:3], off
	global_store_b128 v[36:37], v[4:7], off offset:16
	global_store_b128 v[36:37], v[8:11], off offset:32
	;; [unrolled: 1-line block ×3, first 2 shown]
	s_nop 0
	s_sendmsg sendmsg(MSG_DEALLOC_VGPRS)
	s_endpgm
	.section	.rodata,"a",@progbits
	.p2align	6, 0x0
	.amdhsa_kernel _ZN9rocsparseL18bsrxmvn_4x4_kernelILj128ELj16E21rocsparse_complex_numIdEllS2_S2_S2_EEvT3_20rocsparse_direction_NS_24const_host_device_scalarIT1_EES3_PKS3_PKT2_SC_S9_PKT4_PKT5_S7_PT6_21rocsparse_index_base_b
		.amdhsa_group_segment_fixed_size 2048
		.amdhsa_private_segment_fixed_size 0
		.amdhsa_kernarg_size 120
		.amdhsa_user_sgpr_count 15
		.amdhsa_user_sgpr_dispatch_ptr 1
		.amdhsa_user_sgpr_queue_ptr 0
		.amdhsa_user_sgpr_kernarg_segment_ptr 1
		.amdhsa_user_sgpr_dispatch_id 0
		.amdhsa_user_sgpr_private_segment_size 0
		.amdhsa_wavefront_size32 1
		.amdhsa_uses_dynamic_stack 0
		.amdhsa_enable_private_segment 0
		.amdhsa_system_sgpr_workgroup_id_x 1
		.amdhsa_system_sgpr_workgroup_id_y 0
		.amdhsa_system_sgpr_workgroup_id_z 0
		.amdhsa_system_sgpr_workgroup_info 0
		.amdhsa_system_vgpr_workitem_id 2
		.amdhsa_next_free_vgpr 163
		.amdhsa_next_free_sgpr 18
		.amdhsa_reserve_vcc 1
		.amdhsa_float_round_mode_32 0
		.amdhsa_float_round_mode_16_64 0
		.amdhsa_float_denorm_mode_32 3
		.amdhsa_float_denorm_mode_16_64 3
		.amdhsa_dx10_clamp 1
		.amdhsa_ieee_mode 1
		.amdhsa_fp16_overflow 0
		.amdhsa_workgroup_processor_mode 1
		.amdhsa_memory_ordered 1
		.amdhsa_forward_progress 0
		.amdhsa_shared_vgpr_count 0
		.amdhsa_exception_fp_ieee_invalid_op 0
		.amdhsa_exception_fp_denorm_src 0
		.amdhsa_exception_fp_ieee_div_zero 0
		.amdhsa_exception_fp_ieee_overflow 0
		.amdhsa_exception_fp_ieee_underflow 0
		.amdhsa_exception_fp_ieee_inexact 0
		.amdhsa_exception_int_div_zero 0
	.end_amdhsa_kernel
	.section	.text._ZN9rocsparseL18bsrxmvn_4x4_kernelILj128ELj16E21rocsparse_complex_numIdEllS2_S2_S2_EEvT3_20rocsparse_direction_NS_24const_host_device_scalarIT1_EES3_PKS3_PKT2_SC_S9_PKT4_PKT5_S7_PT6_21rocsparse_index_base_b,"axG",@progbits,_ZN9rocsparseL18bsrxmvn_4x4_kernelILj128ELj16E21rocsparse_complex_numIdEllS2_S2_S2_EEvT3_20rocsparse_direction_NS_24const_host_device_scalarIT1_EES3_PKS3_PKT2_SC_S9_PKT4_PKT5_S7_PT6_21rocsparse_index_base_b,comdat
.Lfunc_end57:
	.size	_ZN9rocsparseL18bsrxmvn_4x4_kernelILj128ELj16E21rocsparse_complex_numIdEllS2_S2_S2_EEvT3_20rocsparse_direction_NS_24const_host_device_scalarIT1_EES3_PKS3_PKT2_SC_S9_PKT4_PKT5_S7_PT6_21rocsparse_index_base_b, .Lfunc_end57-_ZN9rocsparseL18bsrxmvn_4x4_kernelILj128ELj16E21rocsparse_complex_numIdEllS2_S2_S2_EEvT3_20rocsparse_direction_NS_24const_host_device_scalarIT1_EES3_PKS3_PKT2_SC_S9_PKT4_PKT5_S7_PT6_21rocsparse_index_base_b
                                        ; -- End function
	.section	.AMDGPU.csdata,"",@progbits
; Kernel info:
; codeLenInByte = 11208
; NumSgprs: 20
; NumVgprs: 163
; ScratchSize: 0
; MemoryBound: 1
; FloatMode: 240
; IeeeMode: 1
; LDSByteSize: 2048 bytes/workgroup (compile time only)
; SGPRBlocks: 2
; VGPRBlocks: 20
; NumSGPRsForWavesPerEU: 20
; NumVGPRsForWavesPerEU: 163
; Occupancy: 9
; WaveLimiterHint : 1
; COMPUTE_PGM_RSRC2:SCRATCH_EN: 0
; COMPUTE_PGM_RSRC2:USER_SGPR: 15
; COMPUTE_PGM_RSRC2:TRAP_HANDLER: 0
; COMPUTE_PGM_RSRC2:TGID_X_EN: 1
; COMPUTE_PGM_RSRC2:TGID_Y_EN: 0
; COMPUTE_PGM_RSRC2:TGID_Z_EN: 0
; COMPUTE_PGM_RSRC2:TIDIG_COMP_CNT: 2
	.section	.text._ZN9rocsparseL18bsrxmvn_4x4_kernelILj128ELj32E21rocsparse_complex_numIdEllS2_S2_S2_EEvT3_20rocsparse_direction_NS_24const_host_device_scalarIT1_EES3_PKS3_PKT2_SC_S9_PKT4_PKT5_S7_PT6_21rocsparse_index_base_b,"axG",@progbits,_ZN9rocsparseL18bsrxmvn_4x4_kernelILj128ELj32E21rocsparse_complex_numIdEllS2_S2_S2_EEvT3_20rocsparse_direction_NS_24const_host_device_scalarIT1_EES3_PKS3_PKT2_SC_S9_PKT4_PKT5_S7_PT6_21rocsparse_index_base_b,comdat
	.globl	_ZN9rocsparseL18bsrxmvn_4x4_kernelILj128ELj32E21rocsparse_complex_numIdEllS2_S2_S2_EEvT3_20rocsparse_direction_NS_24const_host_device_scalarIT1_EES3_PKS3_PKT2_SC_S9_PKT4_PKT5_S7_PT6_21rocsparse_index_base_b ; -- Begin function _ZN9rocsparseL18bsrxmvn_4x4_kernelILj128ELj32E21rocsparse_complex_numIdEllS2_S2_S2_EEvT3_20rocsparse_direction_NS_24const_host_device_scalarIT1_EES3_PKS3_PKT2_SC_S9_PKT4_PKT5_S7_PT6_21rocsparse_index_base_b
	.p2align	8
	.type	_ZN9rocsparseL18bsrxmvn_4x4_kernelILj128ELj32E21rocsparse_complex_numIdEllS2_S2_S2_EEvT3_20rocsparse_direction_NS_24const_host_device_scalarIT1_EES3_PKS3_PKT2_SC_S9_PKT4_PKT5_S7_PT6_21rocsparse_index_base_b,@function
_ZN9rocsparseL18bsrxmvn_4x4_kernelILj128ELj32E21rocsparse_complex_numIdEllS2_S2_S2_EEvT3_20rocsparse_direction_NS_24const_host_device_scalarIT1_EES3_PKS3_PKT2_SC_S9_PKT4_PKT5_S7_PT6_21rocsparse_index_base_b: ; @_ZN9rocsparseL18bsrxmvn_4x4_kernelILj128ELj32E21rocsparse_complex_numIdEllS2_S2_S2_EEvT3_20rocsparse_direction_NS_24const_host_device_scalarIT1_EES3_PKS3_PKT2_SC_S9_PKT4_PKT5_S7_PT6_21rocsparse_index_base_b
; %bb.0:
	s_load_b64 s[12:13], s[2:3], 0x70
	s_load_b64 s[16:17], s[0:1], 0x4
	s_load_b128 s[8:11], s[2:3], 0x10
	v_bfe_u32 v1, v0, 10, 10
	s_mov_b64 s[0:1], src_shared_base
	s_load_b128 s[4:7], s[2:3], 0x58
	v_and_b32_e32 v2, 0x3ff, v0
	v_bfe_u32 v0, v0, 20, 10
	s_waitcnt lgkmcnt(0)
	s_bitcmp1_b32 s13, 0
	v_mul_u32_u24_e32 v1, s17, v1
	v_mov_b32_e32 v3, s8
	s_cselect_b32 s0, -1, 0
	v_mov_b32_e32 v23, s11
	s_and_b32 vcc_lo, s0, exec_lo
	s_cselect_b32 s13, s1, s9
	s_lshr_b32 s14, s16, 16
	v_dual_mov_b32 v6, s5 :: v_dual_mov_b32 v5, s4
	s_mul_i32 s14, s14, s17
	v_mov_b32_e32 v8, s13
	v_mad_u32_u24 v1, s14, v2, v1
	v_mov_b32_e32 v22, s10
	s_xor_b32 s10, s0, -1
	v_mov_b32_e32 v4, s9
	s_delay_alu instid0(VALU_DEP_3) | instskip(NEXT) | instid1(VALU_DEP_1)
	v_add_lshl_u32 v0, v1, v0, 3
	v_add_nc_u32_e32 v1, 0x400, v0
	ds_store_2addr_stride64_b64 v0, v[5:6], v[3:4] offset1:2
	v_cndmask_b32_e64 v7, s8, v1, s0
	flat_load_b64 v[20:21], v[7:8]
	s_cbranch_vccnz .LBB58_2
; %bb.1:
	v_dual_mov_b32 v3, s8 :: v_dual_mov_b32 v4, s9
	flat_load_b64 v[22:23], v[3:4] offset:8
.LBB58_2:
	s_and_b32 s8, s0, exec_lo
	s_cselect_b32 s1, s1, s5
	v_cndmask_b32_e64 v0, s4, v0, s0
	v_mov_b32_e32 v1, s1
	v_dual_mov_b32 v19, s7 :: v_dual_mov_b32 v18, s6
	s_and_not1_b32 vcc_lo, exec_lo, s10
	flat_load_b64 v[16:17], v[0:1]
	s_cbranch_vccnz .LBB58_4
; %bb.3:
	v_dual_mov_b32 v0, s4 :: v_dual_mov_b32 v1, s5
	flat_load_b64 v[18:19], v[0:1] offset:8
.LBB58_4:
	s_waitcnt vmcnt(1) lgkmcnt(1)
	v_cmp_eq_f64_e32 vcc_lo, 0, v[20:21]
	v_cmp_eq_f64_e64 s0, 0, v[22:23]
	s_delay_alu instid0(VALU_DEP_1)
	s_and_b32 s4, vcc_lo, s0
	s_mov_b32 s0, -1
	s_and_saveexec_b32 s1, s4
	s_cbranch_execz .LBB58_6
; %bb.5:
	s_waitcnt vmcnt(0) lgkmcnt(0)
	v_cmp_neq_f64_e32 vcc_lo, 1.0, v[16:17]
	v_cmp_neq_f64_e64 s0, 0, v[18:19]
	s_delay_alu instid0(VALU_DEP_1) | instskip(NEXT) | instid1(SALU_CYCLE_1)
	s_or_b32 s0, vcc_lo, s0
	s_or_not1_b32 s0, s0, exec_lo
.LBB58_6:
	s_or_b32 exec_lo, exec_lo, s1
	s_and_saveexec_b32 s1, s0
	s_cbranch_execz .LBB58_12
; %bb.7:
	s_load_b64 s[0:1], s[2:3], 0x28
	v_lshrrev_b32_e32 v0, 5, v2
	v_mov_b32_e32 v1, 0
	s_mov_b32 s4, 0
	s_delay_alu instid0(VALU_DEP_2)
	v_lshl_or_b32 v0, s15, 2, v0
	s_waitcnt lgkmcnt(0)
	s_cmp_lg_u64 s[0:1], 0
	s_cbranch_scc0 .LBB58_13
; %bb.8:
	s_load_b64 s[4:5], s[2:3], 0x20
                                        ; implicit-def: $vgpr24_vgpr25
	s_waitcnt lgkmcnt(0)
	v_cmp_gt_i64_e32 vcc_lo, s[4:5], v[0:1]
	s_mov_b32 s5, 0
	s_mov_b32 s4, 0
	s_and_saveexec_b32 s6, vcc_lo
	s_delay_alu instid0(SALU_CYCLE_1)
	s_xor_b32 s6, exec_lo, s6
                                        ; implicit-def: $sgpr14_sgpr15
	s_cbranch_execz .LBB58_10
; %bb.9:
	v_lshlrev_b64 v[3:4], 3, v[0:1]
	s_mov_b32 s4, exec_lo
	s_mov_b32 s15, 0
	s_delay_alu instid0(VALU_DEP_1) | instskip(NEXT) | instid1(VALU_DEP_2)
	v_add_co_u32 v3, vcc_lo, s0, v3
	v_add_co_ci_u32_e32 v4, vcc_lo, s1, v4, vcc_lo
	global_load_b64 v[3:4], v[3:4], off
	s_waitcnt vmcnt(0)
	v_sub_co_u32 v24, vcc_lo, v3, s12
	v_subrev_co_ci_u32_e32 v25, vcc_lo, 0, v4, vcc_lo
.LBB58_10:
	s_or_b32 exec_lo, exec_lo, s6
	s_delay_alu instid0(SALU_CYCLE_1)
	s_and_b32 vcc_lo, exec_lo, s5
	s_cbranch_vccnz .LBB58_14
.LBB58_11:
	s_and_b32 exec_lo, exec_lo, s4
	s_cbranch_execnz .LBB58_17
.LBB58_12:
	s_nop 0
	s_sendmsg sendmsg(MSG_DEALLOC_VGPRS)
	s_endpgm
.LBB58_13:
                                        ; implicit-def: $vgpr24_vgpr25
                                        ; implicit-def: $sgpr14_sgpr15
	s_cbranch_execz .LBB58_11
.LBB58_14:
	s_load_b64 s[0:1], s[2:3], 0x0
                                        ; implicit-def: $vgpr24_vgpr25
	s_waitcnt lgkmcnt(0)
	v_cmp_gt_i64_e32 vcc_lo, s[0:1], v[0:1]
	s_and_saveexec_b32 s0, vcc_lo
                                        ; implicit-def: $sgpr14_sgpr15
; %bb.15:
	v_dual_mov_b32 v25, v1 :: v_dual_mov_b32 v24, v0
	s_mov_b32 s15, 0
	s_or_b32 s4, s4, exec_lo
; %bb.16:
	s_or_b32 exec_lo, exec_lo, s0
	s_delay_alu instid0(SALU_CYCLE_1)
	s_and_b32 exec_lo, exec_lo, s4
	s_cbranch_execz .LBB58_12
.LBB58_17:
	s_load_b256 s[4:11], s[2:3], 0x30
	v_lshlrev_b64 v[0:1], 3, v[24:25]
	v_and_b32_e32 v60, 31, v2
	s_load_b32 s1, s[2:3], 0x8
	s_waitcnt lgkmcnt(0)
	s_delay_alu instid0(VALU_DEP_2) | instskip(NEXT) | instid1(VALU_DEP_3)
	v_add_co_u32 v3, vcc_lo, s4, v0
	v_add_co_ci_u32_e32 v4, vcc_lo, s5, v1, vcc_lo
	v_add_co_u32 v0, vcc_lo, s6, v0
	v_add_co_ci_u32_e32 v1, vcc_lo, s7, v1, vcc_lo
	s_delay_alu instid0(VALU_DEP_4) | instskip(NEXT) | instid1(VALU_DEP_4)
	v_add_co_u32 v5, vcc_lo, v3, 8
	v_add_co_ci_u32_e32 v6, vcc_lo, 0, v4, vcc_lo
	global_load_b64 v[48:49], v[3:4], off
	s_cmp_eq_u64 s[6:7], 0
	s_load_b64 s[6:7], s[2:3], 0x50
	s_cselect_b32 vcc_lo, -1, 0
	s_cmp_eq_u32 s1, 1
	v_dual_cndmask_b32 v1, v1, v6 :: v_dual_cndmask_b32 v0, v0, v5
	global_load_b64 v[0:1], v[0:1], off
	s_waitcnt vmcnt(1)
	v_sub_co_u32 v2, vcc_lo, v48, s12
	v_subrev_co_ci_u32_e32 v3, vcc_lo, s15, v49, vcc_lo
	s_delay_alu instid0(VALU_DEP_2) | instskip(NEXT) | instid1(VALU_DEP_2)
	v_add_co_u32 v26, vcc_lo, v2, v60
	v_add_co_ci_u32_e32 v27, vcc_lo, 0, v3, vcc_lo
	s_waitcnt vmcnt(0)
	v_sub_co_u32 v28, vcc_lo, v0, s12
	v_subrev_co_ci_u32_e32 v29, vcc_lo, s15, v1, vcc_lo
	s_delay_alu instid0(VALU_DEP_3) | instskip(NEXT) | instid1(VALU_DEP_2)
	v_lshlrev_b64 v[0:1], 8, v[26:27]
	v_cmp_lt_i64_e64 s0, v[26:27], v[28:29]
	s_delay_alu instid0(VALU_DEP_2) | instskip(NEXT) | instid1(VALU_DEP_3)
	v_add_co_u32 v30, vcc_lo, s10, v0
	v_add_co_ci_u32_e32 v31, vcc_lo, s11, v1, vcc_lo
	s_cbranch_scc1 .LBB58_29
; %bb.18:
	v_mov_b32_e32 v36, 0
	v_mov_b32_e32 v37, 0
	s_delay_alu instid0(VALU_DEP_2) | instskip(NEXT) | instid1(VALU_DEP_2)
	v_mov_b32_e32 v34, v36
	v_dual_mov_b32 v32, v36 :: v_dual_mov_b32 v33, v37
	v_dual_mov_b32 v41, v37 :: v_dual_mov_b32 v40, v36
	v_mov_b32_e32 v35, v37
	v_dual_mov_b32 v43, v37 :: v_dual_mov_b32 v42, v36
	v_dual_mov_b32 v45, v37 :: v_dual_mov_b32 v44, v36
	;; [unrolled: 1-line block ×4, first 2 shown]
	s_and_saveexec_b32 s5, s0
	s_cbranch_execz .LBB58_28
; %bb.19:
	v_or_b32_e32 v0, 32, v60
	v_not_b32_e32 v3, v48
	v_not_b32_e32 v2, v49
	v_dual_mov_b32 v38, 0 :: v_dual_mov_b32 v51, v31
	s_delay_alu instid0(VALU_DEP_4) | instskip(NEXT) | instid1(VALU_DEP_1)
	v_sub_co_u32 v0, s1, v0, s12
	v_sub_co_ci_u32_e64 v1, null, 0, s15, s1
	v_sub_co_u32 v4, s1, s12, v60
	s_delay_alu instid0(VALU_DEP_3) | instskip(NEXT) | instid1(VALU_DEP_3)
	v_add_co_u32 v0, vcc_lo, v0, v48
	v_add_co_ci_u32_e32 v1, vcc_lo, v1, v49, vcc_lo
	v_sub_co_ci_u32_e64 v5, null, s15, 0, s1
	s_mov_b32 s10, 0
	s_delay_alu instid0(VALU_DEP_2)
	v_cmp_gt_i64_e32 vcc_lo, v[0:1], v[28:29]
	s_mov_b32 s4, exec_lo
	v_dual_mov_b32 v53, v27 :: v_dual_mov_b32 v52, v26
	v_dual_cndmask_b32 v1, v29, v1 :: v_dual_cndmask_b32 v0, v28, v0
	v_add_co_u32 v3, vcc_lo, v4, v3
	v_add_co_ci_u32_e32 v2, vcc_lo, v5, v2, vcc_lo
	s_delay_alu instid0(VALU_DEP_2) | instskip(NEXT) | instid1(VALU_DEP_2)
	v_add_co_u32 v0, vcc_lo, v3, v0
	v_add_co_ci_u32_e32 v1, vcc_lo, v2, v1, vcc_lo
	s_delay_alu instid0(VALU_DEP_2) | instskip(NEXT) | instid1(VALU_DEP_1)
	v_lshrrev_b32_e32 v2, 5, v0
	v_dual_mov_b32 v39, 0 :: v_dual_add_nc_u32 v2, 1, v2
	s_delay_alu instid0(VALU_DEP_1)
	v_dual_mov_b32 v50, v30 :: v_dual_mov_b32 v47, v39
	v_dual_mov_b32 v46, v38 :: v_dual_mov_b32 v45, v39
	;; [unrolled: 1-line block ×4, first 2 shown]
	v_mov_b32_e32 v34, v38
	v_mov_b32_e32 v40, v38
	;; [unrolled: 1-line block ×3, first 2 shown]
	v_dual_mov_b32 v42, v38 :: v_dual_mov_b32 v33, v39
	v_dual_mov_b32 v35, v39 :: v_dual_and_b32 v2, 3, v2
	v_mov_b32_e32 v37, v39
	s_delay_alu instid0(VALU_DEP_2)
	v_cmpx_ne_u32_e32 0, v2
	s_cbranch_execz .LBB58_23
; %bb.20:
	v_lshlrev_b64 v[4:5], 3, v[26:27]
	v_dual_mov_b32 v3, 0 :: v_dual_mov_b32 v36, 0
	v_dual_mov_b32 v37, 0 :: v_dual_lshlrev_b32 v2, 3, v2
	v_dual_mov_b32 v53, v27 :: v_dual_mov_b32 v52, v26
	s_delay_alu instid0(VALU_DEP_4)
	v_add_co_u32 v4, vcc_lo, s8, v4
	v_add_co_ci_u32_e32 v5, vcc_lo, s9, v5, vcc_lo
	v_dual_mov_b32 v51, v31 :: v_dual_mov_b32 v50, v30
	v_dual_mov_b32 v41, v37 :: v_dual_mov_b32 v40, v36
	;; [unrolled: 1-line block ×8, first 2 shown]
.LBB58_21:                              ; =>This Inner Loop Header: Depth=1
	global_load_b64 v[14:15], v[4:5], off
	s_clause 0x7
	global_load_b128 v[6:9], v[50:51], off offset:16
	global_load_b128 v[10:13], v[50:51], off
	global_load_b128 v[54:57], v[50:51], off offset:80
	global_load_b128 v[61:64], v[50:51], off offset:64
	;; [unrolled: 1-line block ×6, first 2 shown]
	v_add_co_u32 v4, s1, 0x100, v4
	s_delay_alu instid0(VALU_DEP_1) | instskip(SKIP_3) | instid1(VALU_DEP_1)
	v_add_co_ci_u32_e64 v5, s1, 0, v5, s1
	s_waitcnt vmcnt(8)
	v_sub_co_u32 v14, vcc_lo, v14, s12
	v_subrev_co_ci_u32_e32 v15, vcc_lo, s15, v15, vcc_lo
	v_lshlrev_b64 v[14:15], 6, v[14:15]
	s_waitcnt lgkmcnt(0)
	s_delay_alu instid0(VALU_DEP_1) | instskip(NEXT) | instid1(VALU_DEP_2)
	v_add_co_u32 v14, vcc_lo, s6, v14
	v_add_co_ci_u32_e32 v15, vcc_lo, s7, v15, vcc_lo
	s_clause 0x1
	global_load_b128 v[81:84], v[14:15], off
	global_load_b128 v[85:88], v[14:15], off offset:16
	s_clause 0x7
	global_load_b128 v[89:92], v[50:51], off offset:48
	global_load_b128 v[93:96], v[50:51], off offset:32
	;; [unrolled: 1-line block ×8, first 2 shown]
	s_clause 0x1
	global_load_b128 v[121:124], v[14:15], off offset:32
	global_load_b128 v[125:128], v[14:15], off offset:48
	v_add_co_u32 v50, vcc_lo, 0x2000, v50
	v_add_co_ci_u32_e32 v51, vcc_lo, 0, v51, vcc_lo
	v_add_co_u32 v2, vcc_lo, v2, -8
	v_add_co_ci_u32_e32 v3, vcc_lo, -1, v3, vcc_lo
	v_add_co_u32 v52, vcc_lo, v52, 32
	v_add_co_ci_u32_e32 v53, vcc_lo, 0, v53, vcc_lo
	s_delay_alu instid0(VALU_DEP_3)
	v_cmp_eq_u64_e32 vcc_lo, 0, v[2:3]
	s_or_b32 s10, vcc_lo, s10
	s_waitcnt vmcnt(11)
	v_fma_f64 v[14:15], v[10:11], v[81:82], v[40:41]
	v_fma_f64 v[36:37], v[12:13], v[81:82], v[36:37]
	v_fma_f64 v[40:41], v[61:62], v[81:82], v[46:47]
	v_fma_f64 v[38:39], v[63:64], v[81:82], v[38:39]
	v_fma_f64 v[42:43], v[69:70], v[81:82], v[42:43]
	v_fma_f64 v[44:45], v[71:72], v[81:82], v[44:45]
	v_fma_f64 v[34:35], v[77:78], v[81:82], v[34:35]
	v_fma_f64 v[32:33], v[79:80], v[81:82], v[32:33]
	v_fma_f64 v[12:13], -v[12:13], v[83:84], v[14:15]
	v_fma_f64 v[10:11], v[10:11], v[83:84], v[36:37]
	v_fma_f64 v[14:15], -v[63:64], v[83:84], v[40:41]
	v_fma_f64 v[36:37], v[61:62], v[83:84], v[38:39]
	v_fma_f64 v[38:39], -v[71:72], v[83:84], v[42:43]
	v_fma_f64 v[40:41], v[69:70], v[83:84], v[44:45]
	v_fma_f64 v[34:35], -v[79:80], v[83:84], v[34:35]
	v_fma_f64 v[32:33], v[77:78], v[83:84], v[32:33]
	s_waitcnt vmcnt(10)
	v_fma_f64 v[12:13], v[6:7], v[85:86], v[12:13]
	v_fma_f64 v[10:11], v[8:9], v[85:86], v[10:11]
	v_fma_f64 v[14:15], v[54:55], v[85:86], v[14:15]
	v_fma_f64 v[36:37], v[56:57], v[85:86], v[36:37]
	v_fma_f64 v[38:39], v[65:66], v[85:86], v[38:39]
	v_fma_f64 v[40:41], v[67:68], v[85:86], v[40:41]
	v_fma_f64 v[34:35], v[73:74], v[85:86], v[34:35]
	v_fma_f64 v[32:33], v[75:76], v[85:86], v[32:33]
	v_fma_f64 v[8:9], -v[8:9], v[87:88], v[12:13]
	v_fma_f64 v[6:7], v[6:7], v[87:88], v[10:11]
	v_fma_f64 v[10:11], -v[56:57], v[87:88], v[14:15]
	v_fma_f64 v[12:13], v[54:55], v[87:88], v[36:37]
	v_fma_f64 v[14:15], -v[67:68], v[87:88], v[38:39]
	v_fma_f64 v[36:37], v[65:66], v[87:88], v[40:41]
	v_fma_f64 v[34:35], -v[75:76], v[87:88], v[34:35]
	v_fma_f64 v[32:33], v[73:74], v[87:88], v[32:33]
	;; [unrolled: 17-line block ×4, first 2 shown]
	s_and_not1_b32 exec_lo, exec_lo, s10
	s_cbranch_execnz .LBB58_21
; %bb.22:
	s_or_b32 exec_lo, exec_lo, s10
.LBB58_23:
	s_delay_alu instid0(SALU_CYCLE_1) | instskip(NEXT) | instid1(SALU_CYCLE_1)
	s_or_b32 exec_lo, exec_lo, s4
	s_mov_b32 s10, exec_lo
	v_cmpx_lt_u64_e32 0x5f, v[0:1]
	s_cbranch_execz .LBB58_27
; %bb.24:
	v_lshlrev_b64 v[0:1], 3, v[52:53]
	s_mov_b32 s11, 0
	s_delay_alu instid0(VALU_DEP_1) | instskip(NEXT) | instid1(VALU_DEP_2)
	v_add_co_u32 v0, vcc_lo, v0, s8
	v_add_co_ci_u32_e32 v1, vcc_lo, s9, v1, vcc_lo
	s_delay_alu instid0(VALU_DEP_2) | instskip(NEXT) | instid1(VALU_DEP_2)
	v_add_co_u32 v54, vcc_lo, 0x200, v0
	v_add_co_ci_u32_e32 v55, vcc_lo, 0, v1, vcc_lo
.LBB58_25:                              ; =>This Inner Loop Header: Depth=1
	s_clause 0x1
	global_load_b64 v[56:57], v[54:55], off offset:-512
	global_load_b64 v[58:59], v[54:55], off offset:-256
	s_clause 0x3
	global_load_b128 v[0:3], v[50:51], off
	global_load_b128 v[4:7], v[50:51], off offset:64
	global_load_b128 v[8:11], v[50:51], off offset:128
	;; [unrolled: 1-line block ×3, first 2 shown]
	s_waitcnt vmcnt(5)
	v_sub_co_u32 v56, vcc_lo, v56, s12
	v_subrev_co_ci_u32_e32 v57, vcc_lo, s15, v57, vcc_lo
	s_delay_alu instid0(VALU_DEP_1) | instskip(SKIP_1) | instid1(VALU_DEP_1)
	v_lshlrev_b64 v[56:57], 6, v[56:57]
	s_waitcnt lgkmcnt(0)
	v_add_co_u32 v56, vcc_lo, s6, v56
	s_delay_alu instid0(VALU_DEP_2)
	v_add_co_ci_u32_e32 v57, vcc_lo, s7, v57, vcc_lo
	v_add_co_u32 v143, vcc_lo, 0x2000, v50
	v_add_co_ci_u32_e32 v144, vcc_lo, 0, v51, vcc_lo
	global_load_b128 v[61:64], v[56:57], off
	s_clause 0x3
	global_load_b128 v[65:68], v[50:51], off offset:16
	global_load_b128 v[69:72], v[50:51], off offset:80
	global_load_b128 v[73:76], v[50:51], off offset:144
	global_load_b128 v[77:80], v[50:51], off offset:208
	global_load_b128 v[81:84], v[56:57], off offset:16
	s_clause 0x3
	global_load_b128 v[85:88], v[50:51], off offset:32
	global_load_b128 v[89:92], v[50:51], off offset:96
	global_load_b128 v[93:96], v[50:51], off offset:160
	global_load_b128 v[97:100], v[50:51], off offset:224
	global_load_b128 v[101:104], v[56:57], off offset:32
	;; [unrolled: 6-line block ×3, first 2 shown]
	global_load_b64 v[141:142], v[54:55], off
	s_waitcnt vmcnt(21)
	v_sub_co_u32 v56, vcc_lo, v58, s12
	v_subrev_co_ci_u32_e32 v57, vcc_lo, s15, v59, vcc_lo
	s_clause 0x3
	global_load_b128 v[125:128], v[143:144], off
	global_load_b128 v[129:132], v[143:144], off offset:64
	global_load_b128 v[133:136], v[143:144], off offset:128
	;; [unrolled: 1-line block ×3, first 2 shown]
	v_lshlrev_b64 v[56:57], 6, v[56:57]
	s_delay_alu instid0(VALU_DEP_1) | instskip(NEXT) | instid1(VALU_DEP_2)
	v_add_co_u32 v145, vcc_lo, s6, v56
	v_add_co_ci_u32_e32 v146, vcc_lo, s7, v57, vcc_lo
	v_add_co_u32 v159, vcc_lo, 0x4000, v50
	v_add_co_ci_u32_e32 v160, vcc_lo, 0, v51, vcc_lo
	global_load_b128 v[56:59], v[145:146], off
	s_waitcnt vmcnt(21)
	v_fma_f64 v[40:41], v[0:1], v[61:62], v[40:41]
	v_fma_f64 v[36:37], v[2:3], v[61:62], v[36:37]
	;; [unrolled: 1-line block ×8, first 2 shown]
	s_waitcnt vmcnt(5)
	v_sub_co_u32 v141, vcc_lo, v141, s12
	v_subrev_co_ci_u32_e32 v142, vcc_lo, s15, v142, vcc_lo
	v_fma_f64 v[40:41], -v[2:3], v[63:64], v[40:41]
	v_fma_f64 v[36:37], v[0:1], v[63:64], v[36:37]
	v_fma_f64 v[46:47], -v[6:7], v[63:64], v[46:47]
	v_fma_f64 v[38:39], v[4:5], v[63:64], v[38:39]
	;; [unrolled: 2-line block ×4, first 2 shown]
	s_clause 0x3
	global_load_b128 v[0:3], v[143:144], off offset:80
	global_load_b128 v[4:7], v[143:144], off offset:144
	;; [unrolled: 1-line block ×5, first 2 shown]
	v_fma_f64 v[40:41], v[65:66], v[81:82], v[40:41]
	v_fma_f64 v[36:37], v[67:68], v[81:82], v[36:37]
	;; [unrolled: 1-line block ×8, first 2 shown]
	v_fma_f64 v[81:82], -v[67:68], v[83:84], v[40:41]
	v_fma_f64 v[147:148], v[65:66], v[83:84], v[36:37]
	v_fma_f64 v[71:72], -v[71:72], v[83:84], v[46:47]
	v_fma_f64 v[69:70], v[69:70], v[83:84], v[38:39]
	;; [unrolled: 2-line block ×4, first 2 shown]
	s_clause 0x3
	global_load_b128 v[36:39], v[143:144], off offset:32
	global_load_b128 v[40:43], v[143:144], off offset:96
	;; [unrolled: 1-line block ×5, first 2 shown]
	v_fma_f64 v[81:82], v[85:86], v[101:102], v[81:82]
	v_fma_f64 v[83:84], v[87:88], v[101:102], v[147:148]
	;; [unrolled: 1-line block ×8, first 2 shown]
	v_fma_f64 v[101:102], -v[87:88], v[103:104], v[81:82]
	v_fma_f64 v[147:148], v[85:86], v[103:104], v[83:84]
	v_fma_f64 v[91:92], -v[91:92], v[103:104], v[71:72]
	v_fma_f64 v[89:90], v[89:90], v[103:104], v[69:70]
	v_fma_f64 v[95:96], -v[95:96], v[103:104], v[75:76]
	v_fma_f64 v[93:94], v[93:94], v[103:104], v[73:74]
	v_fma_f64 v[99:100], -v[99:100], v[103:104], v[79:80]
	v_fma_f64 v[97:98], v[97:98], v[103:104], v[77:78]
	s_clause 0x3
	global_load_b128 v[69:72], v[143:144], off offset:48
	global_load_b128 v[73:76], v[143:144], off offset:112
	;; [unrolled: 1-line block ×5, first 2 shown]
	global_load_b64 v[157:158], v[54:55], off offset:256
	v_fma_f64 v[143:144], v[105:106], v[121:122], v[101:102]
	v_fma_f64 v[145:146], v[107:108], v[121:122], v[147:148]
	;; [unrolled: 1-line block ×8, first 2 shown]
	s_clause 0x3
	global_load_b128 v[89:92], v[159:160], off
	global_load_b128 v[93:96], v[159:160], off offset:64
	global_load_b128 v[97:100], v[159:160], off offset:128
	;; [unrolled: 1-line block ×3, first 2 shown]
	v_fma_f64 v[143:144], -v[107:108], v[123:124], v[143:144]
	v_fma_f64 v[145:146], v[105:106], v[123:124], v[145:146]
	v_fma_f64 v[111:112], -v[111:112], v[123:124], v[147:148]
	v_fma_f64 v[109:110], v[109:110], v[123:124], v[149:150]
	;; [unrolled: 2-line block ×4, first 2 shown]
	v_lshlrev_b64 v[105:106], 6, v[141:142]
	s_delay_alu instid0(VALU_DEP_1) | instskip(NEXT) | instid1(VALU_DEP_2)
	v_add_co_u32 v141, vcc_lo, s6, v105
	v_add_co_ci_u32_e32 v142, vcc_lo, s7, v106, vcc_lo
	v_add_co_u32 v155, vcc_lo, 0x6000, v50
	v_add_co_ci_u32_e32 v156, vcc_lo, 0, v51, vcc_lo
	global_load_b128 v[105:108], v[141:142], off
	v_add_co_u32 v50, s1, 0x8000, v50
	s_waitcnt vmcnt(21)
	v_fma_f64 v[121:122], v[125:126], v[56:57], v[143:144]
	v_fma_f64 v[123:124], v[127:128], v[56:57], v[145:146]
	v_fma_f64 v[111:112], v[129:130], v[56:57], v[111:112]
	v_fma_f64 v[109:110], v[131:132], v[56:57], v[109:110]
	v_fma_f64 v[115:116], v[133:134], v[56:57], v[115:116]
	v_fma_f64 v[113:114], v[135:136], v[56:57], v[113:114]
	v_fma_f64 v[119:120], v[137:138], v[56:57], v[119:120]
	v_fma_f64 v[56:57], v[139:140], v[56:57], v[117:118]
	v_fma_f64 v[127:128], -v[127:128], v[58:59], v[121:122]
	v_fma_f64 v[125:126], v[125:126], v[58:59], v[123:124]
	v_fma_f64 v[131:132], -v[131:132], v[58:59], v[111:112]
	v_fma_f64 v[129:130], v[129:130], v[58:59], v[109:110]
	v_fma_f64 v[135:136], -v[135:136], v[58:59], v[115:116]
	v_fma_f64 v[133:134], v[133:134], v[58:59], v[113:114]
	v_fma_f64 v[139:140], -v[139:140], v[58:59], v[119:120]
	v_fma_f64 v[137:138], v[137:138], v[58:59], v[56:57]
	s_clause 0x3
	global_load_b128 v[56:59], v[159:160], off offset:80
	global_load_b128 v[109:112], v[159:160], off offset:144
	global_load_b128 v[113:116], v[159:160], off offset:208
	global_load_b128 v[117:120], v[159:160], off offset:16
	global_load_b128 v[121:124], v[141:142], off offset:16
	s_waitcnt vmcnt(21)
	v_fma_f64 v[127:128], v[12:13], v[32:33], v[127:128]
	v_fma_f64 v[125:126], v[14:15], v[32:33], v[125:126]
	v_fma_f64 v[131:132], v[0:1], v[32:33], v[131:132]
	v_fma_f64 v[129:130], v[2:3], v[32:33], v[129:130]
	v_fma_f64 v[135:136], v[4:5], v[32:33], v[135:136]
	v_fma_f64 v[133:134], v[6:7], v[32:33], v[133:134]
	v_fma_f64 v[139:140], v[8:9], v[32:33], v[139:140]
	v_fma_f64 v[32:33], v[10:11], v[32:33], v[137:138]
	v_fma_f64 v[127:128], -v[14:15], v[34:35], v[127:128]
	v_fma_f64 v[125:126], v[12:13], v[34:35], v[125:126]
	v_fma_f64 v[131:132], -v[2:3], v[34:35], v[131:132]
	v_fma_f64 v[129:130], v[0:1], v[34:35], v[129:130]
	v_fma_f64 v[135:136], -v[6:7], v[34:35], v[135:136]
	v_fma_f64 v[133:134], v[4:5], v[34:35], v[133:134]
	v_fma_f64 v[137:138], -v[10:11], v[34:35], v[139:140]
	v_fma_f64 v[139:140], v[8:9], v[34:35], v[32:33]
	s_clause 0x3
	global_load_b128 v[0:3], v[159:160], off offset:32
	global_load_b128 v[4:7], v[159:160], off offset:96
	global_load_b128 v[8:11], v[159:160], off offset:160
	global_load_b128 v[12:15], v[159:160], off offset:224
	global_load_b128 v[32:35], v[141:142], off offset:32
	;; [unrolled: 23-line block ×3, first 2 shown]
	s_waitcnt vmcnt(20)
	v_sub_co_u32 v157, vcc_lo, v157, s12
	v_subrev_co_ci_u32_e32 v158, vcc_lo, s15, v158, vcc_lo
	v_fma_f64 v[141:142], v[69:70], v[85:86], v[127:128]
	v_fma_f64 v[143:144], v[71:72], v[85:86], v[125:126]
	;; [unrolled: 1-line block ×8, first 2 shown]
	s_clause 0x3
	global_load_b128 v[125:128], v[155:156], off
	global_load_b128 v[129:132], v[155:156], off offset:64
	global_load_b128 v[133:136], v[155:156], off offset:128
	;; [unrolled: 1-line block ×3, first 2 shown]
	v_fma_f64 v[141:142], -v[71:72], v[87:88], v[141:142]
	v_fma_f64 v[143:144], v[69:70], v[87:88], v[143:144]
	v_fma_f64 v[75:76], -v[75:76], v[87:88], v[145:146]
	v_fma_f64 v[73:74], v[73:74], v[87:88], v[147:148]
	;; [unrolled: 2-line block ×4, first 2 shown]
	v_lshlrev_b64 v[69:70], 6, v[157:158]
	s_delay_alu instid0(VALU_DEP_1) | instskip(NEXT) | instid1(VALU_DEP_2)
	v_add_co_u32 v145, vcc_lo, s6, v69
	v_add_co_ci_u32_e32 v146, vcc_lo, s7, v70, vcc_lo
	v_add_co_u32 v52, vcc_lo, 0x80, v52
	v_add_co_ci_u32_e32 v53, vcc_lo, 0, v53, vcc_lo
	global_load_b128 v[69:72], v[145:146], off
	v_add_co_u32 v54, vcc_lo, 0x400, v54
	v_cmp_ge_i64_e64 s4, v[52:53], v[28:29]
	v_add_co_ci_u32_e32 v55, vcc_lo, 0, v55, vcc_lo
	v_add_co_ci_u32_e64 v51, vcc_lo, 0, v51, s1
	s_delay_alu instid0(VALU_DEP_3)
	s_or_b32 s11, s4, s11
	s_waitcnt vmcnt(20)
	v_fma_f64 v[85:86], v[89:90], v[105:106], v[141:142]
	v_fma_f64 v[87:88], v[91:92], v[105:106], v[143:144]
	v_fma_f64 v[75:76], v[93:94], v[105:106], v[75:76]
	v_fma_f64 v[73:74], v[95:96], v[105:106], v[73:74]
	v_fma_f64 v[79:80], v[97:98], v[105:106], v[79:80]
	v_fma_f64 v[77:78], v[99:100], v[105:106], v[77:78]
	v_fma_f64 v[83:84], v[101:102], v[105:106], v[83:84]
	v_fma_f64 v[81:82], v[103:104], v[105:106], v[81:82]
	v_fma_f64 v[105:106], -v[91:92], v[107:108], v[85:86]
	v_fma_f64 v[141:142], v[89:90], v[107:108], v[87:88]
	v_fma_f64 v[95:96], -v[95:96], v[107:108], v[75:76]
	v_fma_f64 v[93:94], v[93:94], v[107:108], v[73:74]
	v_fma_f64 v[99:100], -v[99:100], v[107:108], v[79:80]
	v_fma_f64 v[97:98], v[97:98], v[107:108], v[77:78]
	v_fma_f64 v[103:104], -v[103:104], v[107:108], v[83:84]
	v_fma_f64 v[101:102], v[101:102], v[107:108], v[81:82]
	s_clause 0x3
	global_load_b128 v[73:76], v[155:156], off offset:80
	global_load_b128 v[77:80], v[155:156], off offset:144
	global_load_b128 v[81:84], v[155:156], off offset:208
	global_load_b128 v[85:88], v[155:156], off offset:16
	global_load_b128 v[89:92], v[145:146], off offset:16
	s_waitcnt vmcnt(20)
	v_fma_f64 v[105:106], v[117:118], v[121:122], v[105:106]
	v_fma_f64 v[107:108], v[119:120], v[121:122], v[141:142]
	v_fma_f64 v[95:96], v[56:57], v[121:122], v[95:96]
	v_fma_f64 v[93:94], v[58:59], v[121:122], v[93:94]
	v_fma_f64 v[99:100], v[109:110], v[121:122], v[99:100]
	v_fma_f64 v[97:98], v[111:112], v[121:122], v[97:98]
	v_fma_f64 v[103:104], v[113:114], v[121:122], v[103:104]
	v_fma_f64 v[101:102], v[115:116], v[121:122], v[101:102]
	v_fma_f64 v[119:120], -v[119:120], v[123:124], v[105:106]
	v_fma_f64 v[117:118], v[117:118], v[123:124], v[107:108]
	v_fma_f64 v[121:122], -v[58:59], v[123:124], v[95:96]
	v_fma_f64 v[141:142], v[56:57], v[123:124], v[93:94]
	v_fma_f64 v[111:112], -v[111:112], v[123:124], v[99:100]
	v_fma_f64 v[109:110], v[109:110], v[123:124], v[97:98]
	v_fma_f64 v[115:116], -v[115:116], v[123:124], v[103:104]
	v_fma_f64 v[113:114], v[113:114], v[123:124], v[101:102]
	s_clause 0x3
	global_load_b128 v[56:59], v[155:156], off offset:32
	global_load_b128 v[93:96], v[155:156], off offset:96
	global_load_b128 v[97:100], v[155:156], off offset:160
	global_load_b128 v[101:104], v[155:156], off offset:224
	global_load_b128 v[105:108], v[145:146], off offset:32
	;; [unrolled: 23-line block ×3, first 2 shown]
	s_waitcnt vmcnt(20)
	v_fma_f64 v[34:35], v[36:37], v[65:66], v[113:114]
	v_fma_f64 v[113:114], v[38:39], v[65:66], v[117:118]
	v_fma_f64 v[117:118], v[40:41], v[65:66], v[119:120]
	v_fma_f64 v[119:120], v[42:43], v[65:66], v[121:122]
	v_fma_f64 v[121:122], v[44:45], v[65:66], v[123:124]
	v_fma_f64 v[123:124], v[46:47], v[65:66], v[141:142]
	v_fma_f64 v[115:116], v[61:62], v[65:66], v[115:116]
	v_fma_f64 v[32:33], v[63:64], v[65:66], v[32:33]
	v_fma_f64 v[34:35], -v[38:39], v[67:68], v[34:35]
	v_fma_f64 v[36:37], v[36:37], v[67:68], v[113:114]
	v_fma_f64 v[38:39], -v[42:43], v[67:68], v[117:118]
	v_fma_f64 v[40:41], v[40:41], v[67:68], v[119:120]
	v_fma_f64 v[42:43], -v[46:47], v[67:68], v[121:122]
	v_fma_f64 v[44:45], v[44:45], v[67:68], v[123:124]
	v_fma_f64 v[46:47], -v[63:64], v[67:68], v[115:116]
	v_fma_f64 v[32:33], v[61:62], v[67:68], v[32:33]
	s_waitcnt vmcnt(15)
	v_fma_f64 v[34:35], v[125:126], v[69:70], v[34:35]
	v_fma_f64 v[36:37], v[127:128], v[69:70], v[36:37]
	v_fma_f64 v[38:39], v[129:130], v[69:70], v[38:39]
	v_fma_f64 v[40:41], v[131:132], v[69:70], v[40:41]
	v_fma_f64 v[42:43], v[133:134], v[69:70], v[42:43]
	v_fma_f64 v[44:45], v[135:136], v[69:70], v[44:45]
	v_fma_f64 v[46:47], v[137:138], v[69:70], v[46:47]
	v_fma_f64 v[32:33], v[139:140], v[69:70], v[32:33]
	v_fma_f64 v[34:35], -v[127:128], v[71:72], v[34:35]
	v_fma_f64 v[36:37], v[125:126], v[71:72], v[36:37]
	v_fma_f64 v[38:39], -v[131:132], v[71:72], v[38:39]
	v_fma_f64 v[40:41], v[129:130], v[71:72], v[40:41]
	v_fma_f64 v[42:43], -v[135:136], v[71:72], v[42:43]
	v_fma_f64 v[44:45], v[133:134], v[71:72], v[44:45]
	v_fma_f64 v[46:47], -v[139:140], v[71:72], v[46:47]
	v_fma_f64 v[32:33], v[137:138], v[71:72], v[32:33]
	s_waitcnt vmcnt(10)
	v_fma_f64 v[34:35], v[85:86], v[89:90], v[34:35]
	v_fma_f64 v[36:37], v[87:88], v[89:90], v[36:37]
	v_fma_f64 v[38:39], v[73:74], v[89:90], v[38:39]
	v_fma_f64 v[40:41], v[75:76], v[89:90], v[40:41]
	v_fma_f64 v[42:43], v[77:78], v[89:90], v[42:43]
	v_fma_f64 v[44:45], v[79:80], v[89:90], v[44:45]
	v_fma_f64 v[46:47], v[81:82], v[89:90], v[46:47]
	v_fma_f64 v[32:33], v[83:84], v[89:90], v[32:33]
	v_fma_f64 v[34:35], -v[87:88], v[91:92], v[34:35]
	v_fma_f64 v[36:37], v[85:86], v[91:92], v[36:37]
	v_fma_f64 v[38:39], -v[75:76], v[91:92], v[38:39]
	v_fma_f64 v[40:41], v[73:74], v[91:92], v[40:41]
	v_fma_f64 v[42:43], -v[79:80], v[91:92], v[42:43]
	v_fma_f64 v[44:45], v[77:78], v[91:92], v[44:45]
	v_fma_f64 v[46:47], -v[83:84], v[91:92], v[46:47]
	v_fma_f64 v[32:33], v[81:82], v[91:92], v[32:33]
	s_waitcnt vmcnt(5)
	v_fma_f64 v[34:35], v[56:57], v[105:106], v[34:35]
	v_fma_f64 v[36:37], v[58:59], v[105:106], v[36:37]
	v_fma_f64 v[38:39], v[93:94], v[105:106], v[38:39]
	v_fma_f64 v[40:41], v[95:96], v[105:106], v[40:41]
	v_fma_f64 v[42:43], v[97:98], v[105:106], v[42:43]
	v_fma_f64 v[44:45], v[99:100], v[105:106], v[44:45]
	v_fma_f64 v[46:47], v[101:102], v[105:106], v[46:47]
	v_fma_f64 v[32:33], v[103:104], v[105:106], v[32:33]
	v_fma_f64 v[34:35], -v[58:59], v[107:108], v[34:35]
	v_fma_f64 v[36:37], v[56:57], v[107:108], v[36:37]
	v_fma_f64 v[38:39], -v[95:96], v[107:108], v[38:39]
	v_fma_f64 v[40:41], v[93:94], v[107:108], v[40:41]
	v_fma_f64 v[42:43], -v[99:100], v[107:108], v[42:43]
	v_fma_f64 v[44:45], v[97:98], v[107:108], v[44:45]
	v_fma_f64 v[46:47], -v[103:104], v[107:108], v[46:47]
	v_fma_f64 v[32:33], v[101:102], v[107:108], v[32:33]
	s_waitcnt vmcnt(0)
	v_fma_f64 v[34:35], v[0:1], v[109:110], v[34:35]
	v_fma_f64 v[36:37], v[2:3], v[109:110], v[36:37]
	v_fma_f64 v[38:39], v[4:5], v[109:110], v[38:39]
	v_fma_f64 v[56:57], v[6:7], v[109:110], v[40:41]
	v_fma_f64 v[42:43], v[8:9], v[109:110], v[42:43]
	v_fma_f64 v[44:45], v[10:11], v[109:110], v[44:45]
	v_fma_f64 v[58:59], v[12:13], v[109:110], v[46:47]
	v_fma_f64 v[32:33], v[14:15], v[109:110], v[32:33]
	v_fma_f64 v[40:41], -v[2:3], v[111:112], v[34:35]
	v_fma_f64 v[36:37], v[0:1], v[111:112], v[36:37]
	v_fma_f64 v[46:47], -v[6:7], v[111:112], v[38:39]
	v_fma_f64 v[38:39], v[4:5], v[111:112], v[56:57]
	v_fma_f64 v[42:43], -v[10:11], v[111:112], v[42:43]
	v_fma_f64 v[44:45], v[8:9], v[111:112], v[44:45]
	v_fma_f64 v[34:35], -v[14:15], v[111:112], v[58:59]
	v_fma_f64 v[32:33], v[12:13], v[111:112], v[32:33]
	s_and_not1_b32 exec_lo, exec_lo, s11
	s_cbranch_execnz .LBB58_25
; %bb.26:
	s_or_b32 exec_lo, exec_lo, s11
.LBB58_27:
	s_delay_alu instid0(SALU_CYCLE_1)
	s_or_b32 exec_lo, exec_lo, s10
.LBB58_28:
	s_delay_alu instid0(SALU_CYCLE_1)
	s_or_b32 exec_lo, exec_lo, s5
	s_cbranch_execz .LBB58_30
	s_branch .LBB58_41
.LBB58_29:
                                        ; implicit-def: $vgpr36_vgpr37
                                        ; implicit-def: $vgpr40_vgpr41
                                        ; implicit-def: $vgpr34_vgpr35
                                        ; implicit-def: $vgpr32_vgpr33
                                        ; implicit-def: $vgpr42_vgpr43
                                        ; implicit-def: $vgpr44_vgpr45
                                        ; implicit-def: $vgpr46_vgpr47
                                        ; implicit-def: $vgpr38_vgpr39
.LBB58_30:
	v_mov_b32_e32 v36, 0
	v_mov_b32_e32 v37, 0
	s_delay_alu instid0(VALU_DEP_2) | instskip(NEXT) | instid1(VALU_DEP_2)
	v_mov_b32_e32 v34, v36
	v_dual_mov_b32 v32, v36 :: v_dual_mov_b32 v33, v37
	v_dual_mov_b32 v41, v37 :: v_dual_mov_b32 v40, v36
	v_mov_b32_e32 v35, v37
	v_dual_mov_b32 v43, v37 :: v_dual_mov_b32 v42, v36
	v_dual_mov_b32 v45, v37 :: v_dual_mov_b32 v44, v36
	;; [unrolled: 1-line block ×4, first 2 shown]
	s_and_saveexec_b32 s1, s0
	s_cbranch_execz .LBB58_40
; %bb.31:
	v_or_b32_e32 v0, 32, v60
	v_not_b32_e32 v3, v48
	v_not_b32_e32 v2, v49
	v_mov_b32_e32 v38, 0
	s_mov_b32 s5, 0
	v_sub_co_u32 v0, s0, v0, s12
	s_delay_alu instid0(VALU_DEP_1) | instskip(SKIP_1) | instid1(VALU_DEP_3)
	v_sub_co_ci_u32_e64 v1, null, 0, s15, s0
	v_sub_co_u32 v4, s0, s12, v60
	v_add_co_u32 v0, vcc_lo, v0, v48
	s_delay_alu instid0(VALU_DEP_3) | instskip(SKIP_2) | instid1(VALU_DEP_2)
	v_add_co_ci_u32_e32 v1, vcc_lo, v1, v49, vcc_lo
	v_sub_co_ci_u32_e64 v5, null, s15, 0, s0
	s_mov_b32 s4, exec_lo
	v_cmp_gt_i64_e32 vcc_lo, v[0:1], v[28:29]
	v_dual_cndmask_b32 v1, v29, v1 :: v_dual_cndmask_b32 v0, v28, v0
	v_add_co_u32 v3, vcc_lo, v4, v3
	v_add_co_ci_u32_e32 v2, vcc_lo, v5, v2, vcc_lo
	s_delay_alu instid0(VALU_DEP_2) | instskip(NEXT) | instid1(VALU_DEP_2)
	v_add_co_u32 v0, vcc_lo, v3, v0
	v_add_co_ci_u32_e32 v1, vcc_lo, v2, v1, vcc_lo
	s_delay_alu instid0(VALU_DEP_2) | instskip(NEXT) | instid1(VALU_DEP_1)
	v_lshrrev_b32_e32 v2, 5, v0
	v_dual_mov_b32 v39, 0 :: v_dual_add_nc_u32 v2, 1, v2
	s_delay_alu instid0(VALU_DEP_1) | instskip(SKIP_1) | instid1(VALU_DEP_3)
	v_dual_mov_b32 v32, v38 :: v_dual_mov_b32 v43, v39
	v_dual_mov_b32 v34, v38 :: v_dual_mov_b32 v41, v39
	v_and_b32_e32 v2, 3, v2
	v_dual_mov_b32 v36, v38 :: v_dual_mov_b32 v47, v39
	v_dual_mov_b32 v46, v38 :: v_dual_mov_b32 v45, v39
	v_mov_b32_e32 v44, v38
	v_dual_mov_b32 v42, v38 :: v_dual_mov_b32 v33, v39
	v_dual_mov_b32 v35, v39 :: v_dual_mov_b32 v40, v38
	v_mov_b32_e32 v37, v39
	v_cmpx_ne_u32_e32 0, v2
	s_cbranch_execz .LBB58_35
; %bb.32:
	v_lshlrev_b64 v[4:5], 3, v[26:27]
	v_dual_mov_b32 v3, 0 :: v_dual_mov_b32 v36, 0
	v_dual_mov_b32 v37, 0 :: v_dual_lshlrev_b32 v2, 3, v2
	s_delay_alu instid0(VALU_DEP_2) | instskip(NEXT) | instid1(VALU_DEP_4)
	v_mov_b32_e32 v34, v36
	v_add_co_u32 v4, vcc_lo, s8, v4
	s_delay_alu instid0(VALU_DEP_3)
	v_mov_b32_e32 v35, v37
	v_add_co_ci_u32_e32 v5, vcc_lo, s9, v5, vcc_lo
	v_dual_mov_b32 v41, v37 :: v_dual_mov_b32 v40, v36
	v_dual_mov_b32 v32, v36 :: v_dual_mov_b32 v33, v37
	;; [unrolled: 1-line block ×6, first 2 shown]
.LBB58_33:                              ; =>This Inner Loop Header: Depth=1
	global_load_b64 v[14:15], v[4:5], off
	s_clause 0x3
	global_load_b128 v[6:9], v[30:31], off offset:48
	global_load_b128 v[10:13], v[30:31], off offset:32
	;; [unrolled: 1-line block ×3, first 2 shown]
	global_load_b128 v[52:55], v[30:31], off
	v_add_co_u32 v4, s0, 0x100, v4
	s_delay_alu instid0(VALU_DEP_1) | instskip(SKIP_3) | instid1(VALU_DEP_1)
	v_add_co_ci_u32_e64 v5, s0, 0, v5, s0
	s_waitcnt vmcnt(4)
	v_sub_co_u32 v14, vcc_lo, v14, s12
	v_subrev_co_ci_u32_e32 v15, vcc_lo, s15, v15, vcc_lo
	v_lshlrev_b64 v[14:15], 6, v[14:15]
	s_waitcnt lgkmcnt(0)
	s_delay_alu instid0(VALU_DEP_1) | instskip(NEXT) | instid1(VALU_DEP_2)
	v_add_co_u32 v14, vcc_lo, s6, v14
	v_add_co_ci_u32_e32 v15, vcc_lo, s7, v15, vcc_lo
	s_clause 0x1
	global_load_b128 v[56:59], v[14:15], off
	global_load_b128 v[61:64], v[14:15], off offset:16
	s_clause 0x7
	global_load_b128 v[65:68], v[30:31], off offset:64
	global_load_b128 v[69:72], v[30:31], off offset:80
	;; [unrolled: 1-line block ×8, first 2 shown]
	s_clause 0x1
	global_load_b128 v[97:100], v[14:15], off offset:32
	global_load_b128 v[101:104], v[14:15], off offset:48
	s_clause 0x3
	global_load_b128 v[105:108], v[30:31], off offset:192
	global_load_b128 v[109:112], v[30:31], off offset:208
	;; [unrolled: 1-line block ×4, first 2 shown]
	v_add_co_u32 v30, vcc_lo, 0x2000, v30
	v_add_co_ci_u32_e32 v31, vcc_lo, 0, v31, vcc_lo
	v_add_co_u32 v2, vcc_lo, v2, -8
	v_add_co_ci_u32_e32 v3, vcc_lo, -1, v3, vcc_lo
	v_add_co_u32 v26, vcc_lo, v26, 32
	v_add_co_ci_u32_e32 v27, vcc_lo, 0, v27, vcc_lo
	s_delay_alu instid0(VALU_DEP_3)
	v_cmp_eq_u64_e32 vcc_lo, 0, v[2:3]
	s_or_b32 s5, vcc_lo, s5
	s_waitcnt vmcnt(15)
	v_fma_f64 v[14:15], v[52:53], v[56:57], v[40:41]
	v_fma_f64 v[36:37], v[54:55], v[56:57], v[36:37]
	v_fma_f64 v[40:41], v[48:49], v[56:57], v[46:47]
	v_fma_f64 v[38:39], v[50:51], v[56:57], v[38:39]
	v_fma_f64 v[42:43], v[10:11], v[56:57], v[42:43]
	v_fma_f64 v[44:45], v[12:13], v[56:57], v[44:45]
	v_fma_f64 v[34:35], v[6:7], v[56:57], v[34:35]
	v_fma_f64 v[32:33], v[8:9], v[56:57], v[32:33]
	v_fma_f64 v[14:15], -v[54:55], v[58:59], v[14:15]
	v_fma_f64 v[36:37], v[52:53], v[58:59], v[36:37]
	v_fma_f64 v[40:41], -v[50:51], v[58:59], v[40:41]
	v_fma_f64 v[38:39], v[48:49], v[58:59], v[38:39]
	v_fma_f64 v[12:13], -v[12:13], v[58:59], v[42:43]
	v_fma_f64 v[10:11], v[10:11], v[58:59], v[44:45]
	v_fma_f64 v[8:9], -v[8:9], v[58:59], v[34:35]
	v_fma_f64 v[6:7], v[6:7], v[58:59], v[32:33]
	s_waitcnt vmcnt(13)
	v_fma_f64 v[14:15], v[65:66], v[61:62], v[14:15]
	v_fma_f64 v[32:33], v[67:68], v[61:62], v[36:37]
	s_waitcnt vmcnt(12)
	v_fma_f64 v[34:35], v[69:70], v[61:62], v[40:41]
	v_fma_f64 v[36:37], v[71:72], v[61:62], v[38:39]
	;; [unrolled: 3-line block ×4, first 2 shown]
	v_fma_f64 v[14:15], -v[67:68], v[63:64], v[14:15]
	v_fma_f64 v[32:33], v[65:66], v[63:64], v[32:33]
	v_fma_f64 v[34:35], -v[71:72], v[63:64], v[34:35]
	v_fma_f64 v[36:37], v[69:70], v[63:64], v[36:37]
	;; [unrolled: 2-line block ×4, first 2 shown]
	s_waitcnt vmcnt(5)
	v_fma_f64 v[14:15], v[93:94], v[97:98], v[14:15]
	v_fma_f64 v[32:33], v[95:96], v[97:98], v[32:33]
	;; [unrolled: 1-line block ×8, first 2 shown]
	v_fma_f64 v[14:15], -v[95:96], v[99:100], v[14:15]
	v_fma_f64 v[32:33], v[93:94], v[99:100], v[32:33]
	v_fma_f64 v[34:35], -v[91:92], v[99:100], v[34:35]
	v_fma_f64 v[36:37], v[89:90], v[99:100], v[36:37]
	;; [unrolled: 2-line block ×4, first 2 shown]
	s_waitcnt vmcnt(3)
	v_fma_f64 v[14:15], v[105:106], v[101:102], v[14:15]
	v_fma_f64 v[32:33], v[107:108], v[101:102], v[32:33]
	s_waitcnt vmcnt(2)
	v_fma_f64 v[34:35], v[109:110], v[101:102], v[34:35]
	v_fma_f64 v[38:39], v[111:112], v[101:102], v[36:37]
	;; [unrolled: 3-line block ×4, first 2 shown]
	v_fma_f64 v[40:41], -v[107:108], v[103:104], v[14:15]
	v_fma_f64 v[36:37], v[105:106], v[103:104], v[32:33]
	v_fma_f64 v[46:47], -v[111:112], v[103:104], v[34:35]
	v_fma_f64 v[38:39], v[109:110], v[103:104], v[38:39]
	;; [unrolled: 2-line block ×4, first 2 shown]
	s_and_not1_b32 exec_lo, exec_lo, s5
	s_cbranch_execnz .LBB58_33
; %bb.34:
	s_or_b32 exec_lo, exec_lo, s5
.LBB58_35:
	s_delay_alu instid0(SALU_CYCLE_1) | instskip(NEXT) | instid1(SALU_CYCLE_1)
	s_or_b32 exec_lo, exec_lo, s4
	s_mov_b32 s4, exec_lo
	v_cmpx_lt_u64_e32 0x5f, v[0:1]
	s_cbranch_execz .LBB58_39
; %bb.36:
	v_lshlrev_b64 v[0:1], 3, v[26:27]
	s_mov_b32 s5, 0
	s_delay_alu instid0(VALU_DEP_1) | instskip(NEXT) | instid1(VALU_DEP_2)
	v_add_co_u32 v0, vcc_lo, v0, s8
	v_add_co_ci_u32_e32 v1, vcc_lo, s9, v1, vcc_lo
	s_delay_alu instid0(VALU_DEP_2) | instskip(NEXT) | instid1(VALU_DEP_2)
	v_add_co_u32 v48, vcc_lo, 0x200, v0
	v_add_co_ci_u32_e32 v49, vcc_lo, 0, v1, vcc_lo
.LBB58_37:                              ; =>This Inner Loop Header: Depth=1
	s_clause 0x1
	global_load_b64 v[50:51], v[48:49], off offset:-512
	global_load_b64 v[52:53], v[48:49], off offset:-256
	s_clause 0x3
	global_load_b128 v[0:3], v[30:31], off offset:48
	global_load_b128 v[4:7], v[30:31], off offset:32
	;; [unrolled: 1-line block ×3, first 2 shown]
	global_load_b128 v[12:15], v[30:31], off
	s_clause 0x1
	global_load_b64 v[58:59], v[48:49], off
	global_load_b64 v[137:138], v[48:49], off offset:256
	s_waitcnt vmcnt(7)
	v_sub_co_u32 v50, vcc_lo, v50, s12
	v_subrev_co_ci_u32_e32 v51, vcc_lo, s15, v51, vcc_lo
	s_delay_alu instid0(VALU_DEP_1) | instskip(SKIP_1) | instid1(VALU_DEP_1)
	v_lshlrev_b64 v[50:51], 6, v[50:51]
	s_waitcnt lgkmcnt(0)
	v_add_co_u32 v50, vcc_lo, s6, v50
	s_delay_alu instid0(VALU_DEP_2)
	v_add_co_ci_u32_e32 v51, vcc_lo, s7, v51, vcc_lo
	v_add_co_u32 v139, vcc_lo, 0x2000, v30
	v_add_co_ci_u32_e32 v140, vcc_lo, 0, v31, vcc_lo
	global_load_b128 v[54:57], v[50:51], off
	s_clause 0x3
	global_load_b128 v[61:64], v[30:31], off offset:64
	global_load_b128 v[65:68], v[30:31], off offset:80
	global_load_b128 v[69:72], v[30:31], off offset:96
	global_load_b128 v[73:76], v[30:31], off offset:112
	global_load_b128 v[77:80], v[50:51], off offset:16
	s_clause 0x3
	global_load_b128 v[81:84], v[30:31], off offset:176
	global_load_b128 v[85:88], v[30:31], off offset:160
	global_load_b128 v[89:92], v[30:31], off offset:144
	global_load_b128 v[93:96], v[30:31], off offset:128
	global_load_b128 v[97:100], v[50:51], off offset:32
	;; [unrolled: 6-line block ×3, first 2 shown]
	s_waitcnt vmcnt(22)
	v_sub_co_u32 v50, vcc_lo, v52, s12
	v_subrev_co_ci_u32_e32 v51, vcc_lo, s15, v53, vcc_lo
	s_clause 0x3
	global_load_b128 v[121:124], v[139:140], off offset:48
	global_load_b128 v[125:128], v[139:140], off offset:32
	global_load_b128 v[129:132], v[139:140], off
	global_load_b128 v[133:136], v[139:140], off offset:16
	v_lshlrev_b64 v[50:51], 6, v[50:51]
	s_delay_alu instid0(VALU_DEP_1) | instskip(NEXT) | instid1(VALU_DEP_2)
	v_add_co_u32 v141, vcc_lo, s6, v50
	v_add_co_ci_u32_e32 v142, vcc_lo, s7, v51, vcc_lo
	v_add_co_u32 v153, vcc_lo, 0x4000, v30
	v_add_co_ci_u32_e32 v154, vcc_lo, 0, v31, vcc_lo
	global_load_b128 v[50:53], v[141:142], off
	s_waitcnt vmcnt(22)
	v_sub_co_u32 v58, vcc_lo, v58, s12
	v_subrev_co_ci_u32_e32 v59, vcc_lo, s15, v59, vcc_lo
	s_delay_alu instid0(VALU_DEP_1) | instskip(NEXT) | instid1(VALU_DEP_1)
	v_lshlrev_b64 v[58:59], 6, v[58:59]
	v_add_co_u32 v58, vcc_lo, s6, v58
	s_delay_alu instid0(VALU_DEP_2)
	v_add_co_ci_u32_e32 v59, vcc_lo, s7, v59, vcc_lo
	s_waitcnt vmcnt(20)
	v_fma_f64 v[40:41], v[12:13], v[54:55], v[40:41]
	v_fma_f64 v[36:37], v[14:15], v[54:55], v[36:37]
	v_fma_f64 v[46:47], v[8:9], v[54:55], v[46:47]
	v_fma_f64 v[38:39], v[10:11], v[54:55], v[38:39]
	v_fma_f64 v[42:43], v[4:5], v[54:55], v[42:43]
	v_fma_f64 v[44:45], v[6:7], v[54:55], v[44:45]
	v_fma_f64 v[34:35], v[0:1], v[54:55], v[34:35]
	v_fma_f64 v[32:33], v[2:3], v[54:55], v[32:33]
	v_fma_f64 v[40:41], -v[14:15], v[56:57], v[40:41]
	v_fma_f64 v[36:37], v[12:13], v[56:57], v[36:37]
	v_fma_f64 v[46:47], -v[10:11], v[56:57], v[46:47]
	v_fma_f64 v[38:39], v[8:9], v[56:57], v[38:39]
	v_fma_f64 v[42:43], -v[6:7], v[56:57], v[42:43]
	v_fma_f64 v[44:45], v[4:5], v[56:57], v[44:45]
	v_fma_f64 v[54:55], -v[2:3], v[56:57], v[34:35]
	v_fma_f64 v[56:57], v[0:1], v[56:57], v[32:33]
	s_clause 0x3
	global_load_b128 v[0:3], v[139:140], off offset:64
	global_load_b128 v[4:7], v[139:140], off offset:80
	global_load_b128 v[8:11], v[139:140], off offset:96
	global_load_b128 v[12:15], v[139:140], off offset:112
	global_load_b128 v[32:35], v[141:142], off offset:16
	s_waitcnt vmcnt(20)
	v_fma_f64 v[40:41], v[61:62], v[77:78], v[40:41]
	v_fma_f64 v[36:37], v[63:64], v[77:78], v[36:37]
	v_fma_f64 v[46:47], v[65:66], v[77:78], v[46:47]
	v_fma_f64 v[38:39], v[67:68], v[77:78], v[38:39]
	v_fma_f64 v[42:43], v[69:70], v[77:78], v[42:43]
	v_fma_f64 v[44:45], v[71:72], v[77:78], v[44:45]
	v_fma_f64 v[54:55], v[73:74], v[77:78], v[54:55]
	v_fma_f64 v[56:57], v[75:76], v[77:78], v[56:57]
	v_fma_f64 v[77:78], -v[63:64], v[79:80], v[40:41]
	v_fma_f64 v[143:144], v[61:62], v[79:80], v[36:37]
	v_fma_f64 v[67:68], -v[67:68], v[79:80], v[46:47]
	v_fma_f64 v[65:66], v[65:66], v[79:80], v[38:39]
	v_fma_f64 v[71:72], -v[71:72], v[79:80], v[42:43]
	v_fma_f64 v[69:70], v[69:70], v[79:80], v[44:45]
	v_fma_f64 v[75:76], -v[75:76], v[79:80], v[54:55]
	v_fma_f64 v[73:74], v[73:74], v[79:80], v[56:57]
	s_clause 0x3
	global_load_b128 v[36:39], v[139:140], off offset:176
	global_load_b128 v[40:43], v[139:140], off offset:160
	global_load_b128 v[44:47], v[139:140], off offset:144
	global_load_b128 v[54:57], v[139:140], off offset:128
	global_load_b128 v[61:64], v[141:142], off offset:32
	;; [unrolled: 23-line block ×3, first 2 shown]
	s_waitcnt vmcnt(20)
	v_fma_f64 v[139:140], v[101:102], v[117:118], v[95:96]
	v_fma_f64 v[141:142], v[103:104], v[117:118], v[93:94]
	;; [unrolled: 1-line block ×8, first 2 shown]
	s_clause 0x3
	global_load_b128 v[85:88], v[153:154], off offset:48
	global_load_b128 v[89:92], v[153:154], off offset:32
	global_load_b128 v[93:96], v[153:154], off
	global_load_b128 v[97:100], v[153:154], off offset:16
	v_fma_f64 v[139:140], -v[103:104], v[119:120], v[139:140]
	v_fma_f64 v[141:142], v[101:102], v[119:120], v[141:142]
	v_fma_f64 v[107:108], -v[107:108], v[119:120], v[143:144]
	v_fma_f64 v[105:106], v[105:106], v[119:120], v[145:146]
	;; [unrolled: 2-line block ×4, first 2 shown]
	global_load_b128 v[101:104], v[58:59], off
	v_add_co_u32 v151, vcc_lo, 0x6000, v30
	v_add_co_ci_u32_e32 v152, vcc_lo, 0, v31, vcc_lo
	v_sub_co_u32 v137, vcc_lo, v137, s12
	v_subrev_co_ci_u32_e32 v138, vcc_lo, s15, v138, vcc_lo
	v_add_co_u32 v30, s0, 0x8000, v30
	s_delay_alu instid0(VALU_DEP_1)
	v_add_co_ci_u32_e64 v31, s0, 0, v31, s0
	s_waitcnt vmcnt(20)
	v_fma_f64 v[117:118], v[129:130], v[50:51], v[139:140]
	v_fma_f64 v[119:120], v[131:132], v[50:51], v[141:142]
	v_fma_f64 v[107:108], v[133:134], v[50:51], v[107:108]
	v_fma_f64 v[105:106], v[135:136], v[50:51], v[105:106]
	v_fma_f64 v[111:112], v[125:126], v[50:51], v[111:112]
	v_fma_f64 v[109:110], v[127:128], v[50:51], v[109:110]
	v_fma_f64 v[115:116], v[121:122], v[50:51], v[115:116]
	v_fma_f64 v[50:51], v[123:124], v[50:51], v[113:114]
	v_fma_f64 v[131:132], -v[131:132], v[52:53], v[117:118]
	v_fma_f64 v[129:130], v[129:130], v[52:53], v[119:120]
	v_fma_f64 v[135:136], -v[135:136], v[52:53], v[107:108]
	v_fma_f64 v[133:134], v[133:134], v[52:53], v[105:106]
	v_fma_f64 v[127:128], -v[127:128], v[52:53], v[111:112]
	v_fma_f64 v[125:126], v[125:126], v[52:53], v[109:110]
	v_fma_f64 v[123:124], -v[123:124], v[52:53], v[115:116]
	v_fma_f64 v[121:122], v[121:122], v[52:53], v[50:51]
	s_clause 0x3
	global_load_b128 v[50:53], v[153:154], off offset:64
	global_load_b128 v[105:108], v[153:154], off offset:80
	global_load_b128 v[109:112], v[153:154], off offset:96
	global_load_b128 v[113:116], v[153:154], off offset:112
	global_load_b128 v[117:120], v[58:59], off offset:16
	s_waitcnt vmcnt(20)
	v_fma_f64 v[131:132], v[0:1], v[32:33], v[131:132]
	v_fma_f64 v[129:130], v[2:3], v[32:33], v[129:130]
	v_fma_f64 v[135:136], v[4:5], v[32:33], v[135:136]
	v_fma_f64 v[133:134], v[6:7], v[32:33], v[133:134]
	v_fma_f64 v[127:128], v[8:9], v[32:33], v[127:128]
	v_fma_f64 v[125:126], v[10:11], v[32:33], v[125:126]
	v_fma_f64 v[123:124], v[12:13], v[32:33], v[123:124]
	v_fma_f64 v[32:33], v[14:15], v[32:33], v[121:122]
	v_fma_f64 v[121:122], -v[2:3], v[34:35], v[131:132]
	v_fma_f64 v[129:130], v[0:1], v[34:35], v[129:130]
	v_fma_f64 v[131:132], -v[6:7], v[34:35], v[135:136]
	v_fma_f64 v[133:134], v[4:5], v[34:35], v[133:134]
	v_fma_f64 v[127:128], -v[10:11], v[34:35], v[127:128]
	v_fma_f64 v[125:126], v[8:9], v[34:35], v[125:126]
	v_fma_f64 v[123:124], -v[14:15], v[34:35], v[123:124]
	v_fma_f64 v[135:136], v[12:13], v[34:35], v[32:33]
	s_clause 0x3
	global_load_b128 v[0:3], v[153:154], off offset:176
	global_load_b128 v[4:7], v[153:154], off offset:160
	global_load_b128 v[8:11], v[153:154], off offset:144
	global_load_b128 v[12:15], v[153:154], off offset:128
	global_load_b128 v[32:35], v[58:59], off offset:32
	;; [unrolled: 23-line block ×3, first 2 shown]
	s_waitcnt vmcnt(20)
	v_fma_f64 v[58:59], v[65:66], v[81:82], v[121:122]
	v_fma_f64 v[139:140], v[67:68], v[81:82], v[129:130]
	;; [unrolled: 1-line block ×8, first 2 shown]
	s_clause 0x3
	global_load_b128 v[121:124], v[151:152], off offset:48
	global_load_b128 v[125:128], v[151:152], off offset:32
	global_load_b128 v[129:132], v[151:152], off
	global_load_b128 v[133:136], v[151:152], off offset:16
	v_fma_f64 v[58:59], -v[67:68], v[83:84], v[58:59]
	v_fma_f64 v[139:140], v[65:66], v[83:84], v[139:140]
	v_fma_f64 v[71:72], -v[71:72], v[83:84], v[141:142]
	v_fma_f64 v[69:70], v[69:70], v[83:84], v[143:144]
	;; [unrolled: 2-line block ×4, first 2 shown]
	v_lshlrev_b64 v[65:66], 6, v[137:138]
	s_delay_alu instid0(VALU_DEP_1) | instskip(NEXT) | instid1(VALU_DEP_2)
	v_add_co_u32 v137, vcc_lo, s6, v65
	v_add_co_ci_u32_e32 v138, vcc_lo, s7, v66, vcc_lo
	v_add_co_u32 v26, vcc_lo, 0x80, v26
	v_add_co_ci_u32_e32 v27, vcc_lo, 0, v27, vcc_lo
	global_load_b128 v[65:68], v[137:138], off
	v_add_co_u32 v48, vcc_lo, 0x400, v48
	v_add_co_ci_u32_e32 v49, vcc_lo, 0, v49, vcc_lo
	v_cmp_ge_i64_e32 vcc_lo, v[26:27], v[28:29]
	s_or_b32 s5, vcc_lo, s5
	s_waitcnt vmcnt(20)
	v_fma_f64 v[58:59], v[93:94], v[101:102], v[58:59]
	v_fma_f64 v[81:82], v[95:96], v[101:102], v[139:140]
	v_fma_f64 v[71:72], v[97:98], v[101:102], v[71:72]
	v_fma_f64 v[69:70], v[99:100], v[101:102], v[69:70]
	v_fma_f64 v[75:76], v[89:90], v[101:102], v[75:76]
	v_fma_f64 v[73:74], v[91:92], v[101:102], v[73:74]
	v_fma_f64 v[79:80], v[85:86], v[101:102], v[79:80]
	v_fma_f64 v[77:78], v[87:88], v[101:102], v[77:78]
	v_fma_f64 v[58:59], -v[95:96], v[103:104], v[58:59]
	v_fma_f64 v[93:94], v[93:94], v[103:104], v[81:82]
	v_fma_f64 v[95:96], -v[99:100], v[103:104], v[71:72]
	v_fma_f64 v[97:98], v[97:98], v[103:104], v[69:70]
	v_fma_f64 v[91:92], -v[91:92], v[103:104], v[75:76]
	v_fma_f64 v[89:90], v[89:90], v[103:104], v[73:74]
	v_fma_f64 v[99:100], -v[87:88], v[103:104], v[79:80]
	v_fma_f64 v[101:102], v[85:86], v[103:104], v[77:78]
	s_clause 0x3
	global_load_b128 v[69:72], v[151:152], off offset:64
	global_load_b128 v[73:76], v[151:152], off offset:80
	global_load_b128 v[77:80], v[151:152], off offset:96
	global_load_b128 v[81:84], v[151:152], off offset:112
	global_load_b128 v[85:88], v[137:138], off offset:16
	s_waitcnt vmcnt(20)
	v_fma_f64 v[58:59], v[50:51], v[117:118], v[58:59]
	v_fma_f64 v[93:94], v[52:53], v[117:118], v[93:94]
	v_fma_f64 v[95:96], v[105:106], v[117:118], v[95:96]
	v_fma_f64 v[97:98], v[107:108], v[117:118], v[97:98]
	v_fma_f64 v[91:92], v[109:110], v[117:118], v[91:92]
	v_fma_f64 v[89:90], v[111:112], v[117:118], v[89:90]
	v_fma_f64 v[99:100], v[113:114], v[117:118], v[99:100]
	v_fma_f64 v[101:102], v[115:116], v[117:118], v[101:102]
	v_fma_f64 v[58:59], -v[52:53], v[119:120], v[58:59]
	v_fma_f64 v[117:118], v[50:51], v[119:120], v[93:94]
	v_fma_f64 v[107:108], -v[107:108], v[119:120], v[95:96]
	v_fma_f64 v[105:106], v[105:106], v[119:120], v[97:98]
	v_fma_f64 v[111:112], -v[111:112], v[119:120], v[91:92]
	v_fma_f64 v[109:110], v[109:110], v[119:120], v[89:90]
	v_fma_f64 v[115:116], -v[115:116], v[119:120], v[99:100]
	v_fma_f64 v[113:114], v[113:114], v[119:120], v[101:102]
	s_clause 0x3
	global_load_b128 v[50:53], v[151:152], off offset:176
	global_load_b128 v[89:92], v[151:152], off offset:160
	global_load_b128 v[93:96], v[151:152], off offset:144
	global_load_b128 v[97:100], v[151:152], off offset:128
	global_load_b128 v[101:104], v[137:138], off offset:32
	;; [unrolled: 23-line block ×3, first 2 shown]
	s_waitcnt vmcnt(20)
	v_fma_f64 v[34:35], v[36:37], v[61:62], v[58:59]
	v_fma_f64 v[58:59], v[38:39], v[61:62], v[113:114]
	v_fma_f64 v[113:114], v[40:41], v[61:62], v[117:118]
	v_fma_f64 v[117:118], v[42:43], v[61:62], v[119:120]
	v_fma_f64 v[111:112], v[44:45], v[61:62], v[111:112]
	v_fma_f64 v[109:110], v[46:47], v[61:62], v[109:110]
	v_fma_f64 v[115:116], v[54:55], v[61:62], v[115:116]
	v_fma_f64 v[32:33], v[56:57], v[61:62], v[32:33]
	v_fma_f64 v[34:35], -v[38:39], v[63:64], v[34:35]
	v_fma_f64 v[36:37], v[36:37], v[63:64], v[58:59]
	v_fma_f64 v[38:39], -v[42:43], v[63:64], v[113:114]
	v_fma_f64 v[40:41], v[40:41], v[63:64], v[117:118]
	v_fma_f64 v[42:43], -v[46:47], v[63:64], v[111:112]
	v_fma_f64 v[44:45], v[44:45], v[63:64], v[109:110]
	v_fma_f64 v[46:47], -v[56:57], v[63:64], v[115:116]
	v_fma_f64 v[32:33], v[54:55], v[63:64], v[32:33]
	s_waitcnt vmcnt(15)
	v_fma_f64 v[34:35], v[129:130], v[65:66], v[34:35]
	v_fma_f64 v[36:37], v[131:132], v[65:66], v[36:37]
	v_fma_f64 v[38:39], v[133:134], v[65:66], v[38:39]
	v_fma_f64 v[40:41], v[135:136], v[65:66], v[40:41]
	v_fma_f64 v[42:43], v[125:126], v[65:66], v[42:43]
	v_fma_f64 v[44:45], v[127:128], v[65:66], v[44:45]
	v_fma_f64 v[46:47], v[121:122], v[65:66], v[46:47]
	v_fma_f64 v[32:33], v[123:124], v[65:66], v[32:33]
	v_fma_f64 v[34:35], -v[131:132], v[67:68], v[34:35]
	v_fma_f64 v[36:37], v[129:130], v[67:68], v[36:37]
	v_fma_f64 v[38:39], -v[135:136], v[67:68], v[38:39]
	v_fma_f64 v[40:41], v[133:134], v[67:68], v[40:41]
	v_fma_f64 v[42:43], -v[127:128], v[67:68], v[42:43]
	v_fma_f64 v[44:45], v[125:126], v[67:68], v[44:45]
	v_fma_f64 v[46:47], -v[123:124], v[67:68], v[46:47]
	v_fma_f64 v[32:33], v[121:122], v[67:68], v[32:33]
	;; [unrolled: 17-line block ×5, first 2 shown]
	s_and_not1_b32 exec_lo, exec_lo, s5
	s_cbranch_execnz .LBB58_37
; %bb.38:
	s_or_b32 exec_lo, exec_lo, s5
.LBB58_39:
	s_delay_alu instid0(SALU_CYCLE_1)
	s_or_b32 exec_lo, exec_lo, s4
.LBB58_40:
	s_delay_alu instid0(SALU_CYCLE_1)
	s_or_b32 exec_lo, exec_lo, s1
.LBB58_41:
	v_mbcnt_lo_u32_b32 v48, -1, 0
	s_delay_alu instid0(VALU_DEP_1) | instskip(SKIP_1) | instid1(VALU_DEP_2)
	v_xor_b32_e32 v0, 16, v48
	v_xor_b32_e32 v26, 8, v48
	v_cmp_gt_i32_e32 vcc_lo, 32, v0
	v_cndmask_b32_e32 v0, v48, v0, vcc_lo
	s_delay_alu instid0(VALU_DEP_3) | instskip(NEXT) | instid1(VALU_DEP_2)
	v_cmp_gt_i32_e32 vcc_lo, 32, v26
	v_dual_cndmask_b32 v26, v48, v26 :: v_dual_lshlrev_b32 v15, 2, v0
	ds_bpermute_b32 v0, v15, v40
	ds_bpermute_b32 v1, v15, v41
	;; [unrolled: 1-line block ×16, first 2 shown]
	s_waitcnt lgkmcnt(0)
	v_add_f64 v[0:1], v[40:41], v[0:1]
	v_lshlrev_b32_e32 v41, 2, v26
	v_add_f64 v[2:3], v[36:37], v[2:3]
	v_add_f64 v[4:5], v[46:47], v[4:5]
	;; [unrolled: 1-line block ×7, first 2 shown]
	ds_bpermute_b32 v26, v41, v0
	ds_bpermute_b32 v27, v41, v1
	;; [unrolled: 1-line block ×16, first 2 shown]
	s_waitcnt lgkmcnt(14)
	v_add_f64 v[0:1], v[0:1], v[26:27]
	v_xor_b32_e32 v26, 4, v48
	s_waitcnt lgkmcnt(12)
	v_add_f64 v[2:3], v[2:3], v[28:29]
	s_waitcnt lgkmcnt(10)
	v_add_f64 v[4:5], v[4:5], v[30:31]
	s_waitcnt lgkmcnt(8)
	v_add_f64 v[6:7], v[6:7], v[32:33]
	v_cmp_gt_i32_e32 vcc_lo, 32, v26
	s_waitcnt lgkmcnt(6)
	v_add_f64 v[8:9], v[8:9], v[34:35]
	s_waitcnt lgkmcnt(4)
	v_add_f64 v[10:11], v[10:11], v[36:37]
	;; [unrolled: 2-line block ×3, first 2 shown]
	v_cndmask_b32_e32 v26, v48, v26, vcc_lo
	s_waitcnt lgkmcnt(0)
	v_add_f64 v[14:15], v[14:15], v[40:41]
	s_delay_alu instid0(VALU_DEP_2)
	v_lshlrev_b32_e32 v41, 2, v26
	ds_bpermute_b32 v26, v41, v0
	ds_bpermute_b32 v27, v41, v1
	;; [unrolled: 1-line block ×16, first 2 shown]
	s_waitcnt lgkmcnt(14)
	v_add_f64 v[0:1], v[0:1], v[26:27]
	s_waitcnt lgkmcnt(12)
	v_add_f64 v[2:3], v[2:3], v[28:29]
	;; [unrolled: 2-line block ×8, first 2 shown]
	v_xor_b32_e32 v14, 2, v48
	s_delay_alu instid0(VALU_DEP_1) | instskip(SKIP_1) | instid1(VALU_DEP_1)
	v_cmp_gt_i32_e32 vcc_lo, 32, v14
	v_cndmask_b32_e32 v14, v48, v14, vcc_lo
	v_lshlrev_b32_e32 v41, 2, v14
	ds_bpermute_b32 v14, v41, v0
	ds_bpermute_b32 v15, v41, v1
	;; [unrolled: 1-line block ×16, first 2 shown]
	s_waitcnt lgkmcnt(14)
	v_add_f64 v[0:1], v[0:1], v[14:15]
	s_waitcnt lgkmcnt(12)
	v_add_f64 v[28:29], v[2:3], v[28:29]
	;; [unrolled: 2-line block ×7, first 2 shown]
	v_xor_b32_e32 v12, 1, v48
	s_waitcnt lgkmcnt(0)
	v_add_f64 v[8:9], v[26:27], v[40:41]
	s_delay_alu instid0(VALU_DEP_2) | instskip(SKIP_2) | instid1(VALU_DEP_2)
	v_cmp_gt_i32_e32 vcc_lo, 32, v12
	v_cndmask_b32_e32 v12, v48, v12, vcc_lo
	v_cmp_eq_u32_e32 vcc_lo, 31, v60
	v_lshlrev_b32_e32 v35, 2, v12
	ds_bpermute_b32 v12, v35, v0
	ds_bpermute_b32 v13, v35, v1
	;; [unrolled: 1-line block ×16, first 2 shown]
	s_and_b32 exec_lo, exec_lo, vcc_lo
	s_cbranch_execz .LBB58_12
; %bb.42:
	s_waitcnt lgkmcnt(12)
	v_add_f64 v[28:29], v[28:29], v[40:41]
	s_waitcnt lgkmcnt(8)
	v_add_f64 v[14:15], v[14:15], v[38:39]
	;; [unrolled: 2-line block ×4, first 2 shown]
	v_add_f64 v[0:1], v[0:1], v[12:13]
	v_add_f64 v[2:3], v[2:3], v[26:27]
	v_add_f64 v[26:27], v[4:5], v[30:31]
	v_add_f64 v[30:31], v[6:7], v[32:33]
	v_cmp_eq_f64_e32 vcc_lo, 0, v[16:17]
	v_cmp_eq_f64_e64 s0, 0, v[18:19]
	s_load_b64 s[2:3], s[2:3], 0x68
	v_mul_f64 v[4:5], v[28:29], -v[22:23]
	v_mul_f64 v[6:7], v[20:21], v[28:29]
	v_mul_f64 v[28:29], v[14:15], -v[22:23]
	v_mul_f64 v[32:33], v[20:21], v[14:15]
	v_mul_f64 v[34:35], v[10:11], -v[22:23]
	v_mul_f64 v[36:37], v[20:21], v[10:11]
	v_mul_f64 v[38:39], v[8:9], -v[22:23]
	v_mul_f64 v[40:41], v[20:21], v[8:9]
	s_and_b32 s0, vcc_lo, s0
	v_fma_f64 v[12:13], v[20:21], v[0:1], v[4:5]
	v_fma_f64 v[14:15], v[22:23], v[0:1], v[6:7]
	;; [unrolled: 1-line block ×8, first 2 shown]
	v_lshlrev_b64 v[20:21], 6, v[24:25]
	s_and_saveexec_b32 s1, s0
	s_delay_alu instid0(SALU_CYCLE_1)
	s_xor_b32 s0, exec_lo, s1
	s_cbranch_execz .LBB58_44
; %bb.43:
	s_waitcnt lgkmcnt(0)
	s_delay_alu instid0(VALU_DEP_1)
	v_add_co_u32 v16, vcc_lo, s2, v20
	v_add_co_ci_u32_e32 v17, vcc_lo, s3, v21, vcc_lo
                                        ; implicit-def: $vgpr18_vgpr19
                                        ; implicit-def: $vgpr20_vgpr21
	s_clause 0x3
	global_store_b128 v[16:17], v[12:15], off
	global_store_b128 v[16:17], v[8:11], off offset:16
	global_store_b128 v[16:17], v[4:7], off offset:32
	;; [unrolled: 1-line block ×3, first 2 shown]
                                        ; implicit-def: $vgpr16_vgpr17
                                        ; implicit-def: $vgpr12_vgpr13
                                        ; implicit-def: $vgpr8_vgpr9
                                        ; implicit-def: $vgpr4_vgpr5
                                        ; implicit-def: $vgpr0_vgpr1
.LBB58_44:
	s_and_not1_saveexec_b32 s0, s0
	s_cbranch_execz .LBB58_12
; %bb.45:
	s_waitcnt lgkmcnt(0)
	v_add_co_u32 v36, vcc_lo, s2, v20
	v_add_co_ci_u32_e32 v37, vcc_lo, s3, v21, vcc_lo
	s_clause 0x3
	global_load_b128 v[20:23], v[36:37], off
	global_load_b128 v[24:27], v[36:37], off offset:16
	global_load_b128 v[28:31], v[36:37], off offset:32
	;; [unrolled: 1-line block ×3, first 2 shown]
	s_waitcnt vmcnt(3)
	v_fma_f64 v[12:13], v[16:17], v[20:21], v[12:13]
	v_fma_f64 v[14:15], v[18:19], v[20:21], v[14:15]
	s_waitcnt vmcnt(2)
	v_fma_f64 v[8:9], v[16:17], v[24:25], v[8:9]
	v_fma_f64 v[10:11], v[18:19], v[24:25], v[10:11]
	;; [unrolled: 3-line block ×4, first 2 shown]
	v_fma_f64 v[0:1], -v[18:19], v[22:23], v[12:13]
	v_fma_f64 v[2:3], v[16:17], v[22:23], v[14:15]
	v_fma_f64 v[4:5], -v[18:19], v[26:27], v[8:9]
	v_fma_f64 v[6:7], v[16:17], v[26:27], v[10:11]
	;; [unrolled: 2-line block ×4, first 2 shown]
	s_clause 0x3
	global_store_b128 v[36:37], v[0:3], off
	global_store_b128 v[36:37], v[4:7], off offset:16
	global_store_b128 v[36:37], v[8:11], off offset:32
	;; [unrolled: 1-line block ×3, first 2 shown]
	s_nop 0
	s_sendmsg sendmsg(MSG_DEALLOC_VGPRS)
	s_endpgm
	.section	.rodata,"a",@progbits
	.p2align	6, 0x0
	.amdhsa_kernel _ZN9rocsparseL18bsrxmvn_4x4_kernelILj128ELj32E21rocsparse_complex_numIdEllS2_S2_S2_EEvT3_20rocsparse_direction_NS_24const_host_device_scalarIT1_EES3_PKS3_PKT2_SC_S9_PKT4_PKT5_S7_PT6_21rocsparse_index_base_b
		.amdhsa_group_segment_fixed_size 2048
		.amdhsa_private_segment_fixed_size 0
		.amdhsa_kernarg_size 120
		.amdhsa_user_sgpr_count 15
		.amdhsa_user_sgpr_dispatch_ptr 1
		.amdhsa_user_sgpr_queue_ptr 0
		.amdhsa_user_sgpr_kernarg_segment_ptr 1
		.amdhsa_user_sgpr_dispatch_id 0
		.amdhsa_user_sgpr_private_segment_size 0
		.amdhsa_wavefront_size32 1
		.amdhsa_uses_dynamic_stack 0
		.amdhsa_enable_private_segment 0
		.amdhsa_system_sgpr_workgroup_id_x 1
		.amdhsa_system_sgpr_workgroup_id_y 0
		.amdhsa_system_sgpr_workgroup_id_z 0
		.amdhsa_system_sgpr_workgroup_info 0
		.amdhsa_system_vgpr_workitem_id 2
		.amdhsa_next_free_vgpr 161
		.amdhsa_next_free_sgpr 18
		.amdhsa_reserve_vcc 1
		.amdhsa_float_round_mode_32 0
		.amdhsa_float_round_mode_16_64 0
		.amdhsa_float_denorm_mode_32 3
		.amdhsa_float_denorm_mode_16_64 3
		.amdhsa_dx10_clamp 1
		.amdhsa_ieee_mode 1
		.amdhsa_fp16_overflow 0
		.amdhsa_workgroup_processor_mode 1
		.amdhsa_memory_ordered 1
		.amdhsa_forward_progress 0
		.amdhsa_shared_vgpr_count 0
		.amdhsa_exception_fp_ieee_invalid_op 0
		.amdhsa_exception_fp_denorm_src 0
		.amdhsa_exception_fp_ieee_div_zero 0
		.amdhsa_exception_fp_ieee_overflow 0
		.amdhsa_exception_fp_ieee_underflow 0
		.amdhsa_exception_fp_ieee_inexact 0
		.amdhsa_exception_int_div_zero 0
	.end_amdhsa_kernel
	.section	.text._ZN9rocsparseL18bsrxmvn_4x4_kernelILj128ELj32E21rocsparse_complex_numIdEllS2_S2_S2_EEvT3_20rocsparse_direction_NS_24const_host_device_scalarIT1_EES3_PKS3_PKT2_SC_S9_PKT4_PKT5_S7_PT6_21rocsparse_index_base_b,"axG",@progbits,_ZN9rocsparseL18bsrxmvn_4x4_kernelILj128ELj32E21rocsparse_complex_numIdEllS2_S2_S2_EEvT3_20rocsparse_direction_NS_24const_host_device_scalarIT1_EES3_PKS3_PKT2_SC_S9_PKT4_PKT5_S7_PT6_21rocsparse_index_base_b,comdat
.Lfunc_end58:
	.size	_ZN9rocsparseL18bsrxmvn_4x4_kernelILj128ELj32E21rocsparse_complex_numIdEllS2_S2_S2_EEvT3_20rocsparse_direction_NS_24const_host_device_scalarIT1_EES3_PKS3_PKT2_SC_S9_PKT4_PKT5_S7_PT6_21rocsparse_index_base_b, .Lfunc_end58-_ZN9rocsparseL18bsrxmvn_4x4_kernelILj128ELj32E21rocsparse_complex_numIdEllS2_S2_S2_EEvT3_20rocsparse_direction_NS_24const_host_device_scalarIT1_EES3_PKS3_PKT2_SC_S9_PKT4_PKT5_S7_PT6_21rocsparse_index_base_b
                                        ; -- End function
	.section	.AMDGPU.csdata,"",@progbits
; Kernel info:
; codeLenInByte = 11428
; NumSgprs: 20
; NumVgprs: 161
; ScratchSize: 0
; MemoryBound: 1
; FloatMode: 240
; IeeeMode: 1
; LDSByteSize: 2048 bytes/workgroup (compile time only)
; SGPRBlocks: 2
; VGPRBlocks: 20
; NumSGPRsForWavesPerEU: 20
; NumVGPRsForWavesPerEU: 161
; Occupancy: 9
; WaveLimiterHint : 1
; COMPUTE_PGM_RSRC2:SCRATCH_EN: 0
; COMPUTE_PGM_RSRC2:USER_SGPR: 15
; COMPUTE_PGM_RSRC2:TRAP_HANDLER: 0
; COMPUTE_PGM_RSRC2:TGID_X_EN: 1
; COMPUTE_PGM_RSRC2:TGID_Y_EN: 0
; COMPUTE_PGM_RSRC2:TGID_Z_EN: 0
; COMPUTE_PGM_RSRC2:TIDIG_COMP_CNT: 2
	.section	.text._ZN9rocsparseL18bsrxmvn_4x4_kernelILj128ELj64E21rocsparse_complex_numIdEllS2_S2_S2_EEvT3_20rocsparse_direction_NS_24const_host_device_scalarIT1_EES3_PKS3_PKT2_SC_S9_PKT4_PKT5_S7_PT6_21rocsparse_index_base_b,"axG",@progbits,_ZN9rocsparseL18bsrxmvn_4x4_kernelILj128ELj64E21rocsparse_complex_numIdEllS2_S2_S2_EEvT3_20rocsparse_direction_NS_24const_host_device_scalarIT1_EES3_PKS3_PKT2_SC_S9_PKT4_PKT5_S7_PT6_21rocsparse_index_base_b,comdat
	.globl	_ZN9rocsparseL18bsrxmvn_4x4_kernelILj128ELj64E21rocsparse_complex_numIdEllS2_S2_S2_EEvT3_20rocsparse_direction_NS_24const_host_device_scalarIT1_EES3_PKS3_PKT2_SC_S9_PKT4_PKT5_S7_PT6_21rocsparse_index_base_b ; -- Begin function _ZN9rocsparseL18bsrxmvn_4x4_kernelILj128ELj64E21rocsparse_complex_numIdEllS2_S2_S2_EEvT3_20rocsparse_direction_NS_24const_host_device_scalarIT1_EES3_PKS3_PKT2_SC_S9_PKT4_PKT5_S7_PT6_21rocsparse_index_base_b
	.p2align	8
	.type	_ZN9rocsparseL18bsrxmvn_4x4_kernelILj128ELj64E21rocsparse_complex_numIdEllS2_S2_S2_EEvT3_20rocsparse_direction_NS_24const_host_device_scalarIT1_EES3_PKS3_PKT2_SC_S9_PKT4_PKT5_S7_PT6_21rocsparse_index_base_b,@function
_ZN9rocsparseL18bsrxmvn_4x4_kernelILj128ELj64E21rocsparse_complex_numIdEllS2_S2_S2_EEvT3_20rocsparse_direction_NS_24const_host_device_scalarIT1_EES3_PKS3_PKT2_SC_S9_PKT4_PKT5_S7_PT6_21rocsparse_index_base_b: ; @_ZN9rocsparseL18bsrxmvn_4x4_kernelILj128ELj64E21rocsparse_complex_numIdEllS2_S2_S2_EEvT3_20rocsparse_direction_NS_24const_host_device_scalarIT1_EES3_PKS3_PKT2_SC_S9_PKT4_PKT5_S7_PT6_21rocsparse_index_base_b
; %bb.0:
	s_load_b64 s[12:13], s[2:3], 0x70
	s_load_b64 s[16:17], s[0:1], 0x4
	s_load_b128 s[8:11], s[2:3], 0x10
	v_bfe_u32 v1, v0, 10, 10
	s_mov_b64 s[0:1], src_shared_base
	s_load_b128 s[4:7], s[2:3], 0x58
	v_and_b32_e32 v2, 0x3ff, v0
	v_bfe_u32 v0, v0, 20, 10
	s_waitcnt lgkmcnt(0)
	s_bitcmp1_b32 s13, 0
	v_mul_u32_u24_e32 v1, s17, v1
	v_mov_b32_e32 v3, s8
	s_cselect_b32 s0, -1, 0
	v_mov_b32_e32 v23, s11
	s_and_b32 vcc_lo, s0, exec_lo
	s_cselect_b32 s13, s1, s9
	s_lshr_b32 s14, s16, 16
	v_dual_mov_b32 v6, s5 :: v_dual_mov_b32 v5, s4
	s_mul_i32 s14, s14, s17
	v_mov_b32_e32 v8, s13
	v_mad_u32_u24 v1, s14, v2, v1
	v_mov_b32_e32 v22, s10
	s_xor_b32 s10, s0, -1
	v_mov_b32_e32 v4, s9
	s_delay_alu instid0(VALU_DEP_3) | instskip(NEXT) | instid1(VALU_DEP_1)
	v_add_lshl_u32 v0, v1, v0, 3
	v_add_nc_u32_e32 v1, 0x400, v0
	ds_store_2addr_stride64_b64 v0, v[5:6], v[3:4] offset1:2
	v_cndmask_b32_e64 v7, s8, v1, s0
	flat_load_b64 v[20:21], v[7:8]
	s_cbranch_vccnz .LBB59_2
; %bb.1:
	v_dual_mov_b32 v3, s8 :: v_dual_mov_b32 v4, s9
	flat_load_b64 v[22:23], v[3:4] offset:8
.LBB59_2:
	s_and_b32 s8, s0, exec_lo
	s_cselect_b32 s1, s1, s5
	v_cndmask_b32_e64 v0, s4, v0, s0
	v_mov_b32_e32 v1, s1
	v_dual_mov_b32 v19, s7 :: v_dual_mov_b32 v18, s6
	s_and_not1_b32 vcc_lo, exec_lo, s10
	flat_load_b64 v[16:17], v[0:1]
	s_cbranch_vccnz .LBB59_4
; %bb.3:
	v_dual_mov_b32 v0, s4 :: v_dual_mov_b32 v1, s5
	flat_load_b64 v[18:19], v[0:1] offset:8
.LBB59_4:
	s_waitcnt vmcnt(1) lgkmcnt(1)
	v_cmp_eq_f64_e32 vcc_lo, 0, v[20:21]
	v_cmp_eq_f64_e64 s0, 0, v[22:23]
	s_delay_alu instid0(VALU_DEP_1)
	s_and_b32 s4, vcc_lo, s0
	s_mov_b32 s0, -1
	s_and_saveexec_b32 s1, s4
	s_cbranch_execz .LBB59_6
; %bb.5:
	s_waitcnt vmcnt(0) lgkmcnt(0)
	v_cmp_neq_f64_e32 vcc_lo, 1.0, v[16:17]
	v_cmp_neq_f64_e64 s0, 0, v[18:19]
	s_delay_alu instid0(VALU_DEP_1) | instskip(NEXT) | instid1(SALU_CYCLE_1)
	s_or_b32 s0, vcc_lo, s0
	s_or_not1_b32 s0, s0, exec_lo
.LBB59_6:
	s_or_b32 exec_lo, exec_lo, s1
	s_and_saveexec_b32 s1, s0
	s_cbranch_execz .LBB59_12
; %bb.7:
	s_load_b64 s[0:1], s[2:3], 0x28
	v_lshrrev_b32_e32 v0, 6, v2
	v_mov_b32_e32 v1, 0
	s_mov_b32 s4, 0
	s_delay_alu instid0(VALU_DEP_2)
	v_lshl_or_b32 v0, s15, 1, v0
	s_waitcnt lgkmcnt(0)
	s_cmp_lg_u64 s[0:1], 0
	s_cbranch_scc0 .LBB59_13
; %bb.8:
	s_load_b64 s[4:5], s[2:3], 0x20
                                        ; implicit-def: $vgpr24_vgpr25
	s_waitcnt lgkmcnt(0)
	v_cmp_gt_i64_e32 vcc_lo, s[4:5], v[0:1]
	s_mov_b32 s5, 0
	s_mov_b32 s4, 0
	s_and_saveexec_b32 s6, vcc_lo
	s_delay_alu instid0(SALU_CYCLE_1)
	s_xor_b32 s6, exec_lo, s6
                                        ; implicit-def: $sgpr14_sgpr15
	s_cbranch_execz .LBB59_10
; %bb.9:
	v_lshlrev_b64 v[3:4], 3, v[0:1]
	s_mov_b32 s4, exec_lo
	s_mov_b32 s15, 0
	s_delay_alu instid0(VALU_DEP_1) | instskip(NEXT) | instid1(VALU_DEP_2)
	v_add_co_u32 v3, vcc_lo, s0, v3
	v_add_co_ci_u32_e32 v4, vcc_lo, s1, v4, vcc_lo
	global_load_b64 v[3:4], v[3:4], off
	s_waitcnt vmcnt(0)
	v_sub_co_u32 v24, vcc_lo, v3, s12
	v_subrev_co_ci_u32_e32 v25, vcc_lo, 0, v4, vcc_lo
.LBB59_10:
	s_or_b32 exec_lo, exec_lo, s6
	s_delay_alu instid0(SALU_CYCLE_1)
	s_and_b32 vcc_lo, exec_lo, s5
	s_cbranch_vccnz .LBB59_14
.LBB59_11:
	s_and_b32 exec_lo, exec_lo, s4
	s_cbranch_execnz .LBB59_17
.LBB59_12:
	s_nop 0
	s_sendmsg sendmsg(MSG_DEALLOC_VGPRS)
	s_endpgm
.LBB59_13:
                                        ; implicit-def: $vgpr24_vgpr25
                                        ; implicit-def: $sgpr14_sgpr15
	s_cbranch_execz .LBB59_11
.LBB59_14:
	s_load_b64 s[0:1], s[2:3], 0x0
                                        ; implicit-def: $vgpr24_vgpr25
	s_waitcnt lgkmcnt(0)
	v_cmp_gt_i64_e32 vcc_lo, s[0:1], v[0:1]
	s_and_saveexec_b32 s0, vcc_lo
                                        ; implicit-def: $sgpr14_sgpr15
; %bb.15:
	v_dual_mov_b32 v25, v1 :: v_dual_mov_b32 v24, v0
	s_mov_b32 s15, 0
	s_or_b32 s4, s4, exec_lo
; %bb.16:
	s_or_b32 exec_lo, exec_lo, s0
	s_delay_alu instid0(SALU_CYCLE_1)
	s_and_b32 exec_lo, exec_lo, s4
	s_cbranch_execz .LBB59_12
.LBB59_17:
	s_load_b256 s[4:11], s[2:3], 0x30
	v_lshlrev_b64 v[0:1], 3, v[24:25]
	v_and_b32_e32 v60, 63, v2
	s_load_b32 s1, s[2:3], 0x8
	s_waitcnt lgkmcnt(0)
	s_delay_alu instid0(VALU_DEP_2) | instskip(NEXT) | instid1(VALU_DEP_3)
	v_add_co_u32 v3, vcc_lo, s4, v0
	v_add_co_ci_u32_e32 v4, vcc_lo, s5, v1, vcc_lo
	v_add_co_u32 v0, vcc_lo, s6, v0
	v_add_co_ci_u32_e32 v1, vcc_lo, s7, v1, vcc_lo
	s_delay_alu instid0(VALU_DEP_4) | instskip(NEXT) | instid1(VALU_DEP_4)
	v_add_co_u32 v5, vcc_lo, v3, 8
	v_add_co_ci_u32_e32 v6, vcc_lo, 0, v4, vcc_lo
	global_load_b64 v[48:49], v[3:4], off
	s_cmp_eq_u64 s[6:7], 0
	s_load_b64 s[6:7], s[2:3], 0x50
	s_cselect_b32 vcc_lo, -1, 0
	s_cmp_eq_u32 s1, 1
	v_dual_cndmask_b32 v1, v1, v6 :: v_dual_cndmask_b32 v0, v0, v5
	global_load_b64 v[0:1], v[0:1], off
	s_waitcnt vmcnt(1)
	v_sub_co_u32 v2, vcc_lo, v48, s12
	v_subrev_co_ci_u32_e32 v3, vcc_lo, s15, v49, vcc_lo
	s_delay_alu instid0(VALU_DEP_2) | instskip(NEXT) | instid1(VALU_DEP_2)
	v_add_co_u32 v26, vcc_lo, v2, v60
	v_add_co_ci_u32_e32 v27, vcc_lo, 0, v3, vcc_lo
	s_waitcnt vmcnt(0)
	v_sub_co_u32 v28, vcc_lo, v0, s12
	v_subrev_co_ci_u32_e32 v29, vcc_lo, s15, v1, vcc_lo
	s_delay_alu instid0(VALU_DEP_3) | instskip(NEXT) | instid1(VALU_DEP_2)
	v_lshlrev_b64 v[0:1], 8, v[26:27]
	v_cmp_lt_i64_e64 s0, v[26:27], v[28:29]
	s_delay_alu instid0(VALU_DEP_2) | instskip(NEXT) | instid1(VALU_DEP_3)
	v_add_co_u32 v30, vcc_lo, s10, v0
	v_add_co_ci_u32_e32 v31, vcc_lo, s11, v1, vcc_lo
	s_cbranch_scc1 .LBB59_29
; %bb.18:
	v_mov_b32_e32 v36, 0
	v_mov_b32_e32 v37, 0
	s_delay_alu instid0(VALU_DEP_2) | instskip(NEXT) | instid1(VALU_DEP_2)
	v_mov_b32_e32 v34, v36
	v_dual_mov_b32 v32, v36 :: v_dual_mov_b32 v33, v37
	v_dual_mov_b32 v41, v37 :: v_dual_mov_b32 v40, v36
	v_mov_b32_e32 v35, v37
	v_dual_mov_b32 v43, v37 :: v_dual_mov_b32 v42, v36
	v_dual_mov_b32 v45, v37 :: v_dual_mov_b32 v44, v36
	;; [unrolled: 1-line block ×4, first 2 shown]
	s_and_saveexec_b32 s5, s0
	s_cbranch_execz .LBB59_28
; %bb.19:
	v_or_b32_e32 v0, 64, v60
	v_not_b32_e32 v3, v48
	v_not_b32_e32 v2, v49
	v_dual_mov_b32 v38, 0 :: v_dual_mov_b32 v51, v31
	s_delay_alu instid0(VALU_DEP_4) | instskip(NEXT) | instid1(VALU_DEP_1)
	v_sub_co_u32 v0, s1, v0, s12
	v_sub_co_ci_u32_e64 v1, null, 0, s15, s1
	v_sub_co_u32 v4, s1, s12, v60
	s_delay_alu instid0(VALU_DEP_3) | instskip(NEXT) | instid1(VALU_DEP_3)
	v_add_co_u32 v0, vcc_lo, v0, v48
	v_add_co_ci_u32_e32 v1, vcc_lo, v1, v49, vcc_lo
	v_sub_co_ci_u32_e64 v5, null, s15, 0, s1
	s_mov_b32 s10, 0
	s_delay_alu instid0(VALU_DEP_2)
	v_cmp_gt_i64_e32 vcc_lo, v[0:1], v[28:29]
	s_mov_b32 s4, exec_lo
	v_dual_mov_b32 v53, v27 :: v_dual_mov_b32 v52, v26
	v_dual_cndmask_b32 v1, v29, v1 :: v_dual_cndmask_b32 v0, v28, v0
	v_add_co_u32 v3, vcc_lo, v4, v3
	v_add_co_ci_u32_e32 v2, vcc_lo, v5, v2, vcc_lo
	s_delay_alu instid0(VALU_DEP_2) | instskip(NEXT) | instid1(VALU_DEP_2)
	v_add_co_u32 v0, vcc_lo, v3, v0
	v_add_co_ci_u32_e32 v1, vcc_lo, v2, v1, vcc_lo
	s_delay_alu instid0(VALU_DEP_2) | instskip(NEXT) | instid1(VALU_DEP_1)
	v_lshrrev_b32_e32 v2, 6, v0
	v_dual_mov_b32 v39, 0 :: v_dual_add_nc_u32 v2, 1, v2
	s_delay_alu instid0(VALU_DEP_1)
	v_dual_mov_b32 v50, v30 :: v_dual_mov_b32 v47, v39
	v_dual_mov_b32 v46, v38 :: v_dual_mov_b32 v45, v39
	;; [unrolled: 1-line block ×4, first 2 shown]
	v_mov_b32_e32 v34, v38
	v_mov_b32_e32 v40, v38
	;; [unrolled: 1-line block ×3, first 2 shown]
	v_dual_mov_b32 v42, v38 :: v_dual_mov_b32 v33, v39
	v_dual_mov_b32 v35, v39 :: v_dual_and_b32 v2, 3, v2
	v_mov_b32_e32 v37, v39
	s_delay_alu instid0(VALU_DEP_2)
	v_cmpx_ne_u32_e32 0, v2
	s_cbranch_execz .LBB59_23
; %bb.20:
	v_lshlrev_b64 v[4:5], 3, v[26:27]
	v_dual_mov_b32 v3, 0 :: v_dual_mov_b32 v36, 0
	v_dual_mov_b32 v37, 0 :: v_dual_lshlrev_b32 v2, 3, v2
	v_dual_mov_b32 v53, v27 :: v_dual_mov_b32 v52, v26
	s_delay_alu instid0(VALU_DEP_4)
	v_add_co_u32 v4, vcc_lo, s8, v4
	v_add_co_ci_u32_e32 v5, vcc_lo, s9, v5, vcc_lo
	v_dual_mov_b32 v51, v31 :: v_dual_mov_b32 v50, v30
	v_dual_mov_b32 v41, v37 :: v_dual_mov_b32 v40, v36
	;; [unrolled: 1-line block ×8, first 2 shown]
.LBB59_21:                              ; =>This Inner Loop Header: Depth=1
	global_load_b64 v[14:15], v[4:5], off
	s_clause 0x7
	global_load_b128 v[6:9], v[50:51], off offset:16
	global_load_b128 v[10:13], v[50:51], off
	global_load_b128 v[54:57], v[50:51], off offset:80
	global_load_b128 v[61:64], v[50:51], off offset:64
	;; [unrolled: 1-line block ×6, first 2 shown]
	v_add_co_u32 v4, s1, 0x200, v4
	s_delay_alu instid0(VALU_DEP_1) | instskip(SKIP_3) | instid1(VALU_DEP_1)
	v_add_co_ci_u32_e64 v5, s1, 0, v5, s1
	s_waitcnt vmcnt(8)
	v_sub_co_u32 v14, vcc_lo, v14, s12
	v_subrev_co_ci_u32_e32 v15, vcc_lo, s15, v15, vcc_lo
	v_lshlrev_b64 v[14:15], 6, v[14:15]
	s_waitcnt lgkmcnt(0)
	s_delay_alu instid0(VALU_DEP_1) | instskip(NEXT) | instid1(VALU_DEP_2)
	v_add_co_u32 v14, vcc_lo, s6, v14
	v_add_co_ci_u32_e32 v15, vcc_lo, s7, v15, vcc_lo
	s_clause 0x1
	global_load_b128 v[81:84], v[14:15], off
	global_load_b128 v[85:88], v[14:15], off offset:16
	s_clause 0x7
	global_load_b128 v[89:92], v[50:51], off offset:48
	global_load_b128 v[93:96], v[50:51], off offset:32
	global_load_b128 v[97:100], v[50:51], off offset:112
	global_load_b128 v[101:104], v[50:51], off offset:96
	global_load_b128 v[105:108], v[50:51], off offset:176
	global_load_b128 v[109:112], v[50:51], off offset:160
	global_load_b128 v[113:116], v[50:51], off offset:240
	global_load_b128 v[117:120], v[50:51], off offset:224
	s_clause 0x1
	global_load_b128 v[121:124], v[14:15], off offset:32
	global_load_b128 v[125:128], v[14:15], off offset:48
	v_add_co_u32 v50, vcc_lo, 0x4000, v50
	v_add_co_ci_u32_e32 v51, vcc_lo, 0, v51, vcc_lo
	v_add_co_u32 v2, vcc_lo, v2, -8
	v_add_co_ci_u32_e32 v3, vcc_lo, -1, v3, vcc_lo
	v_add_co_u32 v52, vcc_lo, v52, 64
	v_add_co_ci_u32_e32 v53, vcc_lo, 0, v53, vcc_lo
	s_delay_alu instid0(VALU_DEP_3)
	v_cmp_eq_u64_e32 vcc_lo, 0, v[2:3]
	s_or_b32 s10, vcc_lo, s10
	s_waitcnt vmcnt(11)
	v_fma_f64 v[14:15], v[10:11], v[81:82], v[40:41]
	v_fma_f64 v[36:37], v[12:13], v[81:82], v[36:37]
	v_fma_f64 v[40:41], v[61:62], v[81:82], v[46:47]
	v_fma_f64 v[38:39], v[63:64], v[81:82], v[38:39]
	v_fma_f64 v[42:43], v[69:70], v[81:82], v[42:43]
	v_fma_f64 v[44:45], v[71:72], v[81:82], v[44:45]
	v_fma_f64 v[34:35], v[77:78], v[81:82], v[34:35]
	v_fma_f64 v[32:33], v[79:80], v[81:82], v[32:33]
	v_fma_f64 v[12:13], -v[12:13], v[83:84], v[14:15]
	v_fma_f64 v[10:11], v[10:11], v[83:84], v[36:37]
	v_fma_f64 v[14:15], -v[63:64], v[83:84], v[40:41]
	v_fma_f64 v[36:37], v[61:62], v[83:84], v[38:39]
	v_fma_f64 v[38:39], -v[71:72], v[83:84], v[42:43]
	v_fma_f64 v[40:41], v[69:70], v[83:84], v[44:45]
	v_fma_f64 v[34:35], -v[79:80], v[83:84], v[34:35]
	v_fma_f64 v[32:33], v[77:78], v[83:84], v[32:33]
	s_waitcnt vmcnt(10)
	v_fma_f64 v[12:13], v[6:7], v[85:86], v[12:13]
	v_fma_f64 v[10:11], v[8:9], v[85:86], v[10:11]
	v_fma_f64 v[14:15], v[54:55], v[85:86], v[14:15]
	v_fma_f64 v[36:37], v[56:57], v[85:86], v[36:37]
	v_fma_f64 v[38:39], v[65:66], v[85:86], v[38:39]
	v_fma_f64 v[40:41], v[67:68], v[85:86], v[40:41]
	v_fma_f64 v[34:35], v[73:74], v[85:86], v[34:35]
	v_fma_f64 v[32:33], v[75:76], v[85:86], v[32:33]
	v_fma_f64 v[8:9], -v[8:9], v[87:88], v[12:13]
	v_fma_f64 v[6:7], v[6:7], v[87:88], v[10:11]
	v_fma_f64 v[10:11], -v[56:57], v[87:88], v[14:15]
	v_fma_f64 v[12:13], v[54:55], v[87:88], v[36:37]
	v_fma_f64 v[14:15], -v[67:68], v[87:88], v[38:39]
	v_fma_f64 v[36:37], v[65:66], v[87:88], v[40:41]
	v_fma_f64 v[34:35], -v[75:76], v[87:88], v[34:35]
	v_fma_f64 v[32:33], v[73:74], v[87:88], v[32:33]
	;; [unrolled: 17-line block ×4, first 2 shown]
	s_and_not1_b32 exec_lo, exec_lo, s10
	s_cbranch_execnz .LBB59_21
; %bb.22:
	s_or_b32 exec_lo, exec_lo, s10
.LBB59_23:
	s_delay_alu instid0(SALU_CYCLE_1) | instskip(NEXT) | instid1(SALU_CYCLE_1)
	s_or_b32 exec_lo, exec_lo, s4
	s_mov_b32 s10, exec_lo
	v_cmpx_lt_u64_e32 0xbf, v[0:1]
	s_cbranch_execz .LBB59_27
; %bb.24:
	v_lshlrev_b64 v[0:1], 3, v[52:53]
	s_mov_b32 s11, 0
	s_delay_alu instid0(VALU_DEP_1) | instskip(NEXT) | instid1(VALU_DEP_2)
	v_add_co_u32 v0, vcc_lo, v0, s8
	v_add_co_ci_u32_e32 v1, vcc_lo, s9, v1, vcc_lo
	s_delay_alu instid0(VALU_DEP_2) | instskip(NEXT) | instid1(VALU_DEP_2)
	v_add_co_u32 v54, vcc_lo, 0x400, v0
	v_add_co_ci_u32_e32 v55, vcc_lo, 0, v1, vcc_lo
.LBB59_25:                              ; =>This Inner Loop Header: Depth=1
	s_clause 0x1
	global_load_b64 v[56:57], v[54:55], off offset:-1024
	global_load_b64 v[58:59], v[54:55], off offset:-512
	s_clause 0x3
	global_load_b128 v[0:3], v[50:51], off
	global_load_b128 v[4:7], v[50:51], off offset:64
	global_load_b128 v[8:11], v[50:51], off offset:128
	;; [unrolled: 1-line block ×3, first 2 shown]
	s_waitcnt vmcnt(5)
	v_sub_co_u32 v56, vcc_lo, v56, s12
	v_subrev_co_ci_u32_e32 v57, vcc_lo, s15, v57, vcc_lo
	s_delay_alu instid0(VALU_DEP_1) | instskip(SKIP_1) | instid1(VALU_DEP_1)
	v_lshlrev_b64 v[56:57], 6, v[56:57]
	s_waitcnt lgkmcnt(0)
	v_add_co_u32 v56, vcc_lo, s6, v56
	s_delay_alu instid0(VALU_DEP_2)
	v_add_co_ci_u32_e32 v57, vcc_lo, s7, v57, vcc_lo
	v_add_co_u32 v143, vcc_lo, 0x4000, v50
	v_add_co_ci_u32_e32 v144, vcc_lo, 0, v51, vcc_lo
	global_load_b128 v[61:64], v[56:57], off
	s_clause 0x3
	global_load_b128 v[65:68], v[50:51], off offset:16
	global_load_b128 v[69:72], v[50:51], off offset:80
	global_load_b128 v[73:76], v[50:51], off offset:144
	global_load_b128 v[77:80], v[50:51], off offset:208
	global_load_b128 v[81:84], v[56:57], off offset:16
	s_clause 0x3
	global_load_b128 v[85:88], v[50:51], off offset:32
	global_load_b128 v[89:92], v[50:51], off offset:96
	global_load_b128 v[93:96], v[50:51], off offset:160
	global_load_b128 v[97:100], v[50:51], off offset:224
	global_load_b128 v[101:104], v[56:57], off offset:32
	;; [unrolled: 6-line block ×3, first 2 shown]
	global_load_b64 v[141:142], v[54:55], off
	s_waitcnt vmcnt(21)
	v_sub_co_u32 v56, vcc_lo, v58, s12
	v_subrev_co_ci_u32_e32 v57, vcc_lo, s15, v59, vcc_lo
	s_clause 0x3
	global_load_b128 v[125:128], v[143:144], off
	global_load_b128 v[129:132], v[143:144], off offset:64
	global_load_b128 v[133:136], v[143:144], off offset:128
	;; [unrolled: 1-line block ×3, first 2 shown]
	v_lshlrev_b64 v[56:57], 6, v[56:57]
	s_delay_alu instid0(VALU_DEP_1) | instskip(NEXT) | instid1(VALU_DEP_2)
	v_add_co_u32 v145, vcc_lo, s6, v56
	v_add_co_ci_u32_e32 v146, vcc_lo, s7, v57, vcc_lo
	v_add_co_u32 v159, vcc_lo, 0x8000, v50
	v_add_co_ci_u32_e32 v160, vcc_lo, 0, v51, vcc_lo
	global_load_b128 v[56:59], v[145:146], off
	s_waitcnt vmcnt(21)
	v_fma_f64 v[40:41], v[0:1], v[61:62], v[40:41]
	v_fma_f64 v[36:37], v[2:3], v[61:62], v[36:37]
	;; [unrolled: 1-line block ×8, first 2 shown]
	s_waitcnt vmcnt(5)
	v_sub_co_u32 v141, vcc_lo, v141, s12
	v_subrev_co_ci_u32_e32 v142, vcc_lo, s15, v142, vcc_lo
	v_fma_f64 v[40:41], -v[2:3], v[63:64], v[40:41]
	v_fma_f64 v[36:37], v[0:1], v[63:64], v[36:37]
	v_fma_f64 v[46:47], -v[6:7], v[63:64], v[46:47]
	v_fma_f64 v[38:39], v[4:5], v[63:64], v[38:39]
	;; [unrolled: 2-line block ×4, first 2 shown]
	s_clause 0x3
	global_load_b128 v[0:3], v[143:144], off offset:80
	global_load_b128 v[4:7], v[143:144], off offset:144
	global_load_b128 v[8:11], v[143:144], off offset:208
	global_load_b128 v[12:15], v[143:144], off offset:16
	global_load_b128 v[32:35], v[145:146], off offset:16
	v_fma_f64 v[40:41], v[65:66], v[81:82], v[40:41]
	v_fma_f64 v[36:37], v[67:68], v[81:82], v[36:37]
	;; [unrolled: 1-line block ×8, first 2 shown]
	v_fma_f64 v[81:82], -v[67:68], v[83:84], v[40:41]
	v_fma_f64 v[147:148], v[65:66], v[83:84], v[36:37]
	v_fma_f64 v[71:72], -v[71:72], v[83:84], v[46:47]
	v_fma_f64 v[69:70], v[69:70], v[83:84], v[38:39]
	;; [unrolled: 2-line block ×4, first 2 shown]
	s_clause 0x3
	global_load_b128 v[36:39], v[143:144], off offset:32
	global_load_b128 v[40:43], v[143:144], off offset:96
	;; [unrolled: 1-line block ×5, first 2 shown]
	v_fma_f64 v[81:82], v[85:86], v[101:102], v[81:82]
	v_fma_f64 v[83:84], v[87:88], v[101:102], v[147:148]
	;; [unrolled: 1-line block ×8, first 2 shown]
	v_fma_f64 v[101:102], -v[87:88], v[103:104], v[81:82]
	v_fma_f64 v[147:148], v[85:86], v[103:104], v[83:84]
	v_fma_f64 v[91:92], -v[91:92], v[103:104], v[71:72]
	v_fma_f64 v[89:90], v[89:90], v[103:104], v[69:70]
	;; [unrolled: 2-line block ×4, first 2 shown]
	s_clause 0x3
	global_load_b128 v[69:72], v[143:144], off offset:48
	global_load_b128 v[73:76], v[143:144], off offset:112
	;; [unrolled: 1-line block ×5, first 2 shown]
	global_load_b64 v[157:158], v[54:55], off offset:512
	v_fma_f64 v[143:144], v[105:106], v[121:122], v[101:102]
	v_fma_f64 v[145:146], v[107:108], v[121:122], v[147:148]
	v_fma_f64 v[147:148], v[109:110], v[121:122], v[91:92]
	v_fma_f64 v[149:150], v[111:112], v[121:122], v[89:90]
	v_fma_f64 v[151:152], v[113:114], v[121:122], v[95:96]
	v_fma_f64 v[153:154], v[115:116], v[121:122], v[93:94]
	v_fma_f64 v[155:156], v[117:118], v[121:122], v[99:100]
	v_fma_f64 v[121:122], v[119:120], v[121:122], v[97:98]
	s_clause 0x3
	global_load_b128 v[89:92], v[159:160], off
	global_load_b128 v[93:96], v[159:160], off offset:64
	global_load_b128 v[97:100], v[159:160], off offset:128
	;; [unrolled: 1-line block ×3, first 2 shown]
	v_fma_f64 v[143:144], -v[107:108], v[123:124], v[143:144]
	v_fma_f64 v[145:146], v[105:106], v[123:124], v[145:146]
	v_fma_f64 v[111:112], -v[111:112], v[123:124], v[147:148]
	v_fma_f64 v[109:110], v[109:110], v[123:124], v[149:150]
	;; [unrolled: 2-line block ×4, first 2 shown]
	v_lshlrev_b64 v[105:106], 6, v[141:142]
	s_delay_alu instid0(VALU_DEP_1) | instskip(NEXT) | instid1(VALU_DEP_2)
	v_add_co_u32 v141, vcc_lo, s6, v105
	v_add_co_ci_u32_e32 v142, vcc_lo, s7, v106, vcc_lo
	v_add_co_u32 v155, vcc_lo, 0xc000, v50
	v_add_co_ci_u32_e32 v156, vcc_lo, 0, v51, vcc_lo
	global_load_b128 v[105:108], v[141:142], off
	v_add_co_u32 v50, s1, 0x10000, v50
	s_waitcnt vmcnt(21)
	v_fma_f64 v[121:122], v[125:126], v[56:57], v[143:144]
	v_fma_f64 v[123:124], v[127:128], v[56:57], v[145:146]
	v_fma_f64 v[111:112], v[129:130], v[56:57], v[111:112]
	v_fma_f64 v[109:110], v[131:132], v[56:57], v[109:110]
	v_fma_f64 v[115:116], v[133:134], v[56:57], v[115:116]
	v_fma_f64 v[113:114], v[135:136], v[56:57], v[113:114]
	v_fma_f64 v[119:120], v[137:138], v[56:57], v[119:120]
	v_fma_f64 v[56:57], v[139:140], v[56:57], v[117:118]
	v_fma_f64 v[127:128], -v[127:128], v[58:59], v[121:122]
	v_fma_f64 v[125:126], v[125:126], v[58:59], v[123:124]
	v_fma_f64 v[131:132], -v[131:132], v[58:59], v[111:112]
	v_fma_f64 v[129:130], v[129:130], v[58:59], v[109:110]
	v_fma_f64 v[135:136], -v[135:136], v[58:59], v[115:116]
	v_fma_f64 v[133:134], v[133:134], v[58:59], v[113:114]
	v_fma_f64 v[139:140], -v[139:140], v[58:59], v[119:120]
	v_fma_f64 v[137:138], v[137:138], v[58:59], v[56:57]
	s_clause 0x3
	global_load_b128 v[56:59], v[159:160], off offset:80
	global_load_b128 v[109:112], v[159:160], off offset:144
	global_load_b128 v[113:116], v[159:160], off offset:208
	global_load_b128 v[117:120], v[159:160], off offset:16
	global_load_b128 v[121:124], v[141:142], off offset:16
	s_waitcnt vmcnt(21)
	v_fma_f64 v[127:128], v[12:13], v[32:33], v[127:128]
	v_fma_f64 v[125:126], v[14:15], v[32:33], v[125:126]
	v_fma_f64 v[131:132], v[0:1], v[32:33], v[131:132]
	v_fma_f64 v[129:130], v[2:3], v[32:33], v[129:130]
	v_fma_f64 v[135:136], v[4:5], v[32:33], v[135:136]
	v_fma_f64 v[133:134], v[6:7], v[32:33], v[133:134]
	v_fma_f64 v[139:140], v[8:9], v[32:33], v[139:140]
	v_fma_f64 v[32:33], v[10:11], v[32:33], v[137:138]
	v_fma_f64 v[127:128], -v[14:15], v[34:35], v[127:128]
	v_fma_f64 v[125:126], v[12:13], v[34:35], v[125:126]
	v_fma_f64 v[131:132], -v[2:3], v[34:35], v[131:132]
	v_fma_f64 v[129:130], v[0:1], v[34:35], v[129:130]
	v_fma_f64 v[135:136], -v[6:7], v[34:35], v[135:136]
	v_fma_f64 v[133:134], v[4:5], v[34:35], v[133:134]
	v_fma_f64 v[137:138], -v[10:11], v[34:35], v[139:140]
	v_fma_f64 v[139:140], v[8:9], v[34:35], v[32:33]
	s_clause 0x3
	global_load_b128 v[0:3], v[159:160], off offset:32
	global_load_b128 v[4:7], v[159:160], off offset:96
	global_load_b128 v[8:11], v[159:160], off offset:160
	global_load_b128 v[12:15], v[159:160], off offset:224
	global_load_b128 v[32:35], v[141:142], off offset:32
	s_waitcnt vmcnt(21)
	v_fma_f64 v[127:128], v[36:37], v[65:66], v[127:128]
	v_fma_f64 v[125:126], v[38:39], v[65:66], v[125:126]
	v_fma_f64 v[131:132], v[40:41], v[65:66], v[131:132]
	v_fma_f64 v[129:130], v[42:43], v[65:66], v[129:130]
	v_fma_f64 v[135:136], v[44:45], v[65:66], v[135:136]
	v_fma_f64 v[133:134], v[46:47], v[65:66], v[133:134]
	v_fma_f64 v[137:138], v[61:62], v[65:66], v[137:138]
	v_fma_f64 v[65:66], v[63:64], v[65:66], v[139:140]
	v_fma_f64 v[127:128], -v[38:39], v[67:68], v[127:128]
	v_fma_f64 v[125:126], v[36:37], v[67:68], v[125:126]
	v_fma_f64 v[131:132], -v[42:43], v[67:68], v[131:132]
	v_fma_f64 v[129:130], v[40:41], v[67:68], v[129:130]
	v_fma_f64 v[135:136], -v[46:47], v[67:68], v[135:136]
	v_fma_f64 v[133:134], v[44:45], v[67:68], v[133:134]
	v_fma_f64 v[137:138], -v[63:64], v[67:68], v[137:138]
	v_fma_f64 v[139:140], v[61:62], v[67:68], v[65:66]
	s_clause 0x3
	global_load_b128 v[36:39], v[159:160], off offset:48
	global_load_b128 v[40:43], v[159:160], off offset:112
	global_load_b128 v[44:47], v[159:160], off offset:176
	global_load_b128 v[61:64], v[159:160], off offset:240
	global_load_b128 v[65:68], v[141:142], off offset:48
	s_waitcnt vmcnt(20)
	v_sub_co_u32 v157, vcc_lo, v157, s12
	v_subrev_co_ci_u32_e32 v158, vcc_lo, s15, v158, vcc_lo
	v_fma_f64 v[141:142], v[69:70], v[85:86], v[127:128]
	v_fma_f64 v[143:144], v[71:72], v[85:86], v[125:126]
	v_fma_f64 v[145:146], v[73:74], v[85:86], v[131:132]
	v_fma_f64 v[147:148], v[75:76], v[85:86], v[129:130]
	v_fma_f64 v[149:150], v[77:78], v[85:86], v[135:136]
	v_fma_f64 v[151:152], v[79:80], v[85:86], v[133:134]
	v_fma_f64 v[153:154], v[81:82], v[85:86], v[137:138]
	v_fma_f64 v[85:86], v[83:84], v[85:86], v[139:140]
	s_clause 0x3
	global_load_b128 v[125:128], v[155:156], off
	global_load_b128 v[129:132], v[155:156], off offset:64
	global_load_b128 v[133:136], v[155:156], off offset:128
	;; [unrolled: 1-line block ×3, first 2 shown]
	v_fma_f64 v[141:142], -v[71:72], v[87:88], v[141:142]
	v_fma_f64 v[143:144], v[69:70], v[87:88], v[143:144]
	v_fma_f64 v[75:76], -v[75:76], v[87:88], v[145:146]
	v_fma_f64 v[73:74], v[73:74], v[87:88], v[147:148]
	;; [unrolled: 2-line block ×4, first 2 shown]
	v_lshlrev_b64 v[69:70], 6, v[157:158]
	s_delay_alu instid0(VALU_DEP_1) | instskip(NEXT) | instid1(VALU_DEP_2)
	v_add_co_u32 v145, vcc_lo, s6, v69
	v_add_co_ci_u32_e32 v146, vcc_lo, s7, v70, vcc_lo
	v_add_co_u32 v52, vcc_lo, 0x100, v52
	v_add_co_ci_u32_e32 v53, vcc_lo, 0, v53, vcc_lo
	global_load_b128 v[69:72], v[145:146], off
	v_add_co_u32 v54, vcc_lo, 0x800, v54
	v_cmp_ge_i64_e64 s4, v[52:53], v[28:29]
	v_add_co_ci_u32_e32 v55, vcc_lo, 0, v55, vcc_lo
	v_add_co_ci_u32_e64 v51, vcc_lo, 0, v51, s1
	s_delay_alu instid0(VALU_DEP_3)
	s_or_b32 s11, s4, s11
	s_waitcnt vmcnt(20)
	v_fma_f64 v[85:86], v[89:90], v[105:106], v[141:142]
	v_fma_f64 v[87:88], v[91:92], v[105:106], v[143:144]
	v_fma_f64 v[75:76], v[93:94], v[105:106], v[75:76]
	v_fma_f64 v[73:74], v[95:96], v[105:106], v[73:74]
	v_fma_f64 v[79:80], v[97:98], v[105:106], v[79:80]
	v_fma_f64 v[77:78], v[99:100], v[105:106], v[77:78]
	v_fma_f64 v[83:84], v[101:102], v[105:106], v[83:84]
	v_fma_f64 v[81:82], v[103:104], v[105:106], v[81:82]
	v_fma_f64 v[105:106], -v[91:92], v[107:108], v[85:86]
	v_fma_f64 v[141:142], v[89:90], v[107:108], v[87:88]
	v_fma_f64 v[95:96], -v[95:96], v[107:108], v[75:76]
	v_fma_f64 v[93:94], v[93:94], v[107:108], v[73:74]
	v_fma_f64 v[99:100], -v[99:100], v[107:108], v[79:80]
	v_fma_f64 v[97:98], v[97:98], v[107:108], v[77:78]
	v_fma_f64 v[103:104], -v[103:104], v[107:108], v[83:84]
	v_fma_f64 v[101:102], v[101:102], v[107:108], v[81:82]
	s_clause 0x3
	global_load_b128 v[73:76], v[155:156], off offset:80
	global_load_b128 v[77:80], v[155:156], off offset:144
	global_load_b128 v[81:84], v[155:156], off offset:208
	global_load_b128 v[85:88], v[155:156], off offset:16
	global_load_b128 v[89:92], v[145:146], off offset:16
	s_waitcnt vmcnt(20)
	v_fma_f64 v[105:106], v[117:118], v[121:122], v[105:106]
	v_fma_f64 v[107:108], v[119:120], v[121:122], v[141:142]
	v_fma_f64 v[95:96], v[56:57], v[121:122], v[95:96]
	v_fma_f64 v[93:94], v[58:59], v[121:122], v[93:94]
	v_fma_f64 v[99:100], v[109:110], v[121:122], v[99:100]
	v_fma_f64 v[97:98], v[111:112], v[121:122], v[97:98]
	v_fma_f64 v[103:104], v[113:114], v[121:122], v[103:104]
	v_fma_f64 v[101:102], v[115:116], v[121:122], v[101:102]
	v_fma_f64 v[119:120], -v[119:120], v[123:124], v[105:106]
	v_fma_f64 v[117:118], v[117:118], v[123:124], v[107:108]
	v_fma_f64 v[121:122], -v[58:59], v[123:124], v[95:96]
	v_fma_f64 v[141:142], v[56:57], v[123:124], v[93:94]
	v_fma_f64 v[111:112], -v[111:112], v[123:124], v[99:100]
	v_fma_f64 v[109:110], v[109:110], v[123:124], v[97:98]
	v_fma_f64 v[115:116], -v[115:116], v[123:124], v[103:104]
	v_fma_f64 v[113:114], v[113:114], v[123:124], v[101:102]
	s_clause 0x3
	global_load_b128 v[56:59], v[155:156], off offset:32
	global_load_b128 v[93:96], v[155:156], off offset:96
	global_load_b128 v[97:100], v[155:156], off offset:160
	global_load_b128 v[101:104], v[155:156], off offset:224
	global_load_b128 v[105:108], v[145:146], off offset:32
	;; [unrolled: 23-line block ×3, first 2 shown]
	s_waitcnt vmcnt(20)
	v_fma_f64 v[34:35], v[36:37], v[65:66], v[113:114]
	v_fma_f64 v[113:114], v[38:39], v[65:66], v[117:118]
	v_fma_f64 v[117:118], v[40:41], v[65:66], v[119:120]
	v_fma_f64 v[119:120], v[42:43], v[65:66], v[121:122]
	v_fma_f64 v[121:122], v[44:45], v[65:66], v[123:124]
	v_fma_f64 v[123:124], v[46:47], v[65:66], v[141:142]
	v_fma_f64 v[115:116], v[61:62], v[65:66], v[115:116]
	v_fma_f64 v[32:33], v[63:64], v[65:66], v[32:33]
	v_fma_f64 v[34:35], -v[38:39], v[67:68], v[34:35]
	v_fma_f64 v[36:37], v[36:37], v[67:68], v[113:114]
	v_fma_f64 v[38:39], -v[42:43], v[67:68], v[117:118]
	v_fma_f64 v[40:41], v[40:41], v[67:68], v[119:120]
	v_fma_f64 v[42:43], -v[46:47], v[67:68], v[121:122]
	v_fma_f64 v[44:45], v[44:45], v[67:68], v[123:124]
	v_fma_f64 v[46:47], -v[63:64], v[67:68], v[115:116]
	v_fma_f64 v[32:33], v[61:62], v[67:68], v[32:33]
	s_waitcnt vmcnt(15)
	v_fma_f64 v[34:35], v[125:126], v[69:70], v[34:35]
	v_fma_f64 v[36:37], v[127:128], v[69:70], v[36:37]
	v_fma_f64 v[38:39], v[129:130], v[69:70], v[38:39]
	v_fma_f64 v[40:41], v[131:132], v[69:70], v[40:41]
	v_fma_f64 v[42:43], v[133:134], v[69:70], v[42:43]
	v_fma_f64 v[44:45], v[135:136], v[69:70], v[44:45]
	v_fma_f64 v[46:47], v[137:138], v[69:70], v[46:47]
	v_fma_f64 v[32:33], v[139:140], v[69:70], v[32:33]
	v_fma_f64 v[34:35], -v[127:128], v[71:72], v[34:35]
	v_fma_f64 v[36:37], v[125:126], v[71:72], v[36:37]
	v_fma_f64 v[38:39], -v[131:132], v[71:72], v[38:39]
	v_fma_f64 v[40:41], v[129:130], v[71:72], v[40:41]
	v_fma_f64 v[42:43], -v[135:136], v[71:72], v[42:43]
	v_fma_f64 v[44:45], v[133:134], v[71:72], v[44:45]
	v_fma_f64 v[46:47], -v[139:140], v[71:72], v[46:47]
	v_fma_f64 v[32:33], v[137:138], v[71:72], v[32:33]
	;; [unrolled: 17-line block ×5, first 2 shown]
	s_and_not1_b32 exec_lo, exec_lo, s11
	s_cbranch_execnz .LBB59_25
; %bb.26:
	s_or_b32 exec_lo, exec_lo, s11
.LBB59_27:
	s_delay_alu instid0(SALU_CYCLE_1)
	s_or_b32 exec_lo, exec_lo, s10
.LBB59_28:
	s_delay_alu instid0(SALU_CYCLE_1)
	s_or_b32 exec_lo, exec_lo, s5
	s_cbranch_execz .LBB59_30
	s_branch .LBB59_41
.LBB59_29:
                                        ; implicit-def: $vgpr36_vgpr37
                                        ; implicit-def: $vgpr40_vgpr41
                                        ; implicit-def: $vgpr34_vgpr35
                                        ; implicit-def: $vgpr32_vgpr33
                                        ; implicit-def: $vgpr42_vgpr43
                                        ; implicit-def: $vgpr44_vgpr45
                                        ; implicit-def: $vgpr46_vgpr47
                                        ; implicit-def: $vgpr38_vgpr39
.LBB59_30:
	v_mov_b32_e32 v36, 0
	v_mov_b32_e32 v37, 0
	s_delay_alu instid0(VALU_DEP_2) | instskip(NEXT) | instid1(VALU_DEP_2)
	v_mov_b32_e32 v34, v36
	v_dual_mov_b32 v32, v36 :: v_dual_mov_b32 v33, v37
	v_dual_mov_b32 v41, v37 :: v_dual_mov_b32 v40, v36
	v_mov_b32_e32 v35, v37
	v_dual_mov_b32 v43, v37 :: v_dual_mov_b32 v42, v36
	v_dual_mov_b32 v45, v37 :: v_dual_mov_b32 v44, v36
	;; [unrolled: 1-line block ×4, first 2 shown]
	s_and_saveexec_b32 s1, s0
	s_cbranch_execz .LBB59_40
; %bb.31:
	v_or_b32_e32 v0, 64, v60
	v_not_b32_e32 v3, v48
	v_not_b32_e32 v2, v49
	v_mov_b32_e32 v38, 0
	s_mov_b32 s5, 0
	v_sub_co_u32 v0, s0, v0, s12
	s_delay_alu instid0(VALU_DEP_1) | instskip(SKIP_1) | instid1(VALU_DEP_3)
	v_sub_co_ci_u32_e64 v1, null, 0, s15, s0
	v_sub_co_u32 v4, s0, s12, v60
	v_add_co_u32 v0, vcc_lo, v0, v48
	s_delay_alu instid0(VALU_DEP_3) | instskip(SKIP_2) | instid1(VALU_DEP_2)
	v_add_co_ci_u32_e32 v1, vcc_lo, v1, v49, vcc_lo
	v_sub_co_ci_u32_e64 v5, null, s15, 0, s0
	s_mov_b32 s4, exec_lo
	v_cmp_gt_i64_e32 vcc_lo, v[0:1], v[28:29]
	v_dual_cndmask_b32 v1, v29, v1 :: v_dual_cndmask_b32 v0, v28, v0
	v_add_co_u32 v3, vcc_lo, v4, v3
	v_add_co_ci_u32_e32 v2, vcc_lo, v5, v2, vcc_lo
	s_delay_alu instid0(VALU_DEP_2) | instskip(NEXT) | instid1(VALU_DEP_2)
	v_add_co_u32 v0, vcc_lo, v3, v0
	v_add_co_ci_u32_e32 v1, vcc_lo, v2, v1, vcc_lo
	s_delay_alu instid0(VALU_DEP_2) | instskip(NEXT) | instid1(VALU_DEP_1)
	v_lshrrev_b32_e32 v2, 6, v0
	v_dual_mov_b32 v39, 0 :: v_dual_add_nc_u32 v2, 1, v2
	s_delay_alu instid0(VALU_DEP_1) | instskip(SKIP_1) | instid1(VALU_DEP_3)
	v_dual_mov_b32 v32, v38 :: v_dual_mov_b32 v43, v39
	v_dual_mov_b32 v34, v38 :: v_dual_mov_b32 v41, v39
	v_and_b32_e32 v2, 3, v2
	v_dual_mov_b32 v36, v38 :: v_dual_mov_b32 v47, v39
	v_dual_mov_b32 v46, v38 :: v_dual_mov_b32 v45, v39
	v_mov_b32_e32 v44, v38
	v_dual_mov_b32 v42, v38 :: v_dual_mov_b32 v33, v39
	v_dual_mov_b32 v35, v39 :: v_dual_mov_b32 v40, v38
	v_mov_b32_e32 v37, v39
	v_cmpx_ne_u32_e32 0, v2
	s_cbranch_execz .LBB59_35
; %bb.32:
	v_lshlrev_b64 v[4:5], 3, v[26:27]
	v_dual_mov_b32 v3, 0 :: v_dual_mov_b32 v36, 0
	v_dual_mov_b32 v37, 0 :: v_dual_lshlrev_b32 v2, 3, v2
	s_delay_alu instid0(VALU_DEP_2) | instskip(NEXT) | instid1(VALU_DEP_4)
	v_mov_b32_e32 v34, v36
	v_add_co_u32 v4, vcc_lo, s8, v4
	s_delay_alu instid0(VALU_DEP_3)
	v_mov_b32_e32 v35, v37
	v_add_co_ci_u32_e32 v5, vcc_lo, s9, v5, vcc_lo
	v_dual_mov_b32 v41, v37 :: v_dual_mov_b32 v40, v36
	v_dual_mov_b32 v32, v36 :: v_dual_mov_b32 v33, v37
	;; [unrolled: 1-line block ×6, first 2 shown]
.LBB59_33:                              ; =>This Inner Loop Header: Depth=1
	global_load_b64 v[14:15], v[4:5], off
	s_clause 0x3
	global_load_b128 v[6:9], v[30:31], off offset:48
	global_load_b128 v[10:13], v[30:31], off offset:32
	;; [unrolled: 1-line block ×3, first 2 shown]
	global_load_b128 v[52:55], v[30:31], off
	v_add_co_u32 v4, s0, 0x200, v4
	s_delay_alu instid0(VALU_DEP_1) | instskip(SKIP_3) | instid1(VALU_DEP_1)
	v_add_co_ci_u32_e64 v5, s0, 0, v5, s0
	s_waitcnt vmcnt(4)
	v_sub_co_u32 v14, vcc_lo, v14, s12
	v_subrev_co_ci_u32_e32 v15, vcc_lo, s15, v15, vcc_lo
	v_lshlrev_b64 v[14:15], 6, v[14:15]
	s_waitcnt lgkmcnt(0)
	s_delay_alu instid0(VALU_DEP_1) | instskip(NEXT) | instid1(VALU_DEP_2)
	v_add_co_u32 v14, vcc_lo, s6, v14
	v_add_co_ci_u32_e32 v15, vcc_lo, s7, v15, vcc_lo
	s_clause 0x1
	global_load_b128 v[56:59], v[14:15], off
	global_load_b128 v[61:64], v[14:15], off offset:16
	s_clause 0x7
	global_load_b128 v[65:68], v[30:31], off offset:64
	global_load_b128 v[69:72], v[30:31], off offset:80
	;; [unrolled: 1-line block ×8, first 2 shown]
	s_clause 0x1
	global_load_b128 v[97:100], v[14:15], off offset:32
	global_load_b128 v[101:104], v[14:15], off offset:48
	s_clause 0x3
	global_load_b128 v[105:108], v[30:31], off offset:192
	global_load_b128 v[109:112], v[30:31], off offset:208
	;; [unrolled: 1-line block ×4, first 2 shown]
	v_add_co_u32 v30, vcc_lo, 0x4000, v30
	v_add_co_ci_u32_e32 v31, vcc_lo, 0, v31, vcc_lo
	v_add_co_u32 v2, vcc_lo, v2, -8
	v_add_co_ci_u32_e32 v3, vcc_lo, -1, v3, vcc_lo
	v_add_co_u32 v26, vcc_lo, v26, 64
	v_add_co_ci_u32_e32 v27, vcc_lo, 0, v27, vcc_lo
	s_delay_alu instid0(VALU_DEP_3)
	v_cmp_eq_u64_e32 vcc_lo, 0, v[2:3]
	s_or_b32 s5, vcc_lo, s5
	s_waitcnt vmcnt(15)
	v_fma_f64 v[14:15], v[52:53], v[56:57], v[40:41]
	v_fma_f64 v[36:37], v[54:55], v[56:57], v[36:37]
	;; [unrolled: 1-line block ×8, first 2 shown]
	v_fma_f64 v[14:15], -v[54:55], v[58:59], v[14:15]
	v_fma_f64 v[36:37], v[52:53], v[58:59], v[36:37]
	v_fma_f64 v[40:41], -v[50:51], v[58:59], v[40:41]
	v_fma_f64 v[38:39], v[48:49], v[58:59], v[38:39]
	;; [unrolled: 2-line block ×4, first 2 shown]
	s_waitcnt vmcnt(13)
	v_fma_f64 v[14:15], v[65:66], v[61:62], v[14:15]
	v_fma_f64 v[32:33], v[67:68], v[61:62], v[36:37]
	s_waitcnt vmcnt(12)
	v_fma_f64 v[34:35], v[69:70], v[61:62], v[40:41]
	v_fma_f64 v[36:37], v[71:72], v[61:62], v[38:39]
	;; [unrolled: 3-line block ×4, first 2 shown]
	v_fma_f64 v[14:15], -v[67:68], v[63:64], v[14:15]
	v_fma_f64 v[32:33], v[65:66], v[63:64], v[32:33]
	v_fma_f64 v[34:35], -v[71:72], v[63:64], v[34:35]
	v_fma_f64 v[36:37], v[69:70], v[63:64], v[36:37]
	;; [unrolled: 2-line block ×4, first 2 shown]
	s_waitcnt vmcnt(5)
	v_fma_f64 v[14:15], v[93:94], v[97:98], v[14:15]
	v_fma_f64 v[32:33], v[95:96], v[97:98], v[32:33]
	;; [unrolled: 1-line block ×8, first 2 shown]
	v_fma_f64 v[14:15], -v[95:96], v[99:100], v[14:15]
	v_fma_f64 v[32:33], v[93:94], v[99:100], v[32:33]
	v_fma_f64 v[34:35], -v[91:92], v[99:100], v[34:35]
	v_fma_f64 v[36:37], v[89:90], v[99:100], v[36:37]
	;; [unrolled: 2-line block ×4, first 2 shown]
	s_waitcnt vmcnt(3)
	v_fma_f64 v[14:15], v[105:106], v[101:102], v[14:15]
	v_fma_f64 v[32:33], v[107:108], v[101:102], v[32:33]
	s_waitcnt vmcnt(2)
	v_fma_f64 v[34:35], v[109:110], v[101:102], v[34:35]
	v_fma_f64 v[38:39], v[111:112], v[101:102], v[36:37]
	;; [unrolled: 3-line block ×4, first 2 shown]
	v_fma_f64 v[40:41], -v[107:108], v[103:104], v[14:15]
	v_fma_f64 v[36:37], v[105:106], v[103:104], v[32:33]
	v_fma_f64 v[46:47], -v[111:112], v[103:104], v[34:35]
	v_fma_f64 v[38:39], v[109:110], v[103:104], v[38:39]
	;; [unrolled: 2-line block ×4, first 2 shown]
	s_and_not1_b32 exec_lo, exec_lo, s5
	s_cbranch_execnz .LBB59_33
; %bb.34:
	s_or_b32 exec_lo, exec_lo, s5
.LBB59_35:
	s_delay_alu instid0(SALU_CYCLE_1) | instskip(NEXT) | instid1(SALU_CYCLE_1)
	s_or_b32 exec_lo, exec_lo, s4
	s_mov_b32 s4, exec_lo
	v_cmpx_lt_u64_e32 0xbf, v[0:1]
	s_cbranch_execz .LBB59_39
; %bb.36:
	v_lshlrev_b64 v[0:1], 3, v[26:27]
	s_mov_b32 s5, 0
	s_delay_alu instid0(VALU_DEP_1) | instskip(NEXT) | instid1(VALU_DEP_2)
	v_add_co_u32 v0, vcc_lo, v0, s8
	v_add_co_ci_u32_e32 v1, vcc_lo, s9, v1, vcc_lo
	s_delay_alu instid0(VALU_DEP_2) | instskip(NEXT) | instid1(VALU_DEP_2)
	v_add_co_u32 v48, vcc_lo, 0x400, v0
	v_add_co_ci_u32_e32 v49, vcc_lo, 0, v1, vcc_lo
.LBB59_37:                              ; =>This Inner Loop Header: Depth=1
	s_clause 0x1
	global_load_b64 v[50:51], v[48:49], off offset:-1024
	global_load_b64 v[52:53], v[48:49], off offset:-512
	s_clause 0x3
	global_load_b128 v[0:3], v[30:31], off offset:48
	global_load_b128 v[4:7], v[30:31], off offset:32
	;; [unrolled: 1-line block ×3, first 2 shown]
	global_load_b128 v[12:15], v[30:31], off
	s_clause 0x1
	global_load_b64 v[58:59], v[48:49], off
	global_load_b64 v[137:138], v[48:49], off offset:512
	s_waitcnt vmcnt(7)
	v_sub_co_u32 v50, vcc_lo, v50, s12
	v_subrev_co_ci_u32_e32 v51, vcc_lo, s15, v51, vcc_lo
	s_delay_alu instid0(VALU_DEP_1) | instskip(SKIP_1) | instid1(VALU_DEP_1)
	v_lshlrev_b64 v[50:51], 6, v[50:51]
	s_waitcnt lgkmcnt(0)
	v_add_co_u32 v50, vcc_lo, s6, v50
	s_delay_alu instid0(VALU_DEP_2)
	v_add_co_ci_u32_e32 v51, vcc_lo, s7, v51, vcc_lo
	v_add_co_u32 v139, vcc_lo, 0x4000, v30
	v_add_co_ci_u32_e32 v140, vcc_lo, 0, v31, vcc_lo
	global_load_b128 v[54:57], v[50:51], off
	s_clause 0x3
	global_load_b128 v[61:64], v[30:31], off offset:64
	global_load_b128 v[65:68], v[30:31], off offset:80
	global_load_b128 v[69:72], v[30:31], off offset:96
	global_load_b128 v[73:76], v[30:31], off offset:112
	global_load_b128 v[77:80], v[50:51], off offset:16
	s_clause 0x3
	global_load_b128 v[81:84], v[30:31], off offset:176
	global_load_b128 v[85:88], v[30:31], off offset:160
	global_load_b128 v[89:92], v[30:31], off offset:144
	global_load_b128 v[93:96], v[30:31], off offset:128
	global_load_b128 v[97:100], v[50:51], off offset:32
	;; [unrolled: 6-line block ×3, first 2 shown]
	s_waitcnt vmcnt(22)
	v_sub_co_u32 v50, vcc_lo, v52, s12
	v_subrev_co_ci_u32_e32 v51, vcc_lo, s15, v53, vcc_lo
	s_clause 0x3
	global_load_b128 v[121:124], v[139:140], off offset:48
	global_load_b128 v[125:128], v[139:140], off offset:32
	global_load_b128 v[129:132], v[139:140], off
	global_load_b128 v[133:136], v[139:140], off offset:16
	v_lshlrev_b64 v[50:51], 6, v[50:51]
	s_delay_alu instid0(VALU_DEP_1) | instskip(NEXT) | instid1(VALU_DEP_2)
	v_add_co_u32 v141, vcc_lo, s6, v50
	v_add_co_ci_u32_e32 v142, vcc_lo, s7, v51, vcc_lo
	v_add_co_u32 v153, vcc_lo, 0x8000, v30
	v_add_co_ci_u32_e32 v154, vcc_lo, 0, v31, vcc_lo
	global_load_b128 v[50:53], v[141:142], off
	s_waitcnt vmcnt(22)
	v_sub_co_u32 v58, vcc_lo, v58, s12
	v_subrev_co_ci_u32_e32 v59, vcc_lo, s15, v59, vcc_lo
	s_delay_alu instid0(VALU_DEP_1) | instskip(NEXT) | instid1(VALU_DEP_1)
	v_lshlrev_b64 v[58:59], 6, v[58:59]
	v_add_co_u32 v58, vcc_lo, s6, v58
	s_delay_alu instid0(VALU_DEP_2)
	v_add_co_ci_u32_e32 v59, vcc_lo, s7, v59, vcc_lo
	s_waitcnt vmcnt(20)
	v_fma_f64 v[40:41], v[12:13], v[54:55], v[40:41]
	v_fma_f64 v[36:37], v[14:15], v[54:55], v[36:37]
	v_fma_f64 v[46:47], v[8:9], v[54:55], v[46:47]
	v_fma_f64 v[38:39], v[10:11], v[54:55], v[38:39]
	v_fma_f64 v[42:43], v[4:5], v[54:55], v[42:43]
	v_fma_f64 v[44:45], v[6:7], v[54:55], v[44:45]
	v_fma_f64 v[34:35], v[0:1], v[54:55], v[34:35]
	v_fma_f64 v[32:33], v[2:3], v[54:55], v[32:33]
	v_fma_f64 v[40:41], -v[14:15], v[56:57], v[40:41]
	v_fma_f64 v[36:37], v[12:13], v[56:57], v[36:37]
	v_fma_f64 v[46:47], -v[10:11], v[56:57], v[46:47]
	v_fma_f64 v[38:39], v[8:9], v[56:57], v[38:39]
	v_fma_f64 v[42:43], -v[6:7], v[56:57], v[42:43]
	v_fma_f64 v[44:45], v[4:5], v[56:57], v[44:45]
	v_fma_f64 v[54:55], -v[2:3], v[56:57], v[34:35]
	v_fma_f64 v[56:57], v[0:1], v[56:57], v[32:33]
	s_clause 0x3
	global_load_b128 v[0:3], v[139:140], off offset:64
	global_load_b128 v[4:7], v[139:140], off offset:80
	global_load_b128 v[8:11], v[139:140], off offset:96
	global_load_b128 v[12:15], v[139:140], off offset:112
	global_load_b128 v[32:35], v[141:142], off offset:16
	s_waitcnt vmcnt(20)
	v_fma_f64 v[40:41], v[61:62], v[77:78], v[40:41]
	v_fma_f64 v[36:37], v[63:64], v[77:78], v[36:37]
	v_fma_f64 v[46:47], v[65:66], v[77:78], v[46:47]
	v_fma_f64 v[38:39], v[67:68], v[77:78], v[38:39]
	v_fma_f64 v[42:43], v[69:70], v[77:78], v[42:43]
	v_fma_f64 v[44:45], v[71:72], v[77:78], v[44:45]
	v_fma_f64 v[54:55], v[73:74], v[77:78], v[54:55]
	v_fma_f64 v[56:57], v[75:76], v[77:78], v[56:57]
	v_fma_f64 v[77:78], -v[63:64], v[79:80], v[40:41]
	v_fma_f64 v[143:144], v[61:62], v[79:80], v[36:37]
	v_fma_f64 v[67:68], -v[67:68], v[79:80], v[46:47]
	v_fma_f64 v[65:66], v[65:66], v[79:80], v[38:39]
	v_fma_f64 v[71:72], -v[71:72], v[79:80], v[42:43]
	v_fma_f64 v[69:70], v[69:70], v[79:80], v[44:45]
	v_fma_f64 v[75:76], -v[75:76], v[79:80], v[54:55]
	v_fma_f64 v[73:74], v[73:74], v[79:80], v[56:57]
	s_clause 0x3
	global_load_b128 v[36:39], v[139:140], off offset:176
	global_load_b128 v[40:43], v[139:140], off offset:160
	global_load_b128 v[44:47], v[139:140], off offset:144
	global_load_b128 v[54:57], v[139:140], off offset:128
	global_load_b128 v[61:64], v[141:142], off offset:32
	;; [unrolled: 23-line block ×3, first 2 shown]
	s_waitcnt vmcnt(20)
	v_fma_f64 v[139:140], v[101:102], v[117:118], v[95:96]
	v_fma_f64 v[141:142], v[103:104], v[117:118], v[93:94]
	;; [unrolled: 1-line block ×8, first 2 shown]
	s_clause 0x3
	global_load_b128 v[85:88], v[153:154], off offset:48
	global_load_b128 v[89:92], v[153:154], off offset:32
	global_load_b128 v[93:96], v[153:154], off
	global_load_b128 v[97:100], v[153:154], off offset:16
	v_fma_f64 v[139:140], -v[103:104], v[119:120], v[139:140]
	v_fma_f64 v[141:142], v[101:102], v[119:120], v[141:142]
	v_fma_f64 v[107:108], -v[107:108], v[119:120], v[143:144]
	v_fma_f64 v[105:106], v[105:106], v[119:120], v[145:146]
	;; [unrolled: 2-line block ×4, first 2 shown]
	global_load_b128 v[101:104], v[58:59], off
	v_add_co_u32 v151, vcc_lo, 0xc000, v30
	v_add_co_ci_u32_e32 v152, vcc_lo, 0, v31, vcc_lo
	v_sub_co_u32 v137, vcc_lo, v137, s12
	v_subrev_co_ci_u32_e32 v138, vcc_lo, s15, v138, vcc_lo
	v_add_co_u32 v30, s0, 0x10000, v30
	s_delay_alu instid0(VALU_DEP_1)
	v_add_co_ci_u32_e64 v31, s0, 0, v31, s0
	s_waitcnt vmcnt(20)
	v_fma_f64 v[117:118], v[129:130], v[50:51], v[139:140]
	v_fma_f64 v[119:120], v[131:132], v[50:51], v[141:142]
	v_fma_f64 v[107:108], v[133:134], v[50:51], v[107:108]
	v_fma_f64 v[105:106], v[135:136], v[50:51], v[105:106]
	v_fma_f64 v[111:112], v[125:126], v[50:51], v[111:112]
	v_fma_f64 v[109:110], v[127:128], v[50:51], v[109:110]
	v_fma_f64 v[115:116], v[121:122], v[50:51], v[115:116]
	v_fma_f64 v[50:51], v[123:124], v[50:51], v[113:114]
	v_fma_f64 v[131:132], -v[131:132], v[52:53], v[117:118]
	v_fma_f64 v[129:130], v[129:130], v[52:53], v[119:120]
	v_fma_f64 v[135:136], -v[135:136], v[52:53], v[107:108]
	v_fma_f64 v[133:134], v[133:134], v[52:53], v[105:106]
	v_fma_f64 v[127:128], -v[127:128], v[52:53], v[111:112]
	v_fma_f64 v[125:126], v[125:126], v[52:53], v[109:110]
	v_fma_f64 v[123:124], -v[123:124], v[52:53], v[115:116]
	v_fma_f64 v[121:122], v[121:122], v[52:53], v[50:51]
	s_clause 0x3
	global_load_b128 v[50:53], v[153:154], off offset:64
	global_load_b128 v[105:108], v[153:154], off offset:80
	global_load_b128 v[109:112], v[153:154], off offset:96
	global_load_b128 v[113:116], v[153:154], off offset:112
	global_load_b128 v[117:120], v[58:59], off offset:16
	s_waitcnt vmcnt(20)
	v_fma_f64 v[131:132], v[0:1], v[32:33], v[131:132]
	v_fma_f64 v[129:130], v[2:3], v[32:33], v[129:130]
	v_fma_f64 v[135:136], v[4:5], v[32:33], v[135:136]
	v_fma_f64 v[133:134], v[6:7], v[32:33], v[133:134]
	v_fma_f64 v[127:128], v[8:9], v[32:33], v[127:128]
	v_fma_f64 v[125:126], v[10:11], v[32:33], v[125:126]
	v_fma_f64 v[123:124], v[12:13], v[32:33], v[123:124]
	v_fma_f64 v[32:33], v[14:15], v[32:33], v[121:122]
	v_fma_f64 v[121:122], -v[2:3], v[34:35], v[131:132]
	v_fma_f64 v[129:130], v[0:1], v[34:35], v[129:130]
	v_fma_f64 v[131:132], -v[6:7], v[34:35], v[135:136]
	v_fma_f64 v[133:134], v[4:5], v[34:35], v[133:134]
	v_fma_f64 v[127:128], -v[10:11], v[34:35], v[127:128]
	v_fma_f64 v[125:126], v[8:9], v[34:35], v[125:126]
	v_fma_f64 v[123:124], -v[14:15], v[34:35], v[123:124]
	v_fma_f64 v[135:136], v[12:13], v[34:35], v[32:33]
	s_clause 0x3
	global_load_b128 v[0:3], v[153:154], off offset:176
	global_load_b128 v[4:7], v[153:154], off offset:160
	global_load_b128 v[8:11], v[153:154], off offset:144
	global_load_b128 v[12:15], v[153:154], off offset:128
	global_load_b128 v[32:35], v[58:59], off offset:32
	;; [unrolled: 23-line block ×3, first 2 shown]
	s_waitcnt vmcnt(20)
	v_fma_f64 v[58:59], v[65:66], v[81:82], v[121:122]
	v_fma_f64 v[139:140], v[67:68], v[81:82], v[129:130]
	;; [unrolled: 1-line block ×8, first 2 shown]
	s_clause 0x3
	global_load_b128 v[121:124], v[151:152], off offset:48
	global_load_b128 v[125:128], v[151:152], off offset:32
	global_load_b128 v[129:132], v[151:152], off
	global_load_b128 v[133:136], v[151:152], off offset:16
	v_fma_f64 v[58:59], -v[67:68], v[83:84], v[58:59]
	v_fma_f64 v[139:140], v[65:66], v[83:84], v[139:140]
	v_fma_f64 v[71:72], -v[71:72], v[83:84], v[141:142]
	v_fma_f64 v[69:70], v[69:70], v[83:84], v[143:144]
	;; [unrolled: 2-line block ×4, first 2 shown]
	v_lshlrev_b64 v[65:66], 6, v[137:138]
	s_delay_alu instid0(VALU_DEP_1) | instskip(NEXT) | instid1(VALU_DEP_2)
	v_add_co_u32 v137, vcc_lo, s6, v65
	v_add_co_ci_u32_e32 v138, vcc_lo, s7, v66, vcc_lo
	v_add_co_u32 v26, vcc_lo, 0x100, v26
	v_add_co_ci_u32_e32 v27, vcc_lo, 0, v27, vcc_lo
	global_load_b128 v[65:68], v[137:138], off
	v_add_co_u32 v48, vcc_lo, 0x800, v48
	v_add_co_ci_u32_e32 v49, vcc_lo, 0, v49, vcc_lo
	v_cmp_ge_i64_e32 vcc_lo, v[26:27], v[28:29]
	s_or_b32 s5, vcc_lo, s5
	s_waitcnt vmcnt(20)
	v_fma_f64 v[58:59], v[93:94], v[101:102], v[58:59]
	v_fma_f64 v[81:82], v[95:96], v[101:102], v[139:140]
	v_fma_f64 v[71:72], v[97:98], v[101:102], v[71:72]
	v_fma_f64 v[69:70], v[99:100], v[101:102], v[69:70]
	v_fma_f64 v[75:76], v[89:90], v[101:102], v[75:76]
	v_fma_f64 v[73:74], v[91:92], v[101:102], v[73:74]
	v_fma_f64 v[79:80], v[85:86], v[101:102], v[79:80]
	v_fma_f64 v[77:78], v[87:88], v[101:102], v[77:78]
	v_fma_f64 v[58:59], -v[95:96], v[103:104], v[58:59]
	v_fma_f64 v[93:94], v[93:94], v[103:104], v[81:82]
	v_fma_f64 v[95:96], -v[99:100], v[103:104], v[71:72]
	v_fma_f64 v[97:98], v[97:98], v[103:104], v[69:70]
	v_fma_f64 v[91:92], -v[91:92], v[103:104], v[75:76]
	v_fma_f64 v[89:90], v[89:90], v[103:104], v[73:74]
	v_fma_f64 v[99:100], -v[87:88], v[103:104], v[79:80]
	v_fma_f64 v[101:102], v[85:86], v[103:104], v[77:78]
	s_clause 0x3
	global_load_b128 v[69:72], v[151:152], off offset:64
	global_load_b128 v[73:76], v[151:152], off offset:80
	global_load_b128 v[77:80], v[151:152], off offset:96
	global_load_b128 v[81:84], v[151:152], off offset:112
	global_load_b128 v[85:88], v[137:138], off offset:16
	s_waitcnt vmcnt(20)
	v_fma_f64 v[58:59], v[50:51], v[117:118], v[58:59]
	v_fma_f64 v[93:94], v[52:53], v[117:118], v[93:94]
	v_fma_f64 v[95:96], v[105:106], v[117:118], v[95:96]
	v_fma_f64 v[97:98], v[107:108], v[117:118], v[97:98]
	v_fma_f64 v[91:92], v[109:110], v[117:118], v[91:92]
	v_fma_f64 v[89:90], v[111:112], v[117:118], v[89:90]
	v_fma_f64 v[99:100], v[113:114], v[117:118], v[99:100]
	v_fma_f64 v[101:102], v[115:116], v[117:118], v[101:102]
	v_fma_f64 v[58:59], -v[52:53], v[119:120], v[58:59]
	v_fma_f64 v[117:118], v[50:51], v[119:120], v[93:94]
	v_fma_f64 v[107:108], -v[107:108], v[119:120], v[95:96]
	v_fma_f64 v[105:106], v[105:106], v[119:120], v[97:98]
	v_fma_f64 v[111:112], -v[111:112], v[119:120], v[91:92]
	v_fma_f64 v[109:110], v[109:110], v[119:120], v[89:90]
	v_fma_f64 v[115:116], -v[115:116], v[119:120], v[99:100]
	v_fma_f64 v[113:114], v[113:114], v[119:120], v[101:102]
	s_clause 0x3
	global_load_b128 v[50:53], v[151:152], off offset:176
	global_load_b128 v[89:92], v[151:152], off offset:160
	global_load_b128 v[93:96], v[151:152], off offset:144
	global_load_b128 v[97:100], v[151:152], off offset:128
	global_load_b128 v[101:104], v[137:138], off offset:32
	s_waitcnt vmcnt(20)
	v_fma_f64 v[58:59], v[12:13], v[32:33], v[58:59]
	v_fma_f64 v[117:118], v[14:15], v[32:33], v[117:118]
	v_fma_f64 v[107:108], v[8:9], v[32:33], v[107:108]
	v_fma_f64 v[105:106], v[10:11], v[32:33], v[105:106]
	v_fma_f64 v[111:112], v[4:5], v[32:33], v[111:112]
	v_fma_f64 v[109:110], v[6:7], v[32:33], v[109:110]
	v_fma_f64 v[115:116], v[0:1], v[32:33], v[115:116]
	v_fma_f64 v[32:33], v[2:3], v[32:33], v[113:114]
	v_fma_f64 v[58:59], -v[14:15], v[34:35], v[58:59]
	v_fma_f64 v[113:114], v[12:13], v[34:35], v[117:118]
	v_fma_f64 v[117:118], -v[10:11], v[34:35], v[107:108]
	v_fma_f64 v[119:120], v[8:9], v[34:35], v[105:106]
	v_fma_f64 v[111:112], -v[6:7], v[34:35], v[111:112]
	v_fma_f64 v[109:110], v[4:5], v[34:35], v[109:110]
	v_fma_f64 v[115:116], -v[2:3], v[34:35], v[115:116]
	v_fma_f64 v[32:33], v[0:1], v[34:35], v[32:33]
	s_clause 0x3
	global_load_b128 v[0:3], v[151:152], off offset:192
	global_load_b128 v[4:7], v[151:152], off offset:208
	global_load_b128 v[8:11], v[151:152], off offset:224
	global_load_b128 v[12:15], v[151:152], off offset:240
	global_load_b128 v[105:108], v[137:138], off offset:48
	s_waitcnt vmcnt(20)
	v_fma_f64 v[34:35], v[36:37], v[61:62], v[58:59]
	v_fma_f64 v[58:59], v[38:39], v[61:62], v[113:114]
	v_fma_f64 v[113:114], v[40:41], v[61:62], v[117:118]
	v_fma_f64 v[117:118], v[42:43], v[61:62], v[119:120]
	v_fma_f64 v[111:112], v[44:45], v[61:62], v[111:112]
	v_fma_f64 v[109:110], v[46:47], v[61:62], v[109:110]
	v_fma_f64 v[115:116], v[54:55], v[61:62], v[115:116]
	v_fma_f64 v[32:33], v[56:57], v[61:62], v[32:33]
	v_fma_f64 v[34:35], -v[38:39], v[63:64], v[34:35]
	v_fma_f64 v[36:37], v[36:37], v[63:64], v[58:59]
	v_fma_f64 v[38:39], -v[42:43], v[63:64], v[113:114]
	v_fma_f64 v[40:41], v[40:41], v[63:64], v[117:118]
	v_fma_f64 v[42:43], -v[46:47], v[63:64], v[111:112]
	v_fma_f64 v[44:45], v[44:45], v[63:64], v[109:110]
	v_fma_f64 v[46:47], -v[56:57], v[63:64], v[115:116]
	v_fma_f64 v[32:33], v[54:55], v[63:64], v[32:33]
	s_waitcnt vmcnt(15)
	v_fma_f64 v[34:35], v[129:130], v[65:66], v[34:35]
	v_fma_f64 v[36:37], v[131:132], v[65:66], v[36:37]
	v_fma_f64 v[38:39], v[133:134], v[65:66], v[38:39]
	v_fma_f64 v[40:41], v[135:136], v[65:66], v[40:41]
	v_fma_f64 v[42:43], v[125:126], v[65:66], v[42:43]
	v_fma_f64 v[44:45], v[127:128], v[65:66], v[44:45]
	v_fma_f64 v[46:47], v[121:122], v[65:66], v[46:47]
	v_fma_f64 v[32:33], v[123:124], v[65:66], v[32:33]
	v_fma_f64 v[34:35], -v[131:132], v[67:68], v[34:35]
	v_fma_f64 v[36:37], v[129:130], v[67:68], v[36:37]
	v_fma_f64 v[38:39], -v[135:136], v[67:68], v[38:39]
	v_fma_f64 v[40:41], v[133:134], v[67:68], v[40:41]
	v_fma_f64 v[42:43], -v[127:128], v[67:68], v[42:43]
	v_fma_f64 v[44:45], v[125:126], v[67:68], v[44:45]
	v_fma_f64 v[46:47], -v[123:124], v[67:68], v[46:47]
	v_fma_f64 v[32:33], v[121:122], v[67:68], v[32:33]
	;; [unrolled: 17-line block ×5, first 2 shown]
	s_and_not1_b32 exec_lo, exec_lo, s5
	s_cbranch_execnz .LBB59_37
; %bb.38:
	s_or_b32 exec_lo, exec_lo, s5
.LBB59_39:
	s_delay_alu instid0(SALU_CYCLE_1)
	s_or_b32 exec_lo, exec_lo, s4
.LBB59_40:
	s_delay_alu instid0(SALU_CYCLE_1)
	s_or_b32 exec_lo, exec_lo, s1
.LBB59_41:
	v_mbcnt_lo_u32_b32 v48, -1, 0
	s_delay_alu instid0(VALU_DEP_1) | instskip(SKIP_1) | instid1(VALU_DEP_2)
	v_or_b32_e32 v0, 32, v48
	v_xor_b32_e32 v26, 16, v48
	v_cmp_gt_i32_e32 vcc_lo, 32, v0
	v_cndmask_b32_e32 v0, v48, v0, vcc_lo
	s_delay_alu instid0(VALU_DEP_3) | instskip(NEXT) | instid1(VALU_DEP_2)
	v_cmp_gt_i32_e32 vcc_lo, 32, v26
	v_dual_cndmask_b32 v26, v48, v26 :: v_dual_lshlrev_b32 v15, 2, v0
	ds_bpermute_b32 v0, v15, v40
	ds_bpermute_b32 v1, v15, v41
	;; [unrolled: 1-line block ×16, first 2 shown]
	s_waitcnt lgkmcnt(0)
	v_add_f64 v[0:1], v[40:41], v[0:1]
	v_lshlrev_b32_e32 v41, 2, v26
	v_add_f64 v[2:3], v[36:37], v[2:3]
	v_add_f64 v[4:5], v[46:47], v[4:5]
	;; [unrolled: 1-line block ×7, first 2 shown]
	ds_bpermute_b32 v26, v41, v0
	ds_bpermute_b32 v27, v41, v1
	;; [unrolled: 1-line block ×16, first 2 shown]
	s_waitcnt lgkmcnt(14)
	v_add_f64 v[0:1], v[0:1], v[26:27]
	v_xor_b32_e32 v26, 8, v48
	s_waitcnt lgkmcnt(12)
	v_add_f64 v[2:3], v[2:3], v[28:29]
	s_waitcnt lgkmcnt(10)
	v_add_f64 v[4:5], v[4:5], v[30:31]
	;; [unrolled: 2-line block ×3, first 2 shown]
	v_cmp_gt_i32_e32 vcc_lo, 32, v26
	s_waitcnt lgkmcnt(6)
	v_add_f64 v[8:9], v[8:9], v[34:35]
	s_waitcnt lgkmcnt(4)
	v_add_f64 v[10:11], v[10:11], v[36:37]
	;; [unrolled: 2-line block ×3, first 2 shown]
	v_cndmask_b32_e32 v26, v48, v26, vcc_lo
	s_waitcnt lgkmcnt(0)
	v_add_f64 v[14:15], v[14:15], v[40:41]
	s_delay_alu instid0(VALU_DEP_2)
	v_lshlrev_b32_e32 v41, 2, v26
	ds_bpermute_b32 v26, v41, v0
	ds_bpermute_b32 v27, v41, v1
	;; [unrolled: 1-line block ×16, first 2 shown]
	s_waitcnt lgkmcnt(14)
	v_add_f64 v[0:1], v[0:1], v[26:27]
	v_xor_b32_e32 v26, 4, v48
	s_waitcnt lgkmcnt(12)
	v_add_f64 v[2:3], v[2:3], v[28:29]
	s_waitcnt lgkmcnt(10)
	v_add_f64 v[4:5], v[4:5], v[30:31]
	;; [unrolled: 2-line block ×3, first 2 shown]
	v_cmp_gt_i32_e32 vcc_lo, 32, v26
	s_waitcnt lgkmcnt(6)
	v_add_f64 v[8:9], v[8:9], v[34:35]
	s_waitcnt lgkmcnt(4)
	v_add_f64 v[10:11], v[10:11], v[36:37]
	;; [unrolled: 2-line block ×3, first 2 shown]
	v_cndmask_b32_e32 v26, v48, v26, vcc_lo
	s_waitcnt lgkmcnt(0)
	v_add_f64 v[14:15], v[14:15], v[40:41]
	s_delay_alu instid0(VALU_DEP_2)
	v_lshlrev_b32_e32 v41, 2, v26
	ds_bpermute_b32 v26, v41, v0
	ds_bpermute_b32 v27, v41, v1
	ds_bpermute_b32 v28, v41, v2
	ds_bpermute_b32 v29, v41, v3
	ds_bpermute_b32 v30, v41, v4
	ds_bpermute_b32 v31, v41, v5
	ds_bpermute_b32 v32, v41, v6
	ds_bpermute_b32 v33, v41, v7
	ds_bpermute_b32 v34, v41, v8
	ds_bpermute_b32 v35, v41, v9
	ds_bpermute_b32 v36, v41, v10
	ds_bpermute_b32 v37, v41, v11
	ds_bpermute_b32 v38, v41, v12
	ds_bpermute_b32 v39, v41, v13
	ds_bpermute_b32 v40, v41, v14
	ds_bpermute_b32 v41, v41, v15
	s_waitcnt lgkmcnt(14)
	v_add_f64 v[0:1], v[0:1], v[26:27]
	s_waitcnt lgkmcnt(12)
	v_add_f64 v[2:3], v[2:3], v[28:29]
	;; [unrolled: 2-line block ×8, first 2 shown]
	v_xor_b32_e32 v14, 2, v48
	s_delay_alu instid0(VALU_DEP_1) | instskip(SKIP_1) | instid1(VALU_DEP_1)
	v_cmp_gt_i32_e32 vcc_lo, 32, v14
	v_cndmask_b32_e32 v14, v48, v14, vcc_lo
	v_lshlrev_b32_e32 v41, 2, v14
	ds_bpermute_b32 v14, v41, v0
	ds_bpermute_b32 v15, v41, v1
	;; [unrolled: 1-line block ×16, first 2 shown]
	s_waitcnt lgkmcnt(14)
	v_add_f64 v[0:1], v[0:1], v[14:15]
	s_waitcnt lgkmcnt(12)
	v_add_f64 v[28:29], v[2:3], v[28:29]
	;; [unrolled: 2-line block ×7, first 2 shown]
	v_xor_b32_e32 v12, 1, v48
	s_waitcnt lgkmcnt(0)
	v_add_f64 v[8:9], v[26:27], v[40:41]
	s_delay_alu instid0(VALU_DEP_2) | instskip(SKIP_2) | instid1(VALU_DEP_2)
	v_cmp_gt_i32_e32 vcc_lo, 32, v12
	v_cndmask_b32_e32 v12, v48, v12, vcc_lo
	v_cmp_eq_u32_e32 vcc_lo, 63, v60
	v_lshlrev_b32_e32 v35, 2, v12
	ds_bpermute_b32 v12, v35, v0
	ds_bpermute_b32 v13, v35, v1
	;; [unrolled: 1-line block ×16, first 2 shown]
	s_and_b32 exec_lo, exec_lo, vcc_lo
	s_cbranch_execz .LBB59_12
; %bb.42:
	s_waitcnt lgkmcnt(12)
	v_add_f64 v[28:29], v[28:29], v[40:41]
	s_waitcnt lgkmcnt(8)
	v_add_f64 v[14:15], v[14:15], v[38:39]
	;; [unrolled: 2-line block ×4, first 2 shown]
	v_add_f64 v[0:1], v[0:1], v[12:13]
	v_add_f64 v[2:3], v[2:3], v[26:27]
	;; [unrolled: 1-line block ×4, first 2 shown]
	v_cmp_eq_f64_e32 vcc_lo, 0, v[16:17]
	v_cmp_eq_f64_e64 s0, 0, v[18:19]
	s_load_b64 s[2:3], s[2:3], 0x68
	v_mul_f64 v[4:5], v[28:29], -v[22:23]
	v_mul_f64 v[6:7], v[20:21], v[28:29]
	v_mul_f64 v[28:29], v[14:15], -v[22:23]
	v_mul_f64 v[32:33], v[20:21], v[14:15]
	;; [unrolled: 2-line block ×4, first 2 shown]
	s_and_b32 s0, vcc_lo, s0
	v_fma_f64 v[12:13], v[20:21], v[0:1], v[4:5]
	v_fma_f64 v[14:15], v[22:23], v[0:1], v[6:7]
	;; [unrolled: 1-line block ×8, first 2 shown]
	v_lshlrev_b64 v[20:21], 6, v[24:25]
	s_and_saveexec_b32 s1, s0
	s_delay_alu instid0(SALU_CYCLE_1)
	s_xor_b32 s0, exec_lo, s1
	s_cbranch_execz .LBB59_44
; %bb.43:
	s_waitcnt lgkmcnt(0)
	s_delay_alu instid0(VALU_DEP_1)
	v_add_co_u32 v16, vcc_lo, s2, v20
	v_add_co_ci_u32_e32 v17, vcc_lo, s3, v21, vcc_lo
                                        ; implicit-def: $vgpr18_vgpr19
                                        ; implicit-def: $vgpr20_vgpr21
	s_clause 0x3
	global_store_b128 v[16:17], v[12:15], off
	global_store_b128 v[16:17], v[8:11], off offset:16
	global_store_b128 v[16:17], v[4:7], off offset:32
	;; [unrolled: 1-line block ×3, first 2 shown]
                                        ; implicit-def: $vgpr16_vgpr17
                                        ; implicit-def: $vgpr12_vgpr13
                                        ; implicit-def: $vgpr8_vgpr9
                                        ; implicit-def: $vgpr4_vgpr5
                                        ; implicit-def: $vgpr0_vgpr1
.LBB59_44:
	s_and_not1_saveexec_b32 s0, s0
	s_cbranch_execz .LBB59_12
; %bb.45:
	s_waitcnt lgkmcnt(0)
	v_add_co_u32 v36, vcc_lo, s2, v20
	v_add_co_ci_u32_e32 v37, vcc_lo, s3, v21, vcc_lo
	s_clause 0x3
	global_load_b128 v[20:23], v[36:37], off
	global_load_b128 v[24:27], v[36:37], off offset:16
	global_load_b128 v[28:31], v[36:37], off offset:32
	;; [unrolled: 1-line block ×3, first 2 shown]
	s_waitcnt vmcnt(3)
	v_fma_f64 v[12:13], v[16:17], v[20:21], v[12:13]
	v_fma_f64 v[14:15], v[18:19], v[20:21], v[14:15]
	s_waitcnt vmcnt(2)
	v_fma_f64 v[8:9], v[16:17], v[24:25], v[8:9]
	v_fma_f64 v[10:11], v[18:19], v[24:25], v[10:11]
	;; [unrolled: 3-line block ×4, first 2 shown]
	v_fma_f64 v[0:1], -v[18:19], v[22:23], v[12:13]
	v_fma_f64 v[2:3], v[16:17], v[22:23], v[14:15]
	v_fma_f64 v[4:5], -v[18:19], v[26:27], v[8:9]
	v_fma_f64 v[6:7], v[16:17], v[26:27], v[10:11]
	;; [unrolled: 2-line block ×4, first 2 shown]
	s_clause 0x3
	global_store_b128 v[36:37], v[0:3], off
	global_store_b128 v[36:37], v[4:7], off offset:16
	global_store_b128 v[36:37], v[8:11], off offset:32
	;; [unrolled: 1-line block ×3, first 2 shown]
	s_nop 0
	s_sendmsg sendmsg(MSG_DEALLOC_VGPRS)
	s_endpgm
	.section	.rodata,"a",@progbits
	.p2align	6, 0x0
	.amdhsa_kernel _ZN9rocsparseL18bsrxmvn_4x4_kernelILj128ELj64E21rocsparse_complex_numIdEllS2_S2_S2_EEvT3_20rocsparse_direction_NS_24const_host_device_scalarIT1_EES3_PKS3_PKT2_SC_S9_PKT4_PKT5_S7_PT6_21rocsparse_index_base_b
		.amdhsa_group_segment_fixed_size 2048
		.amdhsa_private_segment_fixed_size 0
		.amdhsa_kernarg_size 120
		.amdhsa_user_sgpr_count 15
		.amdhsa_user_sgpr_dispatch_ptr 1
		.amdhsa_user_sgpr_queue_ptr 0
		.amdhsa_user_sgpr_kernarg_segment_ptr 1
		.amdhsa_user_sgpr_dispatch_id 0
		.amdhsa_user_sgpr_private_segment_size 0
		.amdhsa_wavefront_size32 1
		.amdhsa_uses_dynamic_stack 0
		.amdhsa_enable_private_segment 0
		.amdhsa_system_sgpr_workgroup_id_x 1
		.amdhsa_system_sgpr_workgroup_id_y 0
		.amdhsa_system_sgpr_workgroup_id_z 0
		.amdhsa_system_sgpr_workgroup_info 0
		.amdhsa_system_vgpr_workitem_id 2
		.amdhsa_next_free_vgpr 161
		.amdhsa_next_free_sgpr 18
		.amdhsa_reserve_vcc 1
		.amdhsa_float_round_mode_32 0
		.amdhsa_float_round_mode_16_64 0
		.amdhsa_float_denorm_mode_32 3
		.amdhsa_float_denorm_mode_16_64 3
		.amdhsa_dx10_clamp 1
		.amdhsa_ieee_mode 1
		.amdhsa_fp16_overflow 0
		.amdhsa_workgroup_processor_mode 1
		.amdhsa_memory_ordered 1
		.amdhsa_forward_progress 0
		.amdhsa_shared_vgpr_count 0
		.amdhsa_exception_fp_ieee_invalid_op 0
		.amdhsa_exception_fp_denorm_src 0
		.amdhsa_exception_fp_ieee_div_zero 0
		.amdhsa_exception_fp_ieee_overflow 0
		.amdhsa_exception_fp_ieee_underflow 0
		.amdhsa_exception_fp_ieee_inexact 0
		.amdhsa_exception_int_div_zero 0
	.end_amdhsa_kernel
	.section	.text._ZN9rocsparseL18bsrxmvn_4x4_kernelILj128ELj64E21rocsparse_complex_numIdEllS2_S2_S2_EEvT3_20rocsparse_direction_NS_24const_host_device_scalarIT1_EES3_PKS3_PKT2_SC_S9_PKT4_PKT5_S7_PT6_21rocsparse_index_base_b,"axG",@progbits,_ZN9rocsparseL18bsrxmvn_4x4_kernelILj128ELj64E21rocsparse_complex_numIdEllS2_S2_S2_EEvT3_20rocsparse_direction_NS_24const_host_device_scalarIT1_EES3_PKS3_PKT2_SC_S9_PKT4_PKT5_S7_PT6_21rocsparse_index_base_b,comdat
.Lfunc_end59:
	.size	_ZN9rocsparseL18bsrxmvn_4x4_kernelILj128ELj64E21rocsparse_complex_numIdEllS2_S2_S2_EEvT3_20rocsparse_direction_NS_24const_host_device_scalarIT1_EES3_PKS3_PKT2_SC_S9_PKT4_PKT5_S7_PT6_21rocsparse_index_base_b, .Lfunc_end59-_ZN9rocsparseL18bsrxmvn_4x4_kernelILj128ELj64E21rocsparse_complex_numIdEllS2_S2_S2_EEvT3_20rocsparse_direction_NS_24const_host_device_scalarIT1_EES3_PKS3_PKT2_SC_S9_PKT4_PKT5_S7_PT6_21rocsparse_index_base_b
                                        ; -- End function
	.section	.AMDGPU.csdata,"",@progbits
; Kernel info:
; codeLenInByte = 11672
; NumSgprs: 20
; NumVgprs: 161
; ScratchSize: 0
; MemoryBound: 1
; FloatMode: 240
; IeeeMode: 1
; LDSByteSize: 2048 bytes/workgroup (compile time only)
; SGPRBlocks: 2
; VGPRBlocks: 20
; NumSGPRsForWavesPerEU: 20
; NumVGPRsForWavesPerEU: 161
; Occupancy: 9
; WaveLimiterHint : 1
; COMPUTE_PGM_RSRC2:SCRATCH_EN: 0
; COMPUTE_PGM_RSRC2:USER_SGPR: 15
; COMPUTE_PGM_RSRC2:TRAP_HANDLER: 0
; COMPUTE_PGM_RSRC2:TGID_X_EN: 1
; COMPUTE_PGM_RSRC2:TGID_Y_EN: 0
; COMPUTE_PGM_RSRC2:TGID_Z_EN: 0
; COMPUTE_PGM_RSRC2:TIDIG_COMP_CNT: 2
	.section	.text._ZN9rocsparseL18bsrxmvn_4x4_kernelILj128ELj4EiiiaaiEEvT3_20rocsparse_direction_NS_24const_host_device_scalarIT1_EES1_PKS1_PKT2_SA_S7_PKT4_PKT5_S5_PT6_21rocsparse_index_base_b,"axG",@progbits,_ZN9rocsparseL18bsrxmvn_4x4_kernelILj128ELj4EiiiaaiEEvT3_20rocsparse_direction_NS_24const_host_device_scalarIT1_EES1_PKS1_PKT2_SA_S7_PKT4_PKT5_S5_PT6_21rocsparse_index_base_b,comdat
	.globl	_ZN9rocsparseL18bsrxmvn_4x4_kernelILj128ELj4EiiiaaiEEvT3_20rocsparse_direction_NS_24const_host_device_scalarIT1_EES1_PKS1_PKT2_SA_S7_PKT4_PKT5_S5_PT6_21rocsparse_index_base_b ; -- Begin function _ZN9rocsparseL18bsrxmvn_4x4_kernelILj128ELj4EiiiaaiEEvT3_20rocsparse_direction_NS_24const_host_device_scalarIT1_EES1_PKS1_PKT2_SA_S7_PKT4_PKT5_S5_PT6_21rocsparse_index_base_b
	.p2align	8
	.type	_ZN9rocsparseL18bsrxmvn_4x4_kernelILj128ELj4EiiiaaiEEvT3_20rocsparse_direction_NS_24const_host_device_scalarIT1_EES1_PKS1_PKT2_SA_S7_PKT4_PKT5_S5_PT6_21rocsparse_index_base_b,@function
_ZN9rocsparseL18bsrxmvn_4x4_kernelILj128ELj4EiiiaaiEEvT3_20rocsparse_direction_NS_24const_host_device_scalarIT1_EES1_PKS1_PKT2_SA_S7_PKT4_PKT5_S5_PT6_21rocsparse_index_base_b: ; @_ZN9rocsparseL18bsrxmvn_4x4_kernelILj128ELj4EiiiaaiEEvT3_20rocsparse_direction_NS_24const_host_device_scalarIT1_EES1_PKS1_PKT2_SA_S7_PKT4_PKT5_S5_PT6_21rocsparse_index_base_b
; %bb.0:
	s_clause 0x1
	s_load_b64 s[12:13], s[0:1], 0x58
	s_load_b64 s[4:5], s[0:1], 0x8
	s_mov_b32 s7, -1
	s_waitcnt lgkmcnt(0)
	s_bitcmp1_b32 s13, 0
                                        ; implicit-def: $sgpr13
	s_cselect_b32 s2, -1, 0
	s_delay_alu instid0(SALU_CYCLE_1) | instskip(NEXT) | instid1(SALU_CYCLE_1)
	s_xor_b32 s6, s2, -1
	s_and_b32 vcc_lo, exec_lo, s6
	s_cbranch_vccnz .LBB60_4
; %bb.1:
	s_load_b64 s[2:3], s[0:1], 0x48
	s_and_not1_b32 vcc_lo, exec_lo, s7
	s_cbranch_vccz .LBB60_5
.LBB60_2:
	s_and_b32 vcc_lo, exec_lo, s6
	s_cbranch_vccz .LBB60_6
.LBB60_3:
	s_waitcnt lgkmcnt(0)
	s_load_b32 s14, s[2:3], 0x0
	s_cbranch_execz .LBB60_7
	s_branch .LBB60_8
.LBB60_4:
	s_load_b32 s13, s[4:5], 0x0
	s_load_b64 s[2:3], s[0:1], 0x48
	s_cbranch_execnz .LBB60_2
.LBB60_5:
	s_waitcnt lgkmcnt(0)
	s_mov_b32 s13, s4
	s_and_b32 vcc_lo, exec_lo, s6
	s_cbranch_vccnz .LBB60_3
.LBB60_6:
	s_waitcnt lgkmcnt(0)
                                        ; implicit-def: $sgpr14
.LBB60_7:
	s_waitcnt lgkmcnt(0)
	s_mov_b32 s14, s2
.LBB60_8:
	s_cmp_lg_u32 s13, 0
	s_mov_b32 s6, 0
	s_cselect_b32 s2, -1, 0
	s_waitcnt lgkmcnt(0)
	s_cmp_lg_u32 s14, 1
	s_cselect_b32 s3, -1, 0
	s_delay_alu instid0(SALU_CYCLE_1) | instskip(NEXT) | instid1(SALU_CYCLE_1)
	s_or_b32 s2, s2, s3
	s_and_not1_b32 vcc_lo, exec_lo, s2
	s_cbranch_vccnz .LBB60_14
; %bb.9:
	s_clause 0x1
	s_load_b64 s[4:5], s[0:1], 0x18
	s_load_b64 s[2:3], s[0:1], 0x0
	v_lshrrev_b32_e32 v1, 2, v0
	s_delay_alu instid0(VALU_DEP_1)
	v_lshl_or_b32 v3, s15, 5, v1
	s_waitcnt lgkmcnt(0)
	s_cmp_lg_u64 s[4:5], 0
	s_cbranch_scc0 .LBB60_15
; %bb.10:
	s_load_b32 s6, s[0:1], 0x10
	s_mov_b32 s7, 0
                                        ; implicit-def: $vgpr1
	s_waitcnt lgkmcnt(0)
	v_cmp_gt_i32_e32 vcc_lo, s6, v3
	s_mov_b32 s6, 0
	s_and_saveexec_b32 s8, vcc_lo
	s_delay_alu instid0(SALU_CYCLE_1)
	s_xor_b32 s8, exec_lo, s8
	s_cbranch_execz .LBB60_12
; %bb.11:
	v_ashrrev_i32_e32 v4, 31, v3
	s_mov_b32 s6, exec_lo
	s_delay_alu instid0(VALU_DEP_1) | instskip(NEXT) | instid1(VALU_DEP_1)
	v_lshlrev_b64 v[1:2], 2, v[3:4]
	v_add_co_u32 v1, vcc_lo, s4, v1
	s_delay_alu instid0(VALU_DEP_2)
	v_add_co_ci_u32_e32 v2, vcc_lo, s5, v2, vcc_lo
	global_load_b32 v1, v[1:2], off
	s_waitcnt vmcnt(0)
	v_subrev_nc_u32_e32 v1, s12, v1
.LBB60_12:
	s_or_b32 exec_lo, exec_lo, s8
	s_delay_alu instid0(SALU_CYCLE_1)
	s_and_b32 vcc_lo, exec_lo, s7
	s_cbranch_vccz .LBB60_16
.LBB60_13:
	v_cmp_gt_i32_e32 vcc_lo, s2, v3
	s_and_not1_b32 s2, s6, exec_lo
	s_and_b32 s4, vcc_lo, exec_lo
	s_delay_alu instid0(SALU_CYCLE_1) | instskip(NEXT) | instid1(SALU_CYCLE_1)
	s_or_b32 s6, s2, s4
	s_and_saveexec_b32 s2, s6
	s_cbranch_execnz .LBB60_17
.LBB60_14:
	s_nop 0
	s_sendmsg sendmsg(MSG_DEALLOC_VGPRS)
	s_endpgm
.LBB60_15:
                                        ; implicit-def: $vgpr1
	s_cbranch_execnz .LBB60_13
.LBB60_16:
	s_delay_alu instid0(VALU_DEP_1)
	v_mov_b32_e32 v3, v1
	s_and_saveexec_b32 s2, s6
	s_cbranch_execz .LBB60_14
.LBB60_17:
	s_load_b256 s[4:11], s[0:1], 0x20
	s_delay_alu instid0(VALU_DEP_1) | instskip(SKIP_1) | instid1(VALU_DEP_2)
	v_ashrrev_i32_e32 v4, 31, v3
	v_and_b32_e32 v8, 3, v0
	v_lshlrev_b64 v[1:2], 2, v[3:4]
	s_waitcnt lgkmcnt(0)
	s_delay_alu instid0(VALU_DEP_1) | instskip(NEXT) | instid1(VALU_DEP_2)
	v_add_co_u32 v4, vcc_lo, s4, v1
	v_add_co_ci_u32_e32 v5, vcc_lo, s5, v2, vcc_lo
	v_add_co_u32 v1, vcc_lo, s6, v1
	v_add_co_ci_u32_e32 v2, vcc_lo, s7, v2, vcc_lo
	global_load_b32 v13, v[4:5], off
	v_add_co_u32 v4, vcc_lo, v4, 4
	v_add_co_ci_u32_e32 v5, vcc_lo, 0, v5, vcc_lo
	s_cmp_eq_u64 s[6:7], 0
	s_load_b64 s[6:7], s[0:1], 0x40
	s_cselect_b32 vcc_lo, -1, 0
	s_cmp_eq_u32 s3, 1
	v_dual_cndmask_b32 v2, v2, v5 :: v_dual_cndmask_b32 v1, v1, v4
	global_load_b32 v4, v[1:2], off
	s_waitcnt vmcnt(1)
	v_subrev_nc_u32_e32 v0, s12, v13
	s_delay_alu instid0(VALU_DEP_1) | instskip(NEXT) | instid1(VALU_DEP_1)
	v_add_nc_u32_e32 v0, v0, v8
	v_ashrrev_i32_e32 v1, 31, v0
	s_waitcnt vmcnt(0)
	v_subrev_nc_u32_e32 v14, s12, v4
	s_delay_alu instid0(VALU_DEP_2) | instskip(NEXT) | instid1(VALU_DEP_2)
	v_lshlrev_b64 v[1:2], 4, v[0:1]
	v_cmp_lt_i32_e64 s2, v0, v14
	s_delay_alu instid0(VALU_DEP_2) | instskip(NEXT) | instid1(VALU_DEP_3)
	v_add_co_u32 v4, vcc_lo, s10, v1
	v_add_co_ci_u32_e32 v5, vcc_lo, s11, v2, vcc_lo
	s_cbranch_scc1 .LBB60_29
; %bb.18:
	v_dual_mov_b32 v10, 0 :: v_dual_mov_b32 v11, 0
	v_dual_mov_b32 v12, 0 :: v_dual_mov_b32 v9, 0
	s_mov_b32 s10, 0
	s_and_saveexec_b32 s11, s2
	s_cbranch_execz .LBB60_28
; %bb.19:
	v_dual_mov_b32 v12, 0 :: v_dual_add_nc_u32 v1, v13, v8
	v_not_b32_e32 v2, v13
	v_mov_b32_e32 v9, 0
	v_mov_b32_e32 v11, 0
	s_delay_alu instid0(VALU_DEP_4) | instskip(SKIP_2) | instid1(VALU_DEP_1)
	v_subrev_nc_u32_e32 v1, s12, v1
	s_mov_b32 s16, 0
	s_mov_b32 s15, exec_lo
	v_dual_mov_b32 v10, 0 :: v_dual_add_nc_u32 v1, 4, v1
	s_delay_alu instid0(VALU_DEP_1) | instskip(NEXT) | instid1(VALU_DEP_1)
	v_max_i32_e32 v1, v1, v14
	v_add3_u32 v1, v1, s12, v2
	s_delay_alu instid0(VALU_DEP_1) | instskip(SKIP_1) | instid1(VALU_DEP_2)
	v_sub_nc_u32_e32 v2, v1, v8
	v_mov_b32_e32 v1, v0
	v_lshrrev_b32_e32 v6, 2, v2
	s_delay_alu instid0(VALU_DEP_1)
	v_add_nc_u32_e32 v15, 1, v6
	v_dual_mov_b32 v7, v5 :: v_dual_mov_b32 v6, v4
	v_cmpx_lt_u32_e32 11, v2
	s_cbranch_execz .LBB60_23
; %bb.20:
	s_delay_alu instid0(VALU_DEP_3)
	v_dual_mov_b32 v7, v5 :: v_dual_and_b32 v16, 0x7ffffffc, v15
	v_dual_mov_b32 v10, 0 :: v_dual_mov_b32 v1, v0
	v_dual_mov_b32 v6, v4 :: v_dual_mov_b32 v11, 0
	;; [unrolled: 1-line block ×3, first 2 shown]
.LBB60_21:                              ; =>This Inner Loop Header: Depth=1
	s_delay_alu instid0(VALU_DEP_3) | instskip(SKIP_1) | instid1(VALU_DEP_2)
	v_ashrrev_i32_e32 v2, 31, v1
	v_add_nc_u32_e32 v16, -4, v16
	v_lshlrev_b64 v[17:18], 2, v[1:2]
	v_add_nc_u32_e32 v1, 16, v1
	s_delay_alu instid0(VALU_DEP_2) | instskip(NEXT) | instid1(VALU_DEP_3)
	v_add_co_u32 v17, vcc_lo, s8, v17
	v_add_co_ci_u32_e32 v18, vcc_lo, s9, v18, vcc_lo
	s_clause 0x3
	global_load_b32 v2, v[17:18], off
	global_load_b32 v33, v[17:18], off offset:16
	global_load_b32 v34, v[17:18], off offset:32
	;; [unrolled: 1-line block ×3, first 2 shown]
	s_clause 0x3
	global_load_b128 v[17:20], v[6:7], off
	global_load_b128 v[21:24], v[6:7], off offset:64
	global_load_b128 v[25:28], v[6:7], off offset:128
	;; [unrolled: 1-line block ×3, first 2 shown]
	s_waitcnt vmcnt(7)
	v_subrev_nc_u32_e32 v2, s12, v2
	s_waitcnt vmcnt(6)
	v_subrev_nc_u32_e32 v33, s12, v33
	s_waitcnt vmcnt(5)
	v_subrev_nc_u32_e32 v34, s12, v34
	s_waitcnt vmcnt(4)
	v_subrev_nc_u32_e32 v35, s12, v35
	v_lshlrev_b32_e32 v2, 2, v2
	v_lshlrev_b32_e32 v33, 2, v33
	;; [unrolled: 1-line block ×3, first 2 shown]
	s_delay_alu instid0(VALU_DEP_4)
	v_lshlrev_b32_e32 v36, 2, v35
	s_waitcnt vmcnt(1)
	v_bfe_i32 v44, v25, 0, 8
	v_ashrrev_i32_e32 v38, 31, v2
	v_ashrrev_i32_e32 v41, 31, v33
	;; [unrolled: 1-line block ×4, first 2 shown]
	s_waitcnt lgkmcnt(0)
	v_add_co_u32 v39, s5, s6, v2
	v_add_co_u32 v33, vcc_lo, s6, v33
	v_add_co_u32 v35, s3, s6, v34
	v_add_co_ci_u32_e64 v40, s5, s7, v38, s5
	v_add_co_u32 v37, s4, s6, v36
	v_add_co_ci_u32_e32 v34, vcc_lo, s7, v41, vcc_lo
	v_add_co_ci_u32_e64 v36, vcc_lo, s7, v42, s3
	v_add_co_ci_u32_e64 v38, vcc_lo, s7, v43, s4
	s_clause 0x3
	global_load_b32 v2, v[39:40], off
	global_load_b32 v33, v[33:34], off
	;; [unrolled: 1-line block ×4, first 2 shown]
	v_lshrrev_b16 v36, 8, v17
	v_ashrrev_i32_e32 v37, 24, v17
	v_bfe_i32 v38, v17, 0, 8
	v_bfe_i32 v17, v17, 16, 8
	v_lshrrev_b16 v39, 8, v21
	v_ashrrev_i32_e32 v40, 24, v21
	v_bfe_i32 v41, v21, 0, 8
	v_bfe_i32 v21, v21, 16, 8
	;; [unrolled: 1-line block ×3, first 2 shown]
	v_lshrrev_b16 v42, 8, v25
	v_ashrrev_i32_e32 v43, 24, v25
	v_bfe_i32 v25, v25, 16, 8
	v_bfe_i32 v39, v39, 0, 8
	s_waitcnt vmcnt(4)
	v_lshrrev_b16 v45, 8, v29
	v_ashrrev_i32_e32 v46, 24, v29
	v_bfe_i32 v47, v29, 0, 8
	v_bfe_i32 v29, v29, 16, 8
	;; [unrolled: 1-line block ×4, first 2 shown]
	v_add_co_u32 v6, vcc_lo, 0x100, v6
	v_add_co_ci_u32_e32 v7, vcc_lo, 0, v7, vcc_lo
	v_cmp_eq_u32_e32 vcc_lo, 0, v16
	s_or_b32 s16, vcc_lo, s16
	s_waitcnt vmcnt(3)
	v_lshrrev_b16 v48, 8, v2
	v_ashrrev_i32_e32 v50, 24, v2
	v_bfe_i32 v51, v2, 16, 8
	v_bfe_i32 v49, v2, 0, 8
	v_dot4_i32_iu8 v12, v2, v18, v12 neg_lo:[1,1,0]
	v_dot4_i32_iu8 v11, v2, v19, v11 neg_lo:[1,1,0]
	;; [unrolled: 1-line block ×3, first 2 shown]
	s_waitcnt vmcnt(2)
	v_lshrrev_b16 v10, 8, v33
	v_ashrrev_i32_e32 v19, 24, v33
	v_bfe_i32 v20, v33, 16, 8
	v_bfe_i32 v48, v48, 0, 8
	v_mul_i32_i24_e32 v17, v51, v17
	v_mul_i32_i24_e32 v37, v50, v37
	v_bfe_i32 v18, v33, 0, 8
	s_waitcnt vmcnt(1)
	v_lshrrev_b16 v52, 8, v34
	v_ashrrev_i32_e32 v54, 24, v34
	v_bfe_i32 v55, v34, 16, 8
	v_bfe_i32 v10, v10, 0, 8
	v_mul_i32_i24_e32 v20, v20, v21
	v_mul_i32_i24_e32 v19, v19, v40
	v_dot4_i32_iu8 v2, v33, v24, v2 neg_lo:[1,1,0]
	v_mad_i32_i24 v17, v49, v38, v17
	v_mad_i32_i24 v24, v48, v36, v37
	v_bfe_i32 v53, v34, 0, 8
	s_waitcnt vmcnt(0)
	v_lshrrev_b16 v56, 8, v35
	v_ashrrev_i32_e32 v58, 24, v35
	v_bfe_i32 v59, v35, 16, 8
	v_dot4_i32_iu8 v12, v33, v22, v12 neg_lo:[1,1,0]
	v_dot4_i32_iu8 v11, v33, v23, v11 neg_lo:[1,1,0]
	v_bfe_i32 v21, v52, 0, 8
	v_mul_i32_i24_e32 v22, v55, v25
	v_mul_i32_i24_e32 v23, v54, v43
	v_mad_i32_i24 v18, v18, v41, v20
	v_mad_i32_i24 v10, v10, v39, v19
	v_add3_u32 v9, v17, v24, v9
	v_bfe_i32 v57, v35, 0, 8
	v_bfe_i32 v25, v56, 0, 8
	v_mul_i32_i24_e32 v29, v59, v29
	v_mul_i32_i24_e32 v17, v58, v46
	v_mad_i32_i24 v19, v53, v44, v22
	v_mad_i32_i24 v20, v21, v42, v23
	v_add3_u32 v9, v18, v10, v9
	v_dot4_i32_iu8 v12, v34, v26, v12 neg_lo:[1,1,0]
	v_dot4_i32_iu8 v10, v34, v27, v11 neg_lo:[1,1,0]
	v_dot4_i32_iu8 v2, v34, v28, v2 neg_lo:[1,1,0]
	v_mad_i32_i24 v18, v57, v47, v29
	v_mad_i32_i24 v17, v25, v45, v17
	v_add3_u32 v9, v19, v20, v9
	v_dot4_i32_iu8 v12, v35, v30, v12 neg_lo:[1,1,0]
	v_dot4_i32_iu8 v11, v35, v31, v10 neg_lo:[1,1,0]
	;; [unrolled: 1-line block ×3, first 2 shown]
	s_delay_alu instid0(VALU_DEP_4)
	v_add3_u32 v9, v18, v17, v9
	s_and_not1_b32 exec_lo, exec_lo, s16
	s_cbranch_execnz .LBB60_21
; %bb.22:
	s_or_b32 exec_lo, exec_lo, s16
.LBB60_23:
	s_delay_alu instid0(SALU_CYCLE_1) | instskip(SKIP_3) | instid1(VALU_DEP_1)
	s_or_b32 exec_lo, exec_lo, s15
	v_and_b32_e32 v2, 3, v15
	s_mov_b32 s4, 0
	s_mov_b32 s3, exec_lo
	v_cmpx_ne_u32_e32 0, v2
	s_cbranch_execz .LBB60_27
; %bb.24:
	v_lshlrev_b32_e32 v15, 4, v2
.LBB60_25:                              ; =>This Inner Loop Header: Depth=1
	v_ashrrev_i32_e32 v2, 31, v1
	s_delay_alu instid0(VALU_DEP_2) | instskip(NEXT) | instid1(VALU_DEP_2)
	v_add_nc_u32_e32 v15, -16, v15
	v_lshlrev_b64 v[16:17], 2, v[1:2]
	v_add_nc_u32_e32 v1, 4, v1
	s_delay_alu instid0(VALU_DEP_2) | instskip(NEXT) | instid1(VALU_DEP_3)
	v_add_co_u32 v16, vcc_lo, s8, v16
	v_add_co_ci_u32_e32 v17, vcc_lo, s9, v17, vcc_lo
	global_load_b32 v2, v[16:17], off
	s_waitcnt vmcnt(0)
	v_subrev_nc_u32_e32 v2, s12, v2
	s_delay_alu instid0(VALU_DEP_1) | instskip(NEXT) | instid1(VALU_DEP_1)
	v_lshlrev_b32_e32 v2, 2, v2
	v_ashrrev_i32_e32 v16, 31, v2
	s_waitcnt lgkmcnt(0)
	v_add_co_u32 v20, vcc_lo, s6, v2
	s_delay_alu instid0(VALU_DEP_2)
	v_add_co_ci_u32_e32 v21, vcc_lo, s7, v16, vcc_lo
	global_load_b128 v[16:19], v[6:7], off
	global_load_b32 v2, v[20:21], off
	v_add_co_u32 v6, vcc_lo, v6, 64
	v_add_co_ci_u32_e32 v7, vcc_lo, 0, v7, vcc_lo
	v_cmp_eq_u32_e32 vcc_lo, 0, v15
	s_or_b32 s4, vcc_lo, s4
	s_waitcnt vmcnt(1)
	v_lshrrev_b16 v20, 8, v16
	v_ashrrev_i32_e32 v21, 24, v16
	v_bfe_i32 v22, v16, 0, 8
	v_bfe_i32 v16, v16, 16, 8
	s_waitcnt vmcnt(0)
	v_lshrrev_b16 v23, 8, v2
	v_bfe_i32 v24, v2, 16, 8
	v_ashrrev_i32_e32 v25, 24, v2
	v_bfe_i32 v20, v20, 0, 8
	v_bfe_i32 v26, v2, 0, 8
	;; [unrolled: 1-line block ×3, first 2 shown]
	v_mul_i32_i24_e32 v16, v24, v16
	v_mul_i32_i24_e32 v21, v25, v21
	v_dot4_i32_iu8 v12, v2, v17, v12 neg_lo:[1,1,0]
	v_dot4_i32_iu8 v11, v2, v18, v11 neg_lo:[1,1,0]
	;; [unrolled: 1-line block ×3, first 2 shown]
	v_mad_i32_i24 v16, v26, v22, v16
	v_mad_i32_i24 v20, v23, v20, v21
	s_delay_alu instid0(VALU_DEP_1)
	v_add3_u32 v9, v16, v20, v9
	s_and_not1_b32 exec_lo, exec_lo, s4
	s_cbranch_execnz .LBB60_25
; %bb.26:
	s_or_b32 exec_lo, exec_lo, s4
.LBB60_27:
	s_delay_alu instid0(SALU_CYCLE_1)
	s_or_b32 exec_lo, exec_lo, s3
.LBB60_28:
	s_delay_alu instid0(SALU_CYCLE_1) | instskip(NEXT) | instid1(SALU_CYCLE_1)
	s_or_b32 exec_lo, exec_lo, s11
	s_and_not1_b32 vcc_lo, exec_lo, s10
	s_cbranch_vccz .LBB60_30
	s_branch .LBB60_41
.LBB60_29:
                                        ; implicit-def: $vgpr10
                                        ; implicit-def: $vgpr11
                                        ; implicit-def: $vgpr12
                                        ; implicit-def: $vgpr9
.LBB60_30:
	v_dual_mov_b32 v10, 0 :: v_dual_mov_b32 v11, 0
	v_dual_mov_b32 v12, 0 :: v_dual_mov_b32 v9, 0
	s_and_saveexec_b32 s5, s2
	s_cbranch_execz .LBB60_40
; %bb.31:
	v_dual_mov_b32 v12, 0 :: v_dual_add_nc_u32 v1, v13, v8
	v_not_b32_e32 v2, v13
	v_mov_b32_e32 v11, 0
	s_mov_b32 s11, 0
	s_delay_alu instid0(VALU_DEP_3) | instskip(SKIP_1) | instid1(VALU_DEP_1)
	v_subrev_nc_u32_e32 v1, s12, v1
	s_mov_b32 s10, exec_lo
	v_dual_mov_b32 v10, 0 :: v_dual_add_nc_u32 v1, 4, v1
	s_delay_alu instid0(VALU_DEP_1) | instskip(NEXT) | instid1(VALU_DEP_1)
	v_max_i32_e32 v1, v1, v14
	v_add3_u32 v1, v1, s12, v2
	s_delay_alu instid0(VALU_DEP_1) | instskip(NEXT) | instid1(VALU_DEP_1)
	v_sub_nc_u32_e32 v1, v1, v8
	v_lshrrev_b32_e32 v2, 2, v1
	s_delay_alu instid0(VALU_DEP_1)
	v_dual_mov_b32 v9, 0 :: v_dual_add_nc_u32 v2, 1, v2
	v_cmpx_lt_u32_e32 11, v1
	s_cbranch_execz .LBB60_35
; %bb.32:
	s_delay_alu instid0(VALU_DEP_2)
	v_dual_mov_b32 v11, 0 :: v_dual_and_b32 v6, 0x7ffffffc, v2
	v_dual_mov_b32 v10, 0 :: v_dual_mov_b32 v9, 0
	v_mov_b32_e32 v12, 0
.LBB60_33:                              ; =>This Inner Loop Header: Depth=1
	v_ashrrev_i32_e32 v1, 31, v0
	s_delay_alu instid0(VALU_DEP_4) | instskip(NEXT) | instid1(VALU_DEP_2)
	v_add_nc_u32_e32 v6, -4, v6
	v_lshlrev_b64 v[13:14], 2, v[0:1]
	v_add_nc_u32_e32 v0, 16, v0
	s_delay_alu instid0(VALU_DEP_2) | instskip(NEXT) | instid1(VALU_DEP_3)
	v_add_co_u32 v13, vcc_lo, s8, v13
	v_add_co_ci_u32_e32 v14, vcc_lo, s9, v14, vcc_lo
	s_clause 0x3
	global_load_b32 v1, v[13:14], off
	global_load_b32 v7, v[13:14], off offset:16
	global_load_b32 v29, v[13:14], off offset:32
	;; [unrolled: 1-line block ×3, first 2 shown]
	s_clause 0x3
	global_load_b128 v[13:16], v[4:5], off
	global_load_b128 v[17:20], v[4:5], off offset:64
	global_load_b128 v[21:24], v[4:5], off offset:128
	;; [unrolled: 1-line block ×3, first 2 shown]
	s_waitcnt vmcnt(7)
	v_subrev_nc_u32_e32 v1, s12, v1
	s_waitcnt vmcnt(6)
	v_subrev_nc_u32_e32 v7, s12, v7
	s_waitcnt vmcnt(5)
	v_subrev_nc_u32_e32 v29, s12, v29
	s_waitcnt vmcnt(4)
	v_subrev_nc_u32_e32 v30, s12, v30
	v_lshlrev_b32_e32 v1, 2, v1
	v_lshlrev_b32_e32 v7, 2, v7
	;; [unrolled: 1-line block ×3, first 2 shown]
	s_delay_alu instid0(VALU_DEP_4)
	v_lshlrev_b32_e32 v30, 2, v30
	s_waitcnt vmcnt(2)
	v_perm_b32 v38, v20, v19, 0x5010c0c
	v_ashrrev_i32_e32 v32, 31, v1
	s_waitcnt lgkmcnt(0)
	v_add_co_u32 v34, s4, s6, v1
	v_ashrrev_i32_e32 v36, 31, v7
	v_add_co_u32 v29, vcc_lo, s6, v7
	v_add_co_ci_u32_e64 v35, s4, s7, v32, s4
	v_ashrrev_i32_e32 v7, 31, v31
	v_ashrrev_i32_e32 v37, 31, v30
	v_add_co_u32 v33, s3, s6, v30
	v_add_co_ci_u32_e32 v30, vcc_lo, s7, v36, vcc_lo
	global_load_b32 v1, v[34:35], off
	v_add_co_u32 v31, s2, s6, v31
	s_delay_alu instid0(VALU_DEP_1)
	v_add_co_ci_u32_e64 v32, vcc_lo, s7, v7, s2
	global_load_b32 v7, v[29:30], off
	v_add_co_ci_u32_e64 v34, vcc_lo, s7, v37, s3
	s_clause 0x1
	global_load_b32 v29, v[31:32], off
	global_load_b32 v30, v[33:34], off
	v_perm_b32 v31, v14, v13, 0xc0c0400
	v_perm_b32 v32, v16, v15, 0x4000c0c
	;; [unrolled: 1-line block ×15, first 2 shown]
	s_waitcnt vmcnt(5)
	v_perm_b32 v19, v22, v21, 0xc0c0400
	v_perm_b32 v20, v24, v23, 0x4000c0c
	;; [unrolled: 1-line block ×8, first 2 shown]
	s_waitcnt vmcnt(4)
	v_perm_b32 v23, v26, v25, 0xc0c0400
	v_perm_b32 v24, v28, v27, 0x4000c0c
	;; [unrolled: 1-line block ×8, first 2 shown]
	v_or_b32_e32 v27, v32, v31
	v_or_b32_e32 v28, v34, v33
	;; [unrolled: 1-line block ×12, first 2 shown]
	v_add_co_u32 v4, vcc_lo, 0x100, v4
	v_or_b32_e32 v22, v24, v23
	v_or_b32_e32 v23, v46, v45
	v_add_co_ci_u32_e32 v5, vcc_lo, 0, v5, vcc_lo
	v_cmp_eq_u32_e32 vcc_lo, 0, v6
	s_or_b32 s11, vcc_lo, s11
	s_waitcnt vmcnt(3)
	v_dot4_i32_iu8 v9, v1, v27, v9 neg_lo:[1,1,0]
	v_dot4_i32_iu8 v12, v28, v1, v12 neg_lo:[1,1,0]
	v_dot4_i32_iu8 v11, v31, v1, v11 neg_lo:[1,1,0]
	v_dot4_i32_iu8 v1, v13, v1, v10 neg_lo:[1,1,0]
	v_or_b32_e32 v10, v48, v47
	s_waitcnt vmcnt(2)
	v_dot4_i32_iu8 v9, v7, v14, v9 neg_lo:[1,1,0]
	v_dot4_i32_iu8 v12, v15, v7, v12 neg_lo:[1,1,0]
	;; [unrolled: 1-line block ×4, first 2 shown]
	v_or_b32_e32 v7, v26, v25
	s_waitcnt vmcnt(1)
	v_dot4_i32_iu8 v9, v29, v18, v9 neg_lo:[1,1,0]
	v_dot4_i32_iu8 v12, v19, v29, v12 neg_lo:[1,1,0]
	;; [unrolled: 1-line block ×4, first 2 shown]
	s_waitcnt vmcnt(0)
	v_dot4_i32_iu8 v9, v30, v22, v9 neg_lo:[1,1,0]
	v_dot4_i32_iu8 v12, v23, v30, v12 neg_lo:[1,1,0]
	;; [unrolled: 1-line block ×4, first 2 shown]
	s_and_not1_b32 exec_lo, exec_lo, s11
	s_cbranch_execnz .LBB60_33
; %bb.34:
	s_or_b32 exec_lo, exec_lo, s11
.LBB60_35:
	s_delay_alu instid0(SALU_CYCLE_1) | instskip(NEXT) | instid1(VALU_DEP_2)
	s_or_b32 exec_lo, exec_lo, s10
	v_and_b32_e32 v1, 3, v2
	s_mov_b32 s3, 0
	s_mov_b32 s2, exec_lo
	s_delay_alu instid0(VALU_DEP_1)
	v_cmpx_ne_u32_e32 0, v1
	s_cbranch_execz .LBB60_39
; %bb.36:
	v_lshlrev_b32_e32 v2, 4, v1
.LBB60_37:                              ; =>This Inner Loop Header: Depth=1
	v_ashrrev_i32_e32 v1, 31, v0
	global_load_b128 v[13:16], v[4:5], off
	v_add_nc_u32_e32 v2, -16, v2
	v_lshlrev_b64 v[6:7], 2, v[0:1]
	v_add_nc_u32_e32 v0, 4, v0
	s_delay_alu instid0(VALU_DEP_2) | instskip(NEXT) | instid1(VALU_DEP_3)
	v_add_co_u32 v6, vcc_lo, s8, v6
	v_add_co_ci_u32_e32 v7, vcc_lo, s9, v7, vcc_lo
	global_load_b32 v1, v[6:7], off
	s_waitcnt vmcnt(1)
	v_perm_b32 v17, v14, v13, 0xc0c0501
	v_perm_b32 v18, v16, v15, 0x5010c0c
	;; [unrolled: 1-line block ×4, first 2 shown]
	s_waitcnt vmcnt(0)
	v_subrev_nc_u32_e32 v1, s12, v1
	s_delay_alu instid0(VALU_DEP_1) | instskip(NEXT) | instid1(VALU_DEP_1)
	v_lshlrev_b32_e32 v1, 2, v1
	v_ashrrev_i32_e32 v7, 31, v1
	s_waitcnt lgkmcnt(0)
	v_add_co_u32 v6, vcc_lo, s6, v1
	s_delay_alu instid0(VALU_DEP_2)
	v_add_co_ci_u32_e32 v7, vcc_lo, s7, v7, vcc_lo
	v_add_co_u32 v4, vcc_lo, v4, 64
	v_add_co_ci_u32_e32 v5, vcc_lo, 0, v5, vcc_lo
	global_load_b32 v1, v[6:7], off
	v_perm_b32 v6, v14, v13, 0xc0c0400
	v_perm_b32 v7, v16, v15, 0x4000c0c
	;; [unrolled: 1-line block ×4, first 2 shown]
	v_or_b32_e32 v15, v20, v19
	v_cmp_eq_u32_e32 vcc_lo, 0, v2
	v_or_b32_e32 v6, v7, v6
	v_or_b32_e32 v7, v18, v17
	;; [unrolled: 1-line block ×3, first 2 shown]
	s_or_b32 s3, vcc_lo, s3
	s_waitcnt vmcnt(0)
	v_dot4_i32_iu8 v9, v1, v6, v9 neg_lo:[1,1,0]
	v_dot4_i32_iu8 v12, v7, v1, v12 neg_lo:[1,1,0]
	;; [unrolled: 1-line block ×4, first 2 shown]
	s_and_not1_b32 exec_lo, exec_lo, s3
	s_cbranch_execnz .LBB60_37
; %bb.38:
	s_or_b32 exec_lo, exec_lo, s3
.LBB60_39:
	s_delay_alu instid0(SALU_CYCLE_1)
	s_or_b32 exec_lo, exec_lo, s2
.LBB60_40:
	s_delay_alu instid0(SALU_CYCLE_1)
	s_or_b32 exec_lo, exec_lo, s5
.LBB60_41:
	v_mbcnt_lo_u32_b32 v0, -1, 0
	s_mov_b32 s2, -1
	s_delay_alu instid0(VALU_DEP_1) | instskip(NEXT) | instid1(VALU_DEP_1)
	v_xor_b32_e32 v1, 2, v0
	v_cmp_gt_i32_e32 vcc_lo, 32, v1
	v_cndmask_b32_e32 v1, v0, v1, vcc_lo
	s_delay_alu instid0(VALU_DEP_1)
	v_lshlrev_b32_e32 v1, 2, v1
	ds_bpermute_b32 v2, v1, v9
	ds_bpermute_b32 v4, v1, v12
	;; [unrolled: 1-line block ×4, first 2 shown]
	v_xor_b32_e32 v1, 1, v0
	s_delay_alu instid0(VALU_DEP_1) | instskip(SKIP_2) | instid1(VALU_DEP_2)
	v_cmp_gt_i32_e32 vcc_lo, 32, v1
	v_cndmask_b32_e32 v0, v0, v1, vcc_lo
	v_cmp_eq_u32_e32 vcc_lo, 3, v8
	v_lshlrev_b32_e32 v13, 2, v0
	s_waitcnt lgkmcnt(0)
	v_add_nc_u32_e32 v0, v2, v9
	v_add_nc_u32_e32 v1, v4, v12
	;; [unrolled: 1-line block ×4, first 2 shown]
	ds_bpermute_b32 v5, v13, v0
	ds_bpermute_b32 v6, v13, v1
	ds_bpermute_b32 v7, v13, v2
	ds_bpermute_b32 v9, v13, v4
	s_and_b32 exec_lo, exec_lo, vcc_lo
	s_cbranch_execz .LBB60_14
; %bb.42:
	s_load_b64 s[0:1], s[0:1], 0x50
	s_waitcnt lgkmcnt(0)
	v_add_nc_u32_e32 v0, v5, v0
	v_add_nc_u32_e32 v1, v6, v1
	;; [unrolled: 1-line block ×4, first 2 shown]
	v_lshlrev_b32_e32 v5, 2, v3
	v_mul_lo_u32 v0, v0, s13
	v_mul_lo_u32 v1, v1, s13
	;; [unrolled: 1-line block ×4, first 2 shown]
	s_cmp_eq_u32 s14, 0
	s_cbranch_scc1 .LBB60_44
; %bb.43:
	v_ashrrev_i32_e32 v6, 31, v5
	s_mov_b32 s2, 0
	s_delay_alu instid0(VALU_DEP_1) | instskip(NEXT) | instid1(VALU_DEP_1)
	v_lshlrev_b64 v[6:7], 2, v[5:6]
	v_add_co_u32 v13, vcc_lo, s0, v6
	s_delay_alu instid0(VALU_DEP_2)
	v_add_co_ci_u32_e32 v14, vcc_lo, s1, v7, vcc_lo
	global_load_b128 v[6:9], v[13:14], off
	s_waitcnt vmcnt(0)
	v_mad_u64_u32 v[15:16], null, v9, s14, v[4:5]
	v_mad_u64_u32 v[9:10], null, v6, s14, v[0:1]
	;; [unrolled: 1-line block ×4, first 2 shown]
	s_delay_alu instid0(VALU_DEP_4)
	v_mov_b32_e32 v12, v15
	global_store_b128 v[13:14], v[9:12], off
.LBB60_44:
	s_and_not1_b32 vcc_lo, exec_lo, s2
	s_cbranch_vccnz .LBB60_14
; %bb.45:
	v_ashrrev_i32_e32 v6, 31, v5
	s_delay_alu instid0(VALU_DEP_2) | instskip(NEXT) | instid1(VALU_DEP_2)
	v_mov_b32_e32 v3, v4
	v_lshlrev_b64 v[5:6], 2, v[5:6]
	s_delay_alu instid0(VALU_DEP_1) | instskip(NEXT) | instid1(VALU_DEP_2)
	v_add_co_u32 v5, vcc_lo, s0, v5
	v_add_co_ci_u32_e32 v6, vcc_lo, s1, v6, vcc_lo
	global_store_b128 v[5:6], v[0:3], off
	s_nop 0
	s_sendmsg sendmsg(MSG_DEALLOC_VGPRS)
	s_endpgm
	.section	.rodata,"a",@progbits
	.p2align	6, 0x0
	.amdhsa_kernel _ZN9rocsparseL18bsrxmvn_4x4_kernelILj128ELj4EiiiaaiEEvT3_20rocsparse_direction_NS_24const_host_device_scalarIT1_EES1_PKS1_PKT2_SA_S7_PKT4_PKT5_S5_PT6_21rocsparse_index_base_b
		.amdhsa_group_segment_fixed_size 0
		.amdhsa_private_segment_fixed_size 0
		.amdhsa_kernarg_size 96
		.amdhsa_user_sgpr_count 15
		.amdhsa_user_sgpr_dispatch_ptr 0
		.amdhsa_user_sgpr_queue_ptr 0
		.amdhsa_user_sgpr_kernarg_segment_ptr 1
		.amdhsa_user_sgpr_dispatch_id 0
		.amdhsa_user_sgpr_private_segment_size 0
		.amdhsa_wavefront_size32 1
		.amdhsa_uses_dynamic_stack 0
		.amdhsa_enable_private_segment 0
		.amdhsa_system_sgpr_workgroup_id_x 1
		.amdhsa_system_sgpr_workgroup_id_y 0
		.amdhsa_system_sgpr_workgroup_id_z 0
		.amdhsa_system_sgpr_workgroup_info 0
		.amdhsa_system_vgpr_workitem_id 0
		.amdhsa_next_free_vgpr 60
		.amdhsa_next_free_sgpr 17
		.amdhsa_reserve_vcc 1
		.amdhsa_float_round_mode_32 0
		.amdhsa_float_round_mode_16_64 0
		.amdhsa_float_denorm_mode_32 3
		.amdhsa_float_denorm_mode_16_64 3
		.amdhsa_dx10_clamp 1
		.amdhsa_ieee_mode 1
		.amdhsa_fp16_overflow 0
		.amdhsa_workgroup_processor_mode 1
		.amdhsa_memory_ordered 1
		.amdhsa_forward_progress 0
		.amdhsa_shared_vgpr_count 0
		.amdhsa_exception_fp_ieee_invalid_op 0
		.amdhsa_exception_fp_denorm_src 0
		.amdhsa_exception_fp_ieee_div_zero 0
		.amdhsa_exception_fp_ieee_overflow 0
		.amdhsa_exception_fp_ieee_underflow 0
		.amdhsa_exception_fp_ieee_inexact 0
		.amdhsa_exception_int_div_zero 0
	.end_amdhsa_kernel
	.section	.text._ZN9rocsparseL18bsrxmvn_4x4_kernelILj128ELj4EiiiaaiEEvT3_20rocsparse_direction_NS_24const_host_device_scalarIT1_EES1_PKS1_PKT2_SA_S7_PKT4_PKT5_S5_PT6_21rocsparse_index_base_b,"axG",@progbits,_ZN9rocsparseL18bsrxmvn_4x4_kernelILj128ELj4EiiiaaiEEvT3_20rocsparse_direction_NS_24const_host_device_scalarIT1_EES1_PKS1_PKT2_SA_S7_PKT4_PKT5_S5_PT6_21rocsparse_index_base_b,comdat
.Lfunc_end60:
	.size	_ZN9rocsparseL18bsrxmvn_4x4_kernelILj128ELj4EiiiaaiEEvT3_20rocsparse_direction_NS_24const_host_device_scalarIT1_EES1_PKS1_PKT2_SA_S7_PKT4_PKT5_S5_PT6_21rocsparse_index_base_b, .Lfunc_end60-_ZN9rocsparseL18bsrxmvn_4x4_kernelILj128ELj4EiiiaaiEEvT3_20rocsparse_direction_NS_24const_host_device_scalarIT1_EES1_PKS1_PKT2_SA_S7_PKT4_PKT5_S5_PT6_21rocsparse_index_base_b
                                        ; -- End function
	.section	.AMDGPU.csdata,"",@progbits
; Kernel info:
; codeLenInByte = 3728
; NumSgprs: 19
; NumVgprs: 60
; ScratchSize: 0
; MemoryBound: 0
; FloatMode: 240
; IeeeMode: 1
; LDSByteSize: 0 bytes/workgroup (compile time only)
; SGPRBlocks: 2
; VGPRBlocks: 7
; NumSGPRsForWavesPerEU: 19
; NumVGPRsForWavesPerEU: 60
; Occupancy: 16
; WaveLimiterHint : 1
; COMPUTE_PGM_RSRC2:SCRATCH_EN: 0
; COMPUTE_PGM_RSRC2:USER_SGPR: 15
; COMPUTE_PGM_RSRC2:TRAP_HANDLER: 0
; COMPUTE_PGM_RSRC2:TGID_X_EN: 1
; COMPUTE_PGM_RSRC2:TGID_Y_EN: 0
; COMPUTE_PGM_RSRC2:TGID_Z_EN: 0
; COMPUTE_PGM_RSRC2:TIDIG_COMP_CNT: 0
	.section	.text._ZN9rocsparseL18bsrxmvn_4x4_kernelILj128ELj8EiiiaaiEEvT3_20rocsparse_direction_NS_24const_host_device_scalarIT1_EES1_PKS1_PKT2_SA_S7_PKT4_PKT5_S5_PT6_21rocsparse_index_base_b,"axG",@progbits,_ZN9rocsparseL18bsrxmvn_4x4_kernelILj128ELj8EiiiaaiEEvT3_20rocsparse_direction_NS_24const_host_device_scalarIT1_EES1_PKS1_PKT2_SA_S7_PKT4_PKT5_S5_PT6_21rocsparse_index_base_b,comdat
	.globl	_ZN9rocsparseL18bsrxmvn_4x4_kernelILj128ELj8EiiiaaiEEvT3_20rocsparse_direction_NS_24const_host_device_scalarIT1_EES1_PKS1_PKT2_SA_S7_PKT4_PKT5_S5_PT6_21rocsparse_index_base_b ; -- Begin function _ZN9rocsparseL18bsrxmvn_4x4_kernelILj128ELj8EiiiaaiEEvT3_20rocsparse_direction_NS_24const_host_device_scalarIT1_EES1_PKS1_PKT2_SA_S7_PKT4_PKT5_S5_PT6_21rocsparse_index_base_b
	.p2align	8
	.type	_ZN9rocsparseL18bsrxmvn_4x4_kernelILj128ELj8EiiiaaiEEvT3_20rocsparse_direction_NS_24const_host_device_scalarIT1_EES1_PKS1_PKT2_SA_S7_PKT4_PKT5_S5_PT6_21rocsparse_index_base_b,@function
_ZN9rocsparseL18bsrxmvn_4x4_kernelILj128ELj8EiiiaaiEEvT3_20rocsparse_direction_NS_24const_host_device_scalarIT1_EES1_PKS1_PKT2_SA_S7_PKT4_PKT5_S5_PT6_21rocsparse_index_base_b: ; @_ZN9rocsparseL18bsrxmvn_4x4_kernelILj128ELj8EiiiaaiEEvT3_20rocsparse_direction_NS_24const_host_device_scalarIT1_EES1_PKS1_PKT2_SA_S7_PKT4_PKT5_S5_PT6_21rocsparse_index_base_b
; %bb.0:
	s_clause 0x1
	s_load_b64 s[12:13], s[0:1], 0x58
	s_load_b64 s[4:5], s[0:1], 0x8
	s_mov_b32 s7, -1
	s_waitcnt lgkmcnt(0)
	s_bitcmp1_b32 s13, 0
                                        ; implicit-def: $sgpr13
	s_cselect_b32 s2, -1, 0
	s_delay_alu instid0(SALU_CYCLE_1) | instskip(NEXT) | instid1(SALU_CYCLE_1)
	s_xor_b32 s6, s2, -1
	s_and_b32 vcc_lo, exec_lo, s6
	s_cbranch_vccnz .LBB61_4
; %bb.1:
	s_load_b64 s[2:3], s[0:1], 0x48
	s_and_not1_b32 vcc_lo, exec_lo, s7
	s_cbranch_vccz .LBB61_5
.LBB61_2:
	s_and_b32 vcc_lo, exec_lo, s6
	s_cbranch_vccz .LBB61_6
.LBB61_3:
	s_waitcnt lgkmcnt(0)
	s_load_b32 s14, s[2:3], 0x0
	s_cbranch_execz .LBB61_7
	s_branch .LBB61_8
.LBB61_4:
	s_load_b32 s13, s[4:5], 0x0
	s_load_b64 s[2:3], s[0:1], 0x48
	s_cbranch_execnz .LBB61_2
.LBB61_5:
	s_waitcnt lgkmcnt(0)
	s_mov_b32 s13, s4
	s_and_b32 vcc_lo, exec_lo, s6
	s_cbranch_vccnz .LBB61_3
.LBB61_6:
	s_waitcnt lgkmcnt(0)
                                        ; implicit-def: $sgpr14
.LBB61_7:
	s_waitcnt lgkmcnt(0)
	s_mov_b32 s14, s2
.LBB61_8:
	s_cmp_lg_u32 s13, 0
	s_mov_b32 s6, 0
	s_cselect_b32 s2, -1, 0
	s_waitcnt lgkmcnt(0)
	s_cmp_lg_u32 s14, 1
	s_cselect_b32 s3, -1, 0
	s_delay_alu instid0(SALU_CYCLE_1) | instskip(NEXT) | instid1(SALU_CYCLE_1)
	s_or_b32 s2, s2, s3
	s_and_not1_b32 vcc_lo, exec_lo, s2
	s_cbranch_vccnz .LBB61_14
; %bb.9:
	s_clause 0x1
	s_load_b64 s[4:5], s[0:1], 0x18
	s_load_b64 s[2:3], s[0:1], 0x0
	v_lshrrev_b32_e32 v1, 3, v0
	s_delay_alu instid0(VALU_DEP_1)
	v_lshl_or_b32 v3, s15, 4, v1
	s_waitcnt lgkmcnt(0)
	s_cmp_lg_u64 s[4:5], 0
	s_cbranch_scc0 .LBB61_15
; %bb.10:
	s_load_b32 s6, s[0:1], 0x10
	s_mov_b32 s7, 0
                                        ; implicit-def: $vgpr1
	s_waitcnt lgkmcnt(0)
	v_cmp_gt_i32_e32 vcc_lo, s6, v3
	s_mov_b32 s6, 0
	s_and_saveexec_b32 s8, vcc_lo
	s_delay_alu instid0(SALU_CYCLE_1)
	s_xor_b32 s8, exec_lo, s8
	s_cbranch_execz .LBB61_12
; %bb.11:
	v_ashrrev_i32_e32 v4, 31, v3
	s_mov_b32 s6, exec_lo
	s_delay_alu instid0(VALU_DEP_1) | instskip(NEXT) | instid1(VALU_DEP_1)
	v_lshlrev_b64 v[1:2], 2, v[3:4]
	v_add_co_u32 v1, vcc_lo, s4, v1
	s_delay_alu instid0(VALU_DEP_2)
	v_add_co_ci_u32_e32 v2, vcc_lo, s5, v2, vcc_lo
	global_load_b32 v1, v[1:2], off
	s_waitcnt vmcnt(0)
	v_subrev_nc_u32_e32 v1, s12, v1
.LBB61_12:
	s_or_b32 exec_lo, exec_lo, s8
	s_delay_alu instid0(SALU_CYCLE_1)
	s_and_b32 vcc_lo, exec_lo, s7
	s_cbranch_vccz .LBB61_16
.LBB61_13:
	v_cmp_gt_i32_e32 vcc_lo, s2, v3
	s_and_not1_b32 s2, s6, exec_lo
	s_and_b32 s4, vcc_lo, exec_lo
	s_delay_alu instid0(SALU_CYCLE_1) | instskip(NEXT) | instid1(SALU_CYCLE_1)
	s_or_b32 s6, s2, s4
	s_and_saveexec_b32 s2, s6
	s_cbranch_execnz .LBB61_17
.LBB61_14:
	s_nop 0
	s_sendmsg sendmsg(MSG_DEALLOC_VGPRS)
	s_endpgm
.LBB61_15:
                                        ; implicit-def: $vgpr1
	s_cbranch_execnz .LBB61_13
.LBB61_16:
	s_delay_alu instid0(VALU_DEP_1)
	v_mov_b32_e32 v3, v1
	s_and_saveexec_b32 s2, s6
	s_cbranch_execz .LBB61_14
.LBB61_17:
	s_load_b256 s[4:11], s[0:1], 0x20
	s_delay_alu instid0(VALU_DEP_1) | instskip(SKIP_1) | instid1(VALU_DEP_2)
	v_ashrrev_i32_e32 v4, 31, v3
	v_and_b32_e32 v8, 7, v0
	v_lshlrev_b64 v[1:2], 2, v[3:4]
	s_waitcnt lgkmcnt(0)
	s_delay_alu instid0(VALU_DEP_1) | instskip(NEXT) | instid1(VALU_DEP_2)
	v_add_co_u32 v4, vcc_lo, s4, v1
	v_add_co_ci_u32_e32 v5, vcc_lo, s5, v2, vcc_lo
	v_add_co_u32 v1, vcc_lo, s6, v1
	v_add_co_ci_u32_e32 v2, vcc_lo, s7, v2, vcc_lo
	global_load_b32 v13, v[4:5], off
	v_add_co_u32 v4, vcc_lo, v4, 4
	v_add_co_ci_u32_e32 v5, vcc_lo, 0, v5, vcc_lo
	s_cmp_eq_u64 s[6:7], 0
	s_load_b64 s[6:7], s[0:1], 0x40
	s_cselect_b32 vcc_lo, -1, 0
	s_cmp_eq_u32 s3, 1
	v_dual_cndmask_b32 v2, v2, v5 :: v_dual_cndmask_b32 v1, v1, v4
	global_load_b32 v4, v[1:2], off
	s_waitcnt vmcnt(1)
	v_subrev_nc_u32_e32 v0, s12, v13
	s_delay_alu instid0(VALU_DEP_1) | instskip(NEXT) | instid1(VALU_DEP_1)
	v_add_nc_u32_e32 v0, v0, v8
	v_ashrrev_i32_e32 v1, 31, v0
	s_waitcnt vmcnt(0)
	v_subrev_nc_u32_e32 v14, s12, v4
	s_delay_alu instid0(VALU_DEP_2) | instskip(NEXT) | instid1(VALU_DEP_2)
	v_lshlrev_b64 v[1:2], 4, v[0:1]
	v_cmp_lt_i32_e64 s2, v0, v14
	s_delay_alu instid0(VALU_DEP_2) | instskip(NEXT) | instid1(VALU_DEP_3)
	v_add_co_u32 v4, vcc_lo, s10, v1
	v_add_co_ci_u32_e32 v5, vcc_lo, s11, v2, vcc_lo
	s_cbranch_scc1 .LBB61_29
; %bb.18:
	v_dual_mov_b32 v10, 0 :: v_dual_mov_b32 v11, 0
	v_dual_mov_b32 v12, 0 :: v_dual_mov_b32 v9, 0
	s_mov_b32 s10, 0
	s_and_saveexec_b32 s11, s2
	s_cbranch_execz .LBB61_28
; %bb.19:
	v_dual_mov_b32 v12, 0 :: v_dual_add_nc_u32 v1, v13, v8
	v_not_b32_e32 v2, v13
	v_mov_b32_e32 v9, 0
	v_mov_b32_e32 v11, 0
	s_delay_alu instid0(VALU_DEP_4) | instskip(SKIP_2) | instid1(VALU_DEP_1)
	v_subrev_nc_u32_e32 v1, s12, v1
	s_mov_b32 s16, 0
	s_mov_b32 s15, exec_lo
	v_dual_mov_b32 v10, 0 :: v_dual_add_nc_u32 v1, 8, v1
	s_delay_alu instid0(VALU_DEP_1) | instskip(NEXT) | instid1(VALU_DEP_1)
	v_max_i32_e32 v1, v1, v14
	v_add3_u32 v1, v1, s12, v2
	s_delay_alu instid0(VALU_DEP_1) | instskip(SKIP_1) | instid1(VALU_DEP_2)
	v_sub_nc_u32_e32 v2, v1, v8
	v_mov_b32_e32 v1, v0
	v_lshrrev_b32_e32 v6, 3, v2
	s_delay_alu instid0(VALU_DEP_1)
	v_add_nc_u32_e32 v15, 1, v6
	v_dual_mov_b32 v7, v5 :: v_dual_mov_b32 v6, v4
	v_cmpx_lt_u32_e32 23, v2
	s_cbranch_execz .LBB61_23
; %bb.20:
	s_delay_alu instid0(VALU_DEP_3)
	v_dual_mov_b32 v7, v5 :: v_dual_and_b32 v16, 0x3ffffffc, v15
	v_dual_mov_b32 v10, 0 :: v_dual_mov_b32 v1, v0
	v_dual_mov_b32 v6, v4 :: v_dual_mov_b32 v11, 0
	;; [unrolled: 1-line block ×3, first 2 shown]
.LBB61_21:                              ; =>This Inner Loop Header: Depth=1
	s_delay_alu instid0(VALU_DEP_3) | instskip(SKIP_1) | instid1(VALU_DEP_2)
	v_ashrrev_i32_e32 v2, 31, v1
	v_add_nc_u32_e32 v16, -4, v16
	v_lshlrev_b64 v[17:18], 2, v[1:2]
	v_add_nc_u32_e32 v1, 32, v1
	s_delay_alu instid0(VALU_DEP_2) | instskip(NEXT) | instid1(VALU_DEP_3)
	v_add_co_u32 v17, vcc_lo, s8, v17
	v_add_co_ci_u32_e32 v18, vcc_lo, s9, v18, vcc_lo
	s_clause 0x3
	global_load_b32 v2, v[17:18], off
	global_load_b32 v33, v[17:18], off offset:32
	global_load_b32 v34, v[17:18], off offset:64
	;; [unrolled: 1-line block ×3, first 2 shown]
	s_clause 0x3
	global_load_b128 v[17:20], v[6:7], off
	global_load_b128 v[21:24], v[6:7], off offset:128
	global_load_b128 v[25:28], v[6:7], off offset:256
	;; [unrolled: 1-line block ×3, first 2 shown]
	s_waitcnt vmcnt(7)
	v_subrev_nc_u32_e32 v2, s12, v2
	s_waitcnt vmcnt(6)
	v_subrev_nc_u32_e32 v33, s12, v33
	;; [unrolled: 2-line block ×4, first 2 shown]
	v_lshlrev_b32_e32 v2, 2, v2
	v_lshlrev_b32_e32 v33, 2, v33
	;; [unrolled: 1-line block ×3, first 2 shown]
	s_delay_alu instid0(VALU_DEP_4)
	v_lshlrev_b32_e32 v36, 2, v35
	s_waitcnt vmcnt(1)
	v_bfe_i32 v44, v25, 0, 8
	v_ashrrev_i32_e32 v38, 31, v2
	v_ashrrev_i32_e32 v41, 31, v33
	;; [unrolled: 1-line block ×4, first 2 shown]
	s_waitcnt lgkmcnt(0)
	v_add_co_u32 v39, s5, s6, v2
	v_add_co_u32 v33, vcc_lo, s6, v33
	v_add_co_u32 v35, s3, s6, v34
	v_add_co_ci_u32_e64 v40, s5, s7, v38, s5
	v_add_co_u32 v37, s4, s6, v36
	v_add_co_ci_u32_e32 v34, vcc_lo, s7, v41, vcc_lo
	v_add_co_ci_u32_e64 v36, vcc_lo, s7, v42, s3
	v_add_co_ci_u32_e64 v38, vcc_lo, s7, v43, s4
	s_clause 0x3
	global_load_b32 v2, v[39:40], off
	global_load_b32 v33, v[33:34], off
	;; [unrolled: 1-line block ×4, first 2 shown]
	v_lshrrev_b16 v36, 8, v17
	v_ashrrev_i32_e32 v37, 24, v17
	v_bfe_i32 v38, v17, 0, 8
	v_bfe_i32 v17, v17, 16, 8
	v_lshrrev_b16 v39, 8, v21
	v_ashrrev_i32_e32 v40, 24, v21
	v_bfe_i32 v41, v21, 0, 8
	v_bfe_i32 v21, v21, 16, 8
	;; [unrolled: 1-line block ×3, first 2 shown]
	v_lshrrev_b16 v42, 8, v25
	v_ashrrev_i32_e32 v43, 24, v25
	v_bfe_i32 v25, v25, 16, 8
	v_bfe_i32 v39, v39, 0, 8
	s_waitcnt vmcnt(4)
	v_lshrrev_b16 v45, 8, v29
	v_ashrrev_i32_e32 v46, 24, v29
	v_bfe_i32 v47, v29, 0, 8
	v_bfe_i32 v29, v29, 16, 8
	;; [unrolled: 1-line block ×4, first 2 shown]
	v_add_co_u32 v6, vcc_lo, 0x200, v6
	v_add_co_ci_u32_e32 v7, vcc_lo, 0, v7, vcc_lo
	v_cmp_eq_u32_e32 vcc_lo, 0, v16
	s_or_b32 s16, vcc_lo, s16
	s_waitcnt vmcnt(3)
	v_lshrrev_b16 v48, 8, v2
	v_ashrrev_i32_e32 v50, 24, v2
	v_bfe_i32 v51, v2, 16, 8
	v_bfe_i32 v49, v2, 0, 8
	v_dot4_i32_iu8 v12, v2, v18, v12 neg_lo:[1,1,0]
	v_dot4_i32_iu8 v11, v2, v19, v11 neg_lo:[1,1,0]
	;; [unrolled: 1-line block ×3, first 2 shown]
	s_waitcnt vmcnt(2)
	v_lshrrev_b16 v10, 8, v33
	v_ashrrev_i32_e32 v19, 24, v33
	v_bfe_i32 v20, v33, 16, 8
	v_bfe_i32 v48, v48, 0, 8
	v_mul_i32_i24_e32 v17, v51, v17
	v_mul_i32_i24_e32 v37, v50, v37
	v_bfe_i32 v18, v33, 0, 8
	s_waitcnt vmcnt(1)
	v_lshrrev_b16 v52, 8, v34
	v_ashrrev_i32_e32 v54, 24, v34
	v_bfe_i32 v55, v34, 16, 8
	v_bfe_i32 v10, v10, 0, 8
	v_mul_i32_i24_e32 v20, v20, v21
	v_mul_i32_i24_e32 v19, v19, v40
	v_dot4_i32_iu8 v2, v33, v24, v2 neg_lo:[1,1,0]
	v_mad_i32_i24 v17, v49, v38, v17
	v_mad_i32_i24 v24, v48, v36, v37
	v_bfe_i32 v53, v34, 0, 8
	s_waitcnt vmcnt(0)
	v_lshrrev_b16 v56, 8, v35
	v_ashrrev_i32_e32 v58, 24, v35
	v_bfe_i32 v59, v35, 16, 8
	v_dot4_i32_iu8 v12, v33, v22, v12 neg_lo:[1,1,0]
	v_dot4_i32_iu8 v11, v33, v23, v11 neg_lo:[1,1,0]
	v_bfe_i32 v21, v52, 0, 8
	v_mul_i32_i24_e32 v22, v55, v25
	v_mul_i32_i24_e32 v23, v54, v43
	v_mad_i32_i24 v18, v18, v41, v20
	v_mad_i32_i24 v10, v10, v39, v19
	v_add3_u32 v9, v17, v24, v9
	v_bfe_i32 v57, v35, 0, 8
	v_bfe_i32 v25, v56, 0, 8
	v_mul_i32_i24_e32 v29, v59, v29
	v_mul_i32_i24_e32 v17, v58, v46
	v_mad_i32_i24 v19, v53, v44, v22
	v_mad_i32_i24 v20, v21, v42, v23
	v_add3_u32 v9, v18, v10, v9
	v_dot4_i32_iu8 v12, v34, v26, v12 neg_lo:[1,1,0]
	v_dot4_i32_iu8 v10, v34, v27, v11 neg_lo:[1,1,0]
	;; [unrolled: 1-line block ×3, first 2 shown]
	v_mad_i32_i24 v18, v57, v47, v29
	v_mad_i32_i24 v17, v25, v45, v17
	v_add3_u32 v9, v19, v20, v9
	v_dot4_i32_iu8 v12, v35, v30, v12 neg_lo:[1,1,0]
	v_dot4_i32_iu8 v11, v35, v31, v10 neg_lo:[1,1,0]
	v_dot4_i32_iu8 v10, v35, v32, v2 neg_lo:[1,1,0]
	s_delay_alu instid0(VALU_DEP_4)
	v_add3_u32 v9, v18, v17, v9
	s_and_not1_b32 exec_lo, exec_lo, s16
	s_cbranch_execnz .LBB61_21
; %bb.22:
	s_or_b32 exec_lo, exec_lo, s16
.LBB61_23:
	s_delay_alu instid0(SALU_CYCLE_1) | instskip(SKIP_3) | instid1(VALU_DEP_1)
	s_or_b32 exec_lo, exec_lo, s15
	v_and_b32_e32 v2, 3, v15
	s_mov_b32 s4, 0
	s_mov_b32 s3, exec_lo
	v_cmpx_ne_u32_e32 0, v2
	s_cbranch_execz .LBB61_27
; %bb.24:
	v_lshlrev_b32_e32 v15, 4, v2
.LBB61_25:                              ; =>This Inner Loop Header: Depth=1
	v_ashrrev_i32_e32 v2, 31, v1
	s_delay_alu instid0(VALU_DEP_2) | instskip(NEXT) | instid1(VALU_DEP_2)
	v_add_nc_u32_e32 v15, -16, v15
	v_lshlrev_b64 v[16:17], 2, v[1:2]
	v_add_nc_u32_e32 v1, 8, v1
	s_delay_alu instid0(VALU_DEP_2) | instskip(NEXT) | instid1(VALU_DEP_3)
	v_add_co_u32 v16, vcc_lo, s8, v16
	v_add_co_ci_u32_e32 v17, vcc_lo, s9, v17, vcc_lo
	global_load_b32 v2, v[16:17], off
	s_waitcnt vmcnt(0)
	v_subrev_nc_u32_e32 v2, s12, v2
	s_delay_alu instid0(VALU_DEP_1) | instskip(NEXT) | instid1(VALU_DEP_1)
	v_lshlrev_b32_e32 v2, 2, v2
	v_ashrrev_i32_e32 v16, 31, v2
	s_waitcnt lgkmcnt(0)
	v_add_co_u32 v20, vcc_lo, s6, v2
	s_delay_alu instid0(VALU_DEP_2)
	v_add_co_ci_u32_e32 v21, vcc_lo, s7, v16, vcc_lo
	global_load_b128 v[16:19], v[6:7], off
	global_load_b32 v2, v[20:21], off
	v_add_co_u32 v6, vcc_lo, 0x80, v6
	v_add_co_ci_u32_e32 v7, vcc_lo, 0, v7, vcc_lo
	v_cmp_eq_u32_e32 vcc_lo, 0, v15
	s_or_b32 s4, vcc_lo, s4
	s_waitcnt vmcnt(1)
	v_lshrrev_b16 v20, 8, v16
	v_ashrrev_i32_e32 v21, 24, v16
	v_bfe_i32 v22, v16, 0, 8
	v_bfe_i32 v16, v16, 16, 8
	s_waitcnt vmcnt(0)
	v_lshrrev_b16 v23, 8, v2
	v_bfe_i32 v24, v2, 16, 8
	v_ashrrev_i32_e32 v25, 24, v2
	v_bfe_i32 v20, v20, 0, 8
	v_bfe_i32 v26, v2, 0, 8
	;; [unrolled: 1-line block ×3, first 2 shown]
	v_mul_i32_i24_e32 v16, v24, v16
	v_mul_i32_i24_e32 v21, v25, v21
	v_dot4_i32_iu8 v12, v2, v17, v12 neg_lo:[1,1,0]
	v_dot4_i32_iu8 v11, v2, v18, v11 neg_lo:[1,1,0]
	;; [unrolled: 1-line block ×3, first 2 shown]
	v_mad_i32_i24 v16, v26, v22, v16
	v_mad_i32_i24 v20, v23, v20, v21
	s_delay_alu instid0(VALU_DEP_1)
	v_add3_u32 v9, v16, v20, v9
	s_and_not1_b32 exec_lo, exec_lo, s4
	s_cbranch_execnz .LBB61_25
; %bb.26:
	s_or_b32 exec_lo, exec_lo, s4
.LBB61_27:
	s_delay_alu instid0(SALU_CYCLE_1)
	s_or_b32 exec_lo, exec_lo, s3
.LBB61_28:
	s_delay_alu instid0(SALU_CYCLE_1) | instskip(NEXT) | instid1(SALU_CYCLE_1)
	s_or_b32 exec_lo, exec_lo, s11
	s_and_not1_b32 vcc_lo, exec_lo, s10
	s_cbranch_vccz .LBB61_30
	s_branch .LBB61_41
.LBB61_29:
                                        ; implicit-def: $vgpr10
                                        ; implicit-def: $vgpr11
                                        ; implicit-def: $vgpr12
                                        ; implicit-def: $vgpr9
.LBB61_30:
	v_dual_mov_b32 v10, 0 :: v_dual_mov_b32 v11, 0
	v_dual_mov_b32 v12, 0 :: v_dual_mov_b32 v9, 0
	s_and_saveexec_b32 s5, s2
	s_cbranch_execz .LBB61_40
; %bb.31:
	v_dual_mov_b32 v12, 0 :: v_dual_add_nc_u32 v1, v13, v8
	v_not_b32_e32 v2, v13
	v_mov_b32_e32 v11, 0
	s_mov_b32 s11, 0
	s_delay_alu instid0(VALU_DEP_3) | instskip(SKIP_1) | instid1(VALU_DEP_1)
	v_subrev_nc_u32_e32 v1, s12, v1
	s_mov_b32 s10, exec_lo
	v_dual_mov_b32 v10, 0 :: v_dual_add_nc_u32 v1, 8, v1
	s_delay_alu instid0(VALU_DEP_1) | instskip(NEXT) | instid1(VALU_DEP_1)
	v_max_i32_e32 v1, v1, v14
	v_add3_u32 v1, v1, s12, v2
	s_delay_alu instid0(VALU_DEP_1) | instskip(NEXT) | instid1(VALU_DEP_1)
	v_sub_nc_u32_e32 v1, v1, v8
	v_lshrrev_b32_e32 v2, 3, v1
	s_delay_alu instid0(VALU_DEP_1)
	v_dual_mov_b32 v9, 0 :: v_dual_add_nc_u32 v2, 1, v2
	v_cmpx_lt_u32_e32 23, v1
	s_cbranch_execz .LBB61_35
; %bb.32:
	s_delay_alu instid0(VALU_DEP_2)
	v_dual_mov_b32 v11, 0 :: v_dual_and_b32 v6, 0x3ffffffc, v2
	v_dual_mov_b32 v10, 0 :: v_dual_mov_b32 v9, 0
	v_mov_b32_e32 v12, 0
.LBB61_33:                              ; =>This Inner Loop Header: Depth=1
	v_ashrrev_i32_e32 v1, 31, v0
	s_delay_alu instid0(VALU_DEP_4) | instskip(NEXT) | instid1(VALU_DEP_2)
	v_add_nc_u32_e32 v6, -4, v6
	v_lshlrev_b64 v[13:14], 2, v[0:1]
	v_add_nc_u32_e32 v0, 32, v0
	s_delay_alu instid0(VALU_DEP_2) | instskip(NEXT) | instid1(VALU_DEP_3)
	v_add_co_u32 v13, vcc_lo, s8, v13
	v_add_co_ci_u32_e32 v14, vcc_lo, s9, v14, vcc_lo
	s_clause 0x3
	global_load_b32 v1, v[13:14], off
	global_load_b32 v7, v[13:14], off offset:32
	global_load_b32 v29, v[13:14], off offset:64
	;; [unrolled: 1-line block ×3, first 2 shown]
	s_clause 0x3
	global_load_b128 v[13:16], v[4:5], off
	global_load_b128 v[17:20], v[4:5], off offset:128
	global_load_b128 v[21:24], v[4:5], off offset:256
	;; [unrolled: 1-line block ×3, first 2 shown]
	s_waitcnt vmcnt(7)
	v_subrev_nc_u32_e32 v1, s12, v1
	s_waitcnt vmcnt(6)
	v_subrev_nc_u32_e32 v7, s12, v7
	;; [unrolled: 2-line block ×4, first 2 shown]
	v_lshlrev_b32_e32 v1, 2, v1
	v_lshlrev_b32_e32 v7, 2, v7
	;; [unrolled: 1-line block ×3, first 2 shown]
	s_delay_alu instid0(VALU_DEP_4)
	v_lshlrev_b32_e32 v30, 2, v30
	s_waitcnt vmcnt(2)
	v_perm_b32 v38, v20, v19, 0x5010c0c
	v_ashrrev_i32_e32 v32, 31, v1
	s_waitcnt lgkmcnt(0)
	v_add_co_u32 v34, s4, s6, v1
	v_ashrrev_i32_e32 v36, 31, v7
	v_add_co_u32 v29, vcc_lo, s6, v7
	v_add_co_ci_u32_e64 v35, s4, s7, v32, s4
	v_ashrrev_i32_e32 v7, 31, v31
	v_ashrrev_i32_e32 v37, 31, v30
	v_add_co_u32 v33, s3, s6, v30
	v_add_co_ci_u32_e32 v30, vcc_lo, s7, v36, vcc_lo
	global_load_b32 v1, v[34:35], off
	v_add_co_u32 v31, s2, s6, v31
	s_delay_alu instid0(VALU_DEP_1)
	v_add_co_ci_u32_e64 v32, vcc_lo, s7, v7, s2
	global_load_b32 v7, v[29:30], off
	v_add_co_ci_u32_e64 v34, vcc_lo, s7, v37, s3
	s_clause 0x1
	global_load_b32 v29, v[31:32], off
	global_load_b32 v30, v[33:34], off
	v_perm_b32 v31, v14, v13, 0xc0c0400
	v_perm_b32 v32, v16, v15, 0x4000c0c
	;; [unrolled: 1-line block ×15, first 2 shown]
	s_waitcnt vmcnt(5)
	v_perm_b32 v19, v22, v21, 0xc0c0400
	v_perm_b32 v20, v24, v23, 0x4000c0c
	;; [unrolled: 1-line block ×8, first 2 shown]
	s_waitcnt vmcnt(4)
	v_perm_b32 v23, v26, v25, 0xc0c0400
	v_perm_b32 v24, v28, v27, 0x4000c0c
	;; [unrolled: 1-line block ×8, first 2 shown]
	v_or_b32_e32 v27, v32, v31
	v_or_b32_e32 v28, v34, v33
	;; [unrolled: 1-line block ×12, first 2 shown]
	v_add_co_u32 v4, vcc_lo, 0x200, v4
	v_or_b32_e32 v22, v24, v23
	v_or_b32_e32 v23, v46, v45
	v_add_co_ci_u32_e32 v5, vcc_lo, 0, v5, vcc_lo
	v_cmp_eq_u32_e32 vcc_lo, 0, v6
	s_or_b32 s11, vcc_lo, s11
	s_waitcnt vmcnt(3)
	v_dot4_i32_iu8 v9, v1, v27, v9 neg_lo:[1,1,0]
	v_dot4_i32_iu8 v12, v28, v1, v12 neg_lo:[1,1,0]
	;; [unrolled: 1-line block ×4, first 2 shown]
	v_or_b32_e32 v10, v48, v47
	s_waitcnt vmcnt(2)
	v_dot4_i32_iu8 v9, v7, v14, v9 neg_lo:[1,1,0]
	v_dot4_i32_iu8 v12, v15, v7, v12 neg_lo:[1,1,0]
	;; [unrolled: 1-line block ×4, first 2 shown]
	v_or_b32_e32 v7, v26, v25
	s_waitcnt vmcnt(1)
	v_dot4_i32_iu8 v9, v29, v18, v9 neg_lo:[1,1,0]
	v_dot4_i32_iu8 v12, v19, v29, v12 neg_lo:[1,1,0]
	;; [unrolled: 1-line block ×4, first 2 shown]
	s_waitcnt vmcnt(0)
	v_dot4_i32_iu8 v9, v30, v22, v9 neg_lo:[1,1,0]
	v_dot4_i32_iu8 v12, v23, v30, v12 neg_lo:[1,1,0]
	;; [unrolled: 1-line block ×4, first 2 shown]
	s_and_not1_b32 exec_lo, exec_lo, s11
	s_cbranch_execnz .LBB61_33
; %bb.34:
	s_or_b32 exec_lo, exec_lo, s11
.LBB61_35:
	s_delay_alu instid0(SALU_CYCLE_1) | instskip(NEXT) | instid1(VALU_DEP_2)
	s_or_b32 exec_lo, exec_lo, s10
	v_and_b32_e32 v1, 3, v2
	s_mov_b32 s3, 0
	s_mov_b32 s2, exec_lo
	s_delay_alu instid0(VALU_DEP_1)
	v_cmpx_ne_u32_e32 0, v1
	s_cbranch_execz .LBB61_39
; %bb.36:
	v_lshlrev_b32_e32 v2, 4, v1
.LBB61_37:                              ; =>This Inner Loop Header: Depth=1
	v_ashrrev_i32_e32 v1, 31, v0
	global_load_b128 v[13:16], v[4:5], off
	v_add_nc_u32_e32 v2, -16, v2
	v_lshlrev_b64 v[6:7], 2, v[0:1]
	v_add_nc_u32_e32 v0, 8, v0
	s_delay_alu instid0(VALU_DEP_2) | instskip(NEXT) | instid1(VALU_DEP_3)
	v_add_co_u32 v6, vcc_lo, s8, v6
	v_add_co_ci_u32_e32 v7, vcc_lo, s9, v7, vcc_lo
	global_load_b32 v1, v[6:7], off
	s_waitcnt vmcnt(1)
	v_perm_b32 v17, v14, v13, 0xc0c0501
	v_perm_b32 v18, v16, v15, 0x5010c0c
	v_perm_b32 v19, v14, v13, 0xc0c0602
	v_perm_b32 v20, v16, v15, 0x6020c0c
	s_waitcnt vmcnt(0)
	v_subrev_nc_u32_e32 v1, s12, v1
	s_delay_alu instid0(VALU_DEP_1) | instskip(NEXT) | instid1(VALU_DEP_1)
	v_lshlrev_b32_e32 v1, 2, v1
	v_ashrrev_i32_e32 v7, 31, v1
	s_waitcnt lgkmcnt(0)
	v_add_co_u32 v6, vcc_lo, s6, v1
	s_delay_alu instid0(VALU_DEP_2)
	v_add_co_ci_u32_e32 v7, vcc_lo, s7, v7, vcc_lo
	v_add_co_u32 v4, vcc_lo, 0x80, v4
	v_add_co_ci_u32_e32 v5, vcc_lo, 0, v5, vcc_lo
	global_load_b32 v1, v[6:7], off
	v_perm_b32 v6, v14, v13, 0xc0c0400
	v_perm_b32 v7, v16, v15, 0x4000c0c
	;; [unrolled: 1-line block ×4, first 2 shown]
	v_or_b32_e32 v15, v20, v19
	v_cmp_eq_u32_e32 vcc_lo, 0, v2
	v_or_b32_e32 v6, v7, v6
	v_or_b32_e32 v7, v18, v17
	;; [unrolled: 1-line block ×3, first 2 shown]
	s_or_b32 s3, vcc_lo, s3
	s_waitcnt vmcnt(0)
	v_dot4_i32_iu8 v9, v1, v6, v9 neg_lo:[1,1,0]
	v_dot4_i32_iu8 v12, v7, v1, v12 neg_lo:[1,1,0]
	;; [unrolled: 1-line block ×4, first 2 shown]
	s_and_not1_b32 exec_lo, exec_lo, s3
	s_cbranch_execnz .LBB61_37
; %bb.38:
	s_or_b32 exec_lo, exec_lo, s3
.LBB61_39:
	s_delay_alu instid0(SALU_CYCLE_1)
	s_or_b32 exec_lo, exec_lo, s2
.LBB61_40:
	s_delay_alu instid0(SALU_CYCLE_1)
	s_or_b32 exec_lo, exec_lo, s5
.LBB61_41:
	v_mbcnt_lo_u32_b32 v0, -1, 0
	s_mov_b32 s2, -1
	s_delay_alu instid0(VALU_DEP_1) | instskip(SKIP_1) | instid1(VALU_DEP_2)
	v_xor_b32_e32 v1, 4, v0
	v_xor_b32_e32 v6, 2, v0
	v_cmp_gt_i32_e32 vcc_lo, 32, v1
	v_cndmask_b32_e32 v1, v0, v1, vcc_lo
	s_delay_alu instid0(VALU_DEP_3) | instskip(SKIP_1) | instid1(VALU_DEP_1)
	v_cmp_gt_i32_e32 vcc_lo, 32, v6
	v_cndmask_b32_e32 v6, v0, v6, vcc_lo
	v_lshlrev_b32_e32 v6, 2, v6
	s_delay_alu instid0(VALU_DEP_4) | instskip(SKIP_4) | instid1(VALU_DEP_1)
	v_lshlrev_b32_e32 v1, 2, v1
	ds_bpermute_b32 v5, v1, v11
	s_waitcnt lgkmcnt(0)
	v_add_nc_u32_e32 v5, v5, v11
	v_xor_b32_e32 v11, 1, v0
	v_cmp_gt_i32_e32 vcc_lo, 32, v11
	v_cndmask_b32_e32 v0, v0, v11, vcc_lo
	ds_bpermute_b32 v2, v1, v9
	ds_bpermute_b32 v4, v1, v12
	;; [unrolled: 1-line block ×3, first 2 shown]
	v_cmp_eq_u32_e32 vcc_lo, 7, v8
	v_lshlrev_b32_e32 v11, 2, v0
	s_waitcnt lgkmcnt(2)
	v_add_nc_u32_e32 v2, v2, v9
	s_waitcnt lgkmcnt(1)
	v_add_nc_u32_e32 v4, v4, v12
	;; [unrolled: 2-line block ×3, first 2 shown]
	ds_bpermute_b32 v10, v6, v5
	ds_bpermute_b32 v1, v6, v2
	;; [unrolled: 1-line block ×4, first 2 shown]
	s_waitcnt lgkmcnt(2)
	v_add_nc_u32_e32 v0, v1, v2
	s_waitcnt lgkmcnt(1)
	v_add_nc_u32_e32 v1, v9, v4
	v_add_nc_u32_e32 v2, v10, v5
	s_waitcnt lgkmcnt(0)
	v_add_nc_u32_e32 v4, v6, v7
	ds_bpermute_b32 v5, v11, v0
	ds_bpermute_b32 v6, v11, v1
	ds_bpermute_b32 v7, v11, v2
	ds_bpermute_b32 v9, v11, v4
	s_and_b32 exec_lo, exec_lo, vcc_lo
	s_cbranch_execz .LBB61_14
; %bb.42:
	s_load_b64 s[0:1], s[0:1], 0x50
	s_waitcnt lgkmcnt(0)
	v_add_nc_u32_e32 v0, v5, v0
	v_add_nc_u32_e32 v1, v6, v1
	;; [unrolled: 1-line block ×4, first 2 shown]
	v_lshlrev_b32_e32 v5, 2, v3
	v_mul_lo_u32 v0, v0, s13
	v_mul_lo_u32 v1, v1, s13
	;; [unrolled: 1-line block ×4, first 2 shown]
	s_cmp_eq_u32 s14, 0
	s_cbranch_scc1 .LBB61_44
; %bb.43:
	v_ashrrev_i32_e32 v6, 31, v5
	s_mov_b32 s2, 0
	s_delay_alu instid0(VALU_DEP_1) | instskip(NEXT) | instid1(VALU_DEP_1)
	v_lshlrev_b64 v[6:7], 2, v[5:6]
	v_add_co_u32 v13, vcc_lo, s0, v6
	s_delay_alu instid0(VALU_DEP_2)
	v_add_co_ci_u32_e32 v14, vcc_lo, s1, v7, vcc_lo
	global_load_b128 v[6:9], v[13:14], off
	s_waitcnt vmcnt(0)
	v_mad_u64_u32 v[15:16], null, v9, s14, v[4:5]
	v_mad_u64_u32 v[9:10], null, v6, s14, v[0:1]
	;; [unrolled: 1-line block ×4, first 2 shown]
	s_delay_alu instid0(VALU_DEP_4)
	v_mov_b32_e32 v12, v15
	global_store_b128 v[13:14], v[9:12], off
.LBB61_44:
	s_and_not1_b32 vcc_lo, exec_lo, s2
	s_cbranch_vccnz .LBB61_14
; %bb.45:
	v_ashrrev_i32_e32 v6, 31, v5
	s_delay_alu instid0(VALU_DEP_2) | instskip(NEXT) | instid1(VALU_DEP_2)
	v_mov_b32_e32 v3, v4
	v_lshlrev_b64 v[5:6], 2, v[5:6]
	s_delay_alu instid0(VALU_DEP_1) | instskip(NEXT) | instid1(VALU_DEP_2)
	v_add_co_u32 v5, vcc_lo, s0, v5
	v_add_co_ci_u32_e32 v6, vcc_lo, s1, v6, vcc_lo
	global_store_b128 v[5:6], v[0:3], off
	s_nop 0
	s_sendmsg sendmsg(MSG_DEALLOC_VGPRS)
	s_endpgm
	.section	.rodata,"a",@progbits
	.p2align	6, 0x0
	.amdhsa_kernel _ZN9rocsparseL18bsrxmvn_4x4_kernelILj128ELj8EiiiaaiEEvT3_20rocsparse_direction_NS_24const_host_device_scalarIT1_EES1_PKS1_PKT2_SA_S7_PKT4_PKT5_S5_PT6_21rocsparse_index_base_b
		.amdhsa_group_segment_fixed_size 0
		.amdhsa_private_segment_fixed_size 0
		.amdhsa_kernarg_size 96
		.amdhsa_user_sgpr_count 15
		.amdhsa_user_sgpr_dispatch_ptr 0
		.amdhsa_user_sgpr_queue_ptr 0
		.amdhsa_user_sgpr_kernarg_segment_ptr 1
		.amdhsa_user_sgpr_dispatch_id 0
		.amdhsa_user_sgpr_private_segment_size 0
		.amdhsa_wavefront_size32 1
		.amdhsa_uses_dynamic_stack 0
		.amdhsa_enable_private_segment 0
		.amdhsa_system_sgpr_workgroup_id_x 1
		.amdhsa_system_sgpr_workgroup_id_y 0
		.amdhsa_system_sgpr_workgroup_id_z 0
		.amdhsa_system_sgpr_workgroup_info 0
		.amdhsa_system_vgpr_workitem_id 0
		.amdhsa_next_free_vgpr 60
		.amdhsa_next_free_sgpr 17
		.amdhsa_reserve_vcc 1
		.amdhsa_float_round_mode_32 0
		.amdhsa_float_round_mode_16_64 0
		.amdhsa_float_denorm_mode_32 3
		.amdhsa_float_denorm_mode_16_64 3
		.amdhsa_dx10_clamp 1
		.amdhsa_ieee_mode 1
		.amdhsa_fp16_overflow 0
		.amdhsa_workgroup_processor_mode 1
		.amdhsa_memory_ordered 1
		.amdhsa_forward_progress 0
		.amdhsa_shared_vgpr_count 0
		.amdhsa_exception_fp_ieee_invalid_op 0
		.amdhsa_exception_fp_denorm_src 0
		.amdhsa_exception_fp_ieee_div_zero 0
		.amdhsa_exception_fp_ieee_overflow 0
		.amdhsa_exception_fp_ieee_underflow 0
		.amdhsa_exception_fp_ieee_inexact 0
		.amdhsa_exception_int_div_zero 0
	.end_amdhsa_kernel
	.section	.text._ZN9rocsparseL18bsrxmvn_4x4_kernelILj128ELj8EiiiaaiEEvT3_20rocsparse_direction_NS_24const_host_device_scalarIT1_EES1_PKS1_PKT2_SA_S7_PKT4_PKT5_S5_PT6_21rocsparse_index_base_b,"axG",@progbits,_ZN9rocsparseL18bsrxmvn_4x4_kernelILj128ELj8EiiiaaiEEvT3_20rocsparse_direction_NS_24const_host_device_scalarIT1_EES1_PKS1_PKT2_SA_S7_PKT4_PKT5_S5_PT6_21rocsparse_index_base_b,comdat
.Lfunc_end61:
	.size	_ZN9rocsparseL18bsrxmvn_4x4_kernelILj128ELj8EiiiaaiEEvT3_20rocsparse_direction_NS_24const_host_device_scalarIT1_EES1_PKS1_PKT2_SA_S7_PKT4_PKT5_S5_PT6_21rocsparse_index_base_b, .Lfunc_end61-_ZN9rocsparseL18bsrxmvn_4x4_kernelILj128ELj8EiiiaaiEEvT3_20rocsparse_direction_NS_24const_host_device_scalarIT1_EES1_PKS1_PKT2_SA_S7_PKT4_PKT5_S5_PT6_21rocsparse_index_base_b
                                        ; -- End function
	.section	.AMDGPU.csdata,"",@progbits
; Kernel info:
; codeLenInByte = 3824
; NumSgprs: 19
; NumVgprs: 60
; ScratchSize: 0
; MemoryBound: 0
; FloatMode: 240
; IeeeMode: 1
; LDSByteSize: 0 bytes/workgroup (compile time only)
; SGPRBlocks: 2
; VGPRBlocks: 7
; NumSGPRsForWavesPerEU: 19
; NumVGPRsForWavesPerEU: 60
; Occupancy: 16
; WaveLimiterHint : 1
; COMPUTE_PGM_RSRC2:SCRATCH_EN: 0
; COMPUTE_PGM_RSRC2:USER_SGPR: 15
; COMPUTE_PGM_RSRC2:TRAP_HANDLER: 0
; COMPUTE_PGM_RSRC2:TGID_X_EN: 1
; COMPUTE_PGM_RSRC2:TGID_Y_EN: 0
; COMPUTE_PGM_RSRC2:TGID_Z_EN: 0
; COMPUTE_PGM_RSRC2:TIDIG_COMP_CNT: 0
	.section	.text._ZN9rocsparseL18bsrxmvn_4x4_kernelILj128ELj16EiiiaaiEEvT3_20rocsparse_direction_NS_24const_host_device_scalarIT1_EES1_PKS1_PKT2_SA_S7_PKT4_PKT5_S5_PT6_21rocsparse_index_base_b,"axG",@progbits,_ZN9rocsparseL18bsrxmvn_4x4_kernelILj128ELj16EiiiaaiEEvT3_20rocsparse_direction_NS_24const_host_device_scalarIT1_EES1_PKS1_PKT2_SA_S7_PKT4_PKT5_S5_PT6_21rocsparse_index_base_b,comdat
	.globl	_ZN9rocsparseL18bsrxmvn_4x4_kernelILj128ELj16EiiiaaiEEvT3_20rocsparse_direction_NS_24const_host_device_scalarIT1_EES1_PKS1_PKT2_SA_S7_PKT4_PKT5_S5_PT6_21rocsparse_index_base_b ; -- Begin function _ZN9rocsparseL18bsrxmvn_4x4_kernelILj128ELj16EiiiaaiEEvT3_20rocsparse_direction_NS_24const_host_device_scalarIT1_EES1_PKS1_PKT2_SA_S7_PKT4_PKT5_S5_PT6_21rocsparse_index_base_b
	.p2align	8
	.type	_ZN9rocsparseL18bsrxmvn_4x4_kernelILj128ELj16EiiiaaiEEvT3_20rocsparse_direction_NS_24const_host_device_scalarIT1_EES1_PKS1_PKT2_SA_S7_PKT4_PKT5_S5_PT6_21rocsparse_index_base_b,@function
_ZN9rocsparseL18bsrxmvn_4x4_kernelILj128ELj16EiiiaaiEEvT3_20rocsparse_direction_NS_24const_host_device_scalarIT1_EES1_PKS1_PKT2_SA_S7_PKT4_PKT5_S5_PT6_21rocsparse_index_base_b: ; @_ZN9rocsparseL18bsrxmvn_4x4_kernelILj128ELj16EiiiaaiEEvT3_20rocsparse_direction_NS_24const_host_device_scalarIT1_EES1_PKS1_PKT2_SA_S7_PKT4_PKT5_S5_PT6_21rocsparse_index_base_b
; %bb.0:
	s_clause 0x1
	s_load_b64 s[12:13], s[0:1], 0x58
	s_load_b64 s[4:5], s[0:1], 0x8
	s_mov_b32 s7, -1
	s_waitcnt lgkmcnt(0)
	s_bitcmp1_b32 s13, 0
                                        ; implicit-def: $sgpr13
	s_cselect_b32 s2, -1, 0
	s_delay_alu instid0(SALU_CYCLE_1) | instskip(NEXT) | instid1(SALU_CYCLE_1)
	s_xor_b32 s6, s2, -1
	s_and_b32 vcc_lo, exec_lo, s6
	s_cbranch_vccnz .LBB62_4
; %bb.1:
	s_load_b64 s[2:3], s[0:1], 0x48
	s_and_not1_b32 vcc_lo, exec_lo, s7
	s_cbranch_vccz .LBB62_5
.LBB62_2:
	s_and_b32 vcc_lo, exec_lo, s6
	s_cbranch_vccz .LBB62_6
.LBB62_3:
	s_waitcnt lgkmcnt(0)
	s_load_b32 s14, s[2:3], 0x0
	s_cbranch_execz .LBB62_7
	s_branch .LBB62_8
.LBB62_4:
	s_load_b32 s13, s[4:5], 0x0
	s_load_b64 s[2:3], s[0:1], 0x48
	s_cbranch_execnz .LBB62_2
.LBB62_5:
	s_waitcnt lgkmcnt(0)
	s_mov_b32 s13, s4
	s_and_b32 vcc_lo, exec_lo, s6
	s_cbranch_vccnz .LBB62_3
.LBB62_6:
	s_waitcnt lgkmcnt(0)
                                        ; implicit-def: $sgpr14
.LBB62_7:
	s_waitcnt lgkmcnt(0)
	s_mov_b32 s14, s2
.LBB62_8:
	s_cmp_lg_u32 s13, 0
	s_mov_b32 s6, 0
	s_cselect_b32 s2, -1, 0
	s_waitcnt lgkmcnt(0)
	s_cmp_lg_u32 s14, 1
	s_cselect_b32 s3, -1, 0
	s_delay_alu instid0(SALU_CYCLE_1) | instskip(NEXT) | instid1(SALU_CYCLE_1)
	s_or_b32 s2, s2, s3
	s_and_not1_b32 vcc_lo, exec_lo, s2
	s_cbranch_vccnz .LBB62_14
; %bb.9:
	s_clause 0x1
	s_load_b64 s[4:5], s[0:1], 0x18
	s_load_b64 s[2:3], s[0:1], 0x0
	v_lshrrev_b32_e32 v1, 4, v0
	s_delay_alu instid0(VALU_DEP_1)
	v_lshl_or_b32 v3, s15, 3, v1
	s_waitcnt lgkmcnt(0)
	s_cmp_lg_u64 s[4:5], 0
	s_cbranch_scc0 .LBB62_15
; %bb.10:
	s_load_b32 s6, s[0:1], 0x10
	s_mov_b32 s7, 0
                                        ; implicit-def: $vgpr1
	s_waitcnt lgkmcnt(0)
	v_cmp_gt_i32_e32 vcc_lo, s6, v3
	s_mov_b32 s6, 0
	s_and_saveexec_b32 s8, vcc_lo
	s_delay_alu instid0(SALU_CYCLE_1)
	s_xor_b32 s8, exec_lo, s8
	s_cbranch_execz .LBB62_12
; %bb.11:
	v_ashrrev_i32_e32 v4, 31, v3
	s_mov_b32 s6, exec_lo
	s_delay_alu instid0(VALU_DEP_1) | instskip(NEXT) | instid1(VALU_DEP_1)
	v_lshlrev_b64 v[1:2], 2, v[3:4]
	v_add_co_u32 v1, vcc_lo, s4, v1
	s_delay_alu instid0(VALU_DEP_2)
	v_add_co_ci_u32_e32 v2, vcc_lo, s5, v2, vcc_lo
	global_load_b32 v1, v[1:2], off
	s_waitcnt vmcnt(0)
	v_subrev_nc_u32_e32 v1, s12, v1
.LBB62_12:
	s_or_b32 exec_lo, exec_lo, s8
	s_delay_alu instid0(SALU_CYCLE_1)
	s_and_b32 vcc_lo, exec_lo, s7
	s_cbranch_vccz .LBB62_16
.LBB62_13:
	v_cmp_gt_i32_e32 vcc_lo, s2, v3
	s_and_not1_b32 s2, s6, exec_lo
	s_and_b32 s4, vcc_lo, exec_lo
	s_delay_alu instid0(SALU_CYCLE_1) | instskip(NEXT) | instid1(SALU_CYCLE_1)
	s_or_b32 s6, s2, s4
	s_and_saveexec_b32 s2, s6
	s_cbranch_execnz .LBB62_17
.LBB62_14:
	s_nop 0
	s_sendmsg sendmsg(MSG_DEALLOC_VGPRS)
	s_endpgm
.LBB62_15:
                                        ; implicit-def: $vgpr1
	s_cbranch_execnz .LBB62_13
.LBB62_16:
	s_delay_alu instid0(VALU_DEP_1)
	v_mov_b32_e32 v3, v1
	s_and_saveexec_b32 s2, s6
	s_cbranch_execz .LBB62_14
.LBB62_17:
	s_load_b256 s[4:11], s[0:1], 0x20
	s_delay_alu instid0(VALU_DEP_1) | instskip(SKIP_1) | instid1(VALU_DEP_2)
	v_ashrrev_i32_e32 v4, 31, v3
	v_and_b32_e32 v8, 15, v0
	v_lshlrev_b64 v[1:2], 2, v[3:4]
	s_waitcnt lgkmcnt(0)
	s_delay_alu instid0(VALU_DEP_1) | instskip(NEXT) | instid1(VALU_DEP_2)
	v_add_co_u32 v4, vcc_lo, s4, v1
	v_add_co_ci_u32_e32 v5, vcc_lo, s5, v2, vcc_lo
	v_add_co_u32 v1, vcc_lo, s6, v1
	v_add_co_ci_u32_e32 v2, vcc_lo, s7, v2, vcc_lo
	global_load_b32 v13, v[4:5], off
	v_add_co_u32 v4, vcc_lo, v4, 4
	v_add_co_ci_u32_e32 v5, vcc_lo, 0, v5, vcc_lo
	s_cmp_eq_u64 s[6:7], 0
	s_load_b64 s[6:7], s[0:1], 0x40
	s_cselect_b32 vcc_lo, -1, 0
	s_cmp_eq_u32 s3, 1
	v_dual_cndmask_b32 v2, v2, v5 :: v_dual_cndmask_b32 v1, v1, v4
	global_load_b32 v4, v[1:2], off
	s_waitcnt vmcnt(1)
	v_subrev_nc_u32_e32 v0, s12, v13
	s_delay_alu instid0(VALU_DEP_1) | instskip(NEXT) | instid1(VALU_DEP_1)
	v_add_nc_u32_e32 v0, v0, v8
	v_ashrrev_i32_e32 v1, 31, v0
	s_waitcnt vmcnt(0)
	v_subrev_nc_u32_e32 v14, s12, v4
	s_delay_alu instid0(VALU_DEP_2) | instskip(NEXT) | instid1(VALU_DEP_2)
	v_lshlrev_b64 v[1:2], 4, v[0:1]
	v_cmp_lt_i32_e64 s2, v0, v14
	s_delay_alu instid0(VALU_DEP_2) | instskip(NEXT) | instid1(VALU_DEP_3)
	v_add_co_u32 v4, vcc_lo, s10, v1
	v_add_co_ci_u32_e32 v5, vcc_lo, s11, v2, vcc_lo
	s_cbranch_scc1 .LBB62_29
; %bb.18:
	v_dual_mov_b32 v10, 0 :: v_dual_mov_b32 v11, 0
	v_dual_mov_b32 v12, 0 :: v_dual_mov_b32 v9, 0
	s_mov_b32 s10, 0
	s_and_saveexec_b32 s11, s2
	s_cbranch_execz .LBB62_28
; %bb.19:
	v_dual_mov_b32 v12, 0 :: v_dual_add_nc_u32 v1, v13, v8
	v_not_b32_e32 v2, v13
	v_mov_b32_e32 v9, 0
	v_mov_b32_e32 v11, 0
	s_delay_alu instid0(VALU_DEP_4) | instskip(SKIP_2) | instid1(VALU_DEP_1)
	v_subrev_nc_u32_e32 v1, s12, v1
	s_mov_b32 s16, 0
	s_mov_b32 s15, exec_lo
	v_dual_mov_b32 v10, 0 :: v_dual_add_nc_u32 v1, 16, v1
	s_delay_alu instid0(VALU_DEP_1) | instskip(NEXT) | instid1(VALU_DEP_1)
	v_max_i32_e32 v1, v1, v14
	v_add3_u32 v1, v1, s12, v2
	s_delay_alu instid0(VALU_DEP_1) | instskip(SKIP_1) | instid1(VALU_DEP_2)
	v_sub_nc_u32_e32 v2, v1, v8
	v_mov_b32_e32 v1, v0
	v_lshrrev_b32_e32 v6, 4, v2
	s_delay_alu instid0(VALU_DEP_1)
	v_add_nc_u32_e32 v15, 1, v6
	v_dual_mov_b32 v7, v5 :: v_dual_mov_b32 v6, v4
	v_cmpx_lt_u32_e32 47, v2
	s_cbranch_execz .LBB62_23
; %bb.20:
	s_delay_alu instid0(VALU_DEP_3)
	v_dual_mov_b32 v7, v5 :: v_dual_and_b32 v16, 0x1ffffffc, v15
	v_dual_mov_b32 v10, 0 :: v_dual_mov_b32 v1, v0
	v_dual_mov_b32 v6, v4 :: v_dual_mov_b32 v11, 0
	;; [unrolled: 1-line block ×3, first 2 shown]
.LBB62_21:                              ; =>This Inner Loop Header: Depth=1
	s_delay_alu instid0(VALU_DEP_3) | instskip(SKIP_1) | instid1(VALU_DEP_2)
	v_ashrrev_i32_e32 v2, 31, v1
	v_add_nc_u32_e32 v16, -4, v16
	v_lshlrev_b64 v[17:18], 2, v[1:2]
	v_add_nc_u32_e32 v1, 64, v1
	s_delay_alu instid0(VALU_DEP_2) | instskip(NEXT) | instid1(VALU_DEP_3)
	v_add_co_u32 v17, vcc_lo, s8, v17
	v_add_co_ci_u32_e32 v18, vcc_lo, s9, v18, vcc_lo
	s_clause 0x3
	global_load_b32 v2, v[17:18], off
	global_load_b32 v33, v[17:18], off offset:64
	global_load_b32 v34, v[17:18], off offset:128
	;; [unrolled: 1-line block ×3, first 2 shown]
	s_clause 0x3
	global_load_b128 v[17:20], v[6:7], off
	global_load_b128 v[21:24], v[6:7], off offset:256
	global_load_b128 v[25:28], v[6:7], off offset:512
	;; [unrolled: 1-line block ×3, first 2 shown]
	s_waitcnt vmcnt(7)
	v_subrev_nc_u32_e32 v2, s12, v2
	s_waitcnt vmcnt(6)
	v_subrev_nc_u32_e32 v33, s12, v33
	;; [unrolled: 2-line block ×4, first 2 shown]
	v_lshlrev_b32_e32 v2, 2, v2
	v_lshlrev_b32_e32 v33, 2, v33
	;; [unrolled: 1-line block ×3, first 2 shown]
	s_delay_alu instid0(VALU_DEP_4)
	v_lshlrev_b32_e32 v36, 2, v35
	s_waitcnt vmcnt(1)
	v_bfe_i32 v44, v25, 0, 8
	v_ashrrev_i32_e32 v38, 31, v2
	v_ashrrev_i32_e32 v41, 31, v33
	;; [unrolled: 1-line block ×4, first 2 shown]
	s_waitcnt lgkmcnt(0)
	v_add_co_u32 v39, s5, s6, v2
	v_add_co_u32 v33, vcc_lo, s6, v33
	v_add_co_u32 v35, s3, s6, v34
	v_add_co_ci_u32_e64 v40, s5, s7, v38, s5
	v_add_co_u32 v37, s4, s6, v36
	v_add_co_ci_u32_e32 v34, vcc_lo, s7, v41, vcc_lo
	v_add_co_ci_u32_e64 v36, vcc_lo, s7, v42, s3
	v_add_co_ci_u32_e64 v38, vcc_lo, s7, v43, s4
	s_clause 0x3
	global_load_b32 v2, v[39:40], off
	global_load_b32 v33, v[33:34], off
	;; [unrolled: 1-line block ×4, first 2 shown]
	v_lshrrev_b16 v36, 8, v17
	v_ashrrev_i32_e32 v37, 24, v17
	v_bfe_i32 v38, v17, 0, 8
	v_bfe_i32 v17, v17, 16, 8
	v_lshrrev_b16 v39, 8, v21
	v_ashrrev_i32_e32 v40, 24, v21
	v_bfe_i32 v41, v21, 0, 8
	v_bfe_i32 v21, v21, 16, 8
	;; [unrolled: 1-line block ×3, first 2 shown]
	v_lshrrev_b16 v42, 8, v25
	v_ashrrev_i32_e32 v43, 24, v25
	v_bfe_i32 v25, v25, 16, 8
	v_bfe_i32 v39, v39, 0, 8
	s_waitcnt vmcnt(4)
	v_lshrrev_b16 v45, 8, v29
	v_ashrrev_i32_e32 v46, 24, v29
	v_bfe_i32 v47, v29, 0, 8
	v_bfe_i32 v29, v29, 16, 8
	;; [unrolled: 1-line block ×4, first 2 shown]
	v_add_co_u32 v6, vcc_lo, 0x400, v6
	v_add_co_ci_u32_e32 v7, vcc_lo, 0, v7, vcc_lo
	v_cmp_eq_u32_e32 vcc_lo, 0, v16
	s_or_b32 s16, vcc_lo, s16
	s_waitcnt vmcnt(3)
	v_lshrrev_b16 v48, 8, v2
	v_ashrrev_i32_e32 v50, 24, v2
	v_bfe_i32 v51, v2, 16, 8
	v_bfe_i32 v49, v2, 0, 8
	v_dot4_i32_iu8 v12, v2, v18, v12 neg_lo:[1,1,0]
	v_dot4_i32_iu8 v11, v2, v19, v11 neg_lo:[1,1,0]
	;; [unrolled: 1-line block ×3, first 2 shown]
	s_waitcnt vmcnt(2)
	v_lshrrev_b16 v10, 8, v33
	v_ashrrev_i32_e32 v19, 24, v33
	v_bfe_i32 v20, v33, 16, 8
	v_bfe_i32 v48, v48, 0, 8
	v_mul_i32_i24_e32 v17, v51, v17
	v_mul_i32_i24_e32 v37, v50, v37
	v_bfe_i32 v18, v33, 0, 8
	s_waitcnt vmcnt(1)
	v_lshrrev_b16 v52, 8, v34
	v_ashrrev_i32_e32 v54, 24, v34
	v_bfe_i32 v55, v34, 16, 8
	v_bfe_i32 v10, v10, 0, 8
	v_mul_i32_i24_e32 v20, v20, v21
	v_mul_i32_i24_e32 v19, v19, v40
	v_dot4_i32_iu8 v2, v33, v24, v2 neg_lo:[1,1,0]
	v_mad_i32_i24 v17, v49, v38, v17
	v_mad_i32_i24 v24, v48, v36, v37
	v_bfe_i32 v53, v34, 0, 8
	s_waitcnt vmcnt(0)
	v_lshrrev_b16 v56, 8, v35
	v_ashrrev_i32_e32 v58, 24, v35
	v_bfe_i32 v59, v35, 16, 8
	v_dot4_i32_iu8 v12, v33, v22, v12 neg_lo:[1,1,0]
	v_dot4_i32_iu8 v11, v33, v23, v11 neg_lo:[1,1,0]
	v_bfe_i32 v21, v52, 0, 8
	v_mul_i32_i24_e32 v22, v55, v25
	v_mul_i32_i24_e32 v23, v54, v43
	v_mad_i32_i24 v18, v18, v41, v20
	v_mad_i32_i24 v10, v10, v39, v19
	v_add3_u32 v9, v17, v24, v9
	v_bfe_i32 v57, v35, 0, 8
	v_bfe_i32 v25, v56, 0, 8
	v_mul_i32_i24_e32 v29, v59, v29
	v_mul_i32_i24_e32 v17, v58, v46
	v_mad_i32_i24 v19, v53, v44, v22
	v_mad_i32_i24 v20, v21, v42, v23
	v_add3_u32 v9, v18, v10, v9
	v_dot4_i32_iu8 v12, v34, v26, v12 neg_lo:[1,1,0]
	v_dot4_i32_iu8 v10, v34, v27, v11 neg_lo:[1,1,0]
	;; [unrolled: 1-line block ×3, first 2 shown]
	v_mad_i32_i24 v18, v57, v47, v29
	v_mad_i32_i24 v17, v25, v45, v17
	v_add3_u32 v9, v19, v20, v9
	v_dot4_i32_iu8 v12, v35, v30, v12 neg_lo:[1,1,0]
	v_dot4_i32_iu8 v11, v35, v31, v10 neg_lo:[1,1,0]
	;; [unrolled: 1-line block ×3, first 2 shown]
	s_delay_alu instid0(VALU_DEP_4)
	v_add3_u32 v9, v18, v17, v9
	s_and_not1_b32 exec_lo, exec_lo, s16
	s_cbranch_execnz .LBB62_21
; %bb.22:
	s_or_b32 exec_lo, exec_lo, s16
.LBB62_23:
	s_delay_alu instid0(SALU_CYCLE_1) | instskip(SKIP_3) | instid1(VALU_DEP_1)
	s_or_b32 exec_lo, exec_lo, s15
	v_and_b32_e32 v2, 3, v15
	s_mov_b32 s4, 0
	s_mov_b32 s3, exec_lo
	v_cmpx_ne_u32_e32 0, v2
	s_cbranch_execz .LBB62_27
; %bb.24:
	v_lshlrev_b32_e32 v15, 4, v2
.LBB62_25:                              ; =>This Inner Loop Header: Depth=1
	v_ashrrev_i32_e32 v2, 31, v1
	s_delay_alu instid0(VALU_DEP_2) | instskip(NEXT) | instid1(VALU_DEP_2)
	v_add_nc_u32_e32 v15, -16, v15
	v_lshlrev_b64 v[16:17], 2, v[1:2]
	v_add_nc_u32_e32 v1, 16, v1
	s_delay_alu instid0(VALU_DEP_2) | instskip(NEXT) | instid1(VALU_DEP_3)
	v_add_co_u32 v16, vcc_lo, s8, v16
	v_add_co_ci_u32_e32 v17, vcc_lo, s9, v17, vcc_lo
	global_load_b32 v2, v[16:17], off
	s_waitcnt vmcnt(0)
	v_subrev_nc_u32_e32 v2, s12, v2
	s_delay_alu instid0(VALU_DEP_1) | instskip(NEXT) | instid1(VALU_DEP_1)
	v_lshlrev_b32_e32 v2, 2, v2
	v_ashrrev_i32_e32 v16, 31, v2
	s_waitcnt lgkmcnt(0)
	v_add_co_u32 v20, vcc_lo, s6, v2
	s_delay_alu instid0(VALU_DEP_2)
	v_add_co_ci_u32_e32 v21, vcc_lo, s7, v16, vcc_lo
	global_load_b128 v[16:19], v[6:7], off
	global_load_b32 v2, v[20:21], off
	v_add_co_u32 v6, vcc_lo, 0x100, v6
	v_add_co_ci_u32_e32 v7, vcc_lo, 0, v7, vcc_lo
	v_cmp_eq_u32_e32 vcc_lo, 0, v15
	s_or_b32 s4, vcc_lo, s4
	s_waitcnt vmcnt(1)
	v_lshrrev_b16 v20, 8, v16
	v_ashrrev_i32_e32 v21, 24, v16
	v_bfe_i32 v22, v16, 0, 8
	v_bfe_i32 v16, v16, 16, 8
	s_waitcnt vmcnt(0)
	v_lshrrev_b16 v23, 8, v2
	v_bfe_i32 v24, v2, 16, 8
	v_ashrrev_i32_e32 v25, 24, v2
	v_bfe_i32 v20, v20, 0, 8
	v_bfe_i32 v26, v2, 0, 8
	;; [unrolled: 1-line block ×3, first 2 shown]
	v_mul_i32_i24_e32 v16, v24, v16
	v_mul_i32_i24_e32 v21, v25, v21
	v_dot4_i32_iu8 v12, v2, v17, v12 neg_lo:[1,1,0]
	v_dot4_i32_iu8 v11, v2, v18, v11 neg_lo:[1,1,0]
	;; [unrolled: 1-line block ×3, first 2 shown]
	v_mad_i32_i24 v16, v26, v22, v16
	v_mad_i32_i24 v20, v23, v20, v21
	s_delay_alu instid0(VALU_DEP_1)
	v_add3_u32 v9, v16, v20, v9
	s_and_not1_b32 exec_lo, exec_lo, s4
	s_cbranch_execnz .LBB62_25
; %bb.26:
	s_or_b32 exec_lo, exec_lo, s4
.LBB62_27:
	s_delay_alu instid0(SALU_CYCLE_1)
	s_or_b32 exec_lo, exec_lo, s3
.LBB62_28:
	s_delay_alu instid0(SALU_CYCLE_1) | instskip(NEXT) | instid1(SALU_CYCLE_1)
	s_or_b32 exec_lo, exec_lo, s11
	s_and_not1_b32 vcc_lo, exec_lo, s10
	s_cbranch_vccz .LBB62_30
	s_branch .LBB62_41
.LBB62_29:
                                        ; implicit-def: $vgpr10
                                        ; implicit-def: $vgpr11
                                        ; implicit-def: $vgpr12
                                        ; implicit-def: $vgpr9
.LBB62_30:
	v_dual_mov_b32 v10, 0 :: v_dual_mov_b32 v11, 0
	v_dual_mov_b32 v12, 0 :: v_dual_mov_b32 v9, 0
	s_and_saveexec_b32 s5, s2
	s_cbranch_execz .LBB62_40
; %bb.31:
	v_dual_mov_b32 v12, 0 :: v_dual_add_nc_u32 v1, v13, v8
	v_not_b32_e32 v2, v13
	v_mov_b32_e32 v11, 0
	s_mov_b32 s11, 0
	s_delay_alu instid0(VALU_DEP_3) | instskip(SKIP_1) | instid1(VALU_DEP_1)
	v_subrev_nc_u32_e32 v1, s12, v1
	s_mov_b32 s10, exec_lo
	v_dual_mov_b32 v10, 0 :: v_dual_add_nc_u32 v1, 16, v1
	s_delay_alu instid0(VALU_DEP_1) | instskip(NEXT) | instid1(VALU_DEP_1)
	v_max_i32_e32 v1, v1, v14
	v_add3_u32 v1, v1, s12, v2
	s_delay_alu instid0(VALU_DEP_1) | instskip(NEXT) | instid1(VALU_DEP_1)
	v_sub_nc_u32_e32 v1, v1, v8
	v_lshrrev_b32_e32 v2, 4, v1
	s_delay_alu instid0(VALU_DEP_1)
	v_dual_mov_b32 v9, 0 :: v_dual_add_nc_u32 v2, 1, v2
	v_cmpx_lt_u32_e32 47, v1
	s_cbranch_execz .LBB62_35
; %bb.32:
	s_delay_alu instid0(VALU_DEP_2)
	v_dual_mov_b32 v11, 0 :: v_dual_and_b32 v6, 0x1ffffffc, v2
	v_dual_mov_b32 v10, 0 :: v_dual_mov_b32 v9, 0
	v_mov_b32_e32 v12, 0
.LBB62_33:                              ; =>This Inner Loop Header: Depth=1
	v_ashrrev_i32_e32 v1, 31, v0
	s_delay_alu instid0(VALU_DEP_4) | instskip(NEXT) | instid1(VALU_DEP_2)
	v_add_nc_u32_e32 v6, -4, v6
	v_lshlrev_b64 v[13:14], 2, v[0:1]
	v_add_nc_u32_e32 v0, 64, v0
	s_delay_alu instid0(VALU_DEP_2) | instskip(NEXT) | instid1(VALU_DEP_3)
	v_add_co_u32 v13, vcc_lo, s8, v13
	v_add_co_ci_u32_e32 v14, vcc_lo, s9, v14, vcc_lo
	s_clause 0x3
	global_load_b32 v1, v[13:14], off
	global_load_b32 v7, v[13:14], off offset:64
	global_load_b32 v29, v[13:14], off offset:128
	;; [unrolled: 1-line block ×3, first 2 shown]
	s_clause 0x3
	global_load_b128 v[13:16], v[4:5], off
	global_load_b128 v[17:20], v[4:5], off offset:256
	global_load_b128 v[21:24], v[4:5], off offset:512
	;; [unrolled: 1-line block ×3, first 2 shown]
	s_waitcnt vmcnt(7)
	v_subrev_nc_u32_e32 v1, s12, v1
	s_waitcnt vmcnt(6)
	v_subrev_nc_u32_e32 v7, s12, v7
	;; [unrolled: 2-line block ×4, first 2 shown]
	v_lshlrev_b32_e32 v1, 2, v1
	v_lshlrev_b32_e32 v7, 2, v7
	;; [unrolled: 1-line block ×3, first 2 shown]
	s_delay_alu instid0(VALU_DEP_4)
	v_lshlrev_b32_e32 v30, 2, v30
	s_waitcnt vmcnt(2)
	v_perm_b32 v38, v20, v19, 0x5010c0c
	v_ashrrev_i32_e32 v32, 31, v1
	s_waitcnt lgkmcnt(0)
	v_add_co_u32 v34, s4, s6, v1
	v_ashrrev_i32_e32 v36, 31, v7
	v_add_co_u32 v29, vcc_lo, s6, v7
	v_add_co_ci_u32_e64 v35, s4, s7, v32, s4
	v_ashrrev_i32_e32 v7, 31, v31
	v_ashrrev_i32_e32 v37, 31, v30
	v_add_co_u32 v33, s3, s6, v30
	v_add_co_ci_u32_e32 v30, vcc_lo, s7, v36, vcc_lo
	global_load_b32 v1, v[34:35], off
	v_add_co_u32 v31, s2, s6, v31
	s_delay_alu instid0(VALU_DEP_1)
	v_add_co_ci_u32_e64 v32, vcc_lo, s7, v7, s2
	global_load_b32 v7, v[29:30], off
	v_add_co_ci_u32_e64 v34, vcc_lo, s7, v37, s3
	s_clause 0x1
	global_load_b32 v29, v[31:32], off
	global_load_b32 v30, v[33:34], off
	v_perm_b32 v31, v14, v13, 0xc0c0400
	v_perm_b32 v32, v16, v15, 0x4000c0c
	;; [unrolled: 1-line block ×15, first 2 shown]
	s_waitcnt vmcnt(5)
	v_perm_b32 v19, v22, v21, 0xc0c0400
	v_perm_b32 v20, v24, v23, 0x4000c0c
	;; [unrolled: 1-line block ×8, first 2 shown]
	s_waitcnt vmcnt(4)
	v_perm_b32 v23, v26, v25, 0xc0c0400
	v_perm_b32 v24, v28, v27, 0x4000c0c
	;; [unrolled: 1-line block ×8, first 2 shown]
	v_or_b32_e32 v27, v32, v31
	v_or_b32_e32 v28, v34, v33
	;; [unrolled: 1-line block ×12, first 2 shown]
	v_add_co_u32 v4, vcc_lo, 0x400, v4
	v_or_b32_e32 v22, v24, v23
	v_or_b32_e32 v23, v46, v45
	v_add_co_ci_u32_e32 v5, vcc_lo, 0, v5, vcc_lo
	v_cmp_eq_u32_e32 vcc_lo, 0, v6
	s_or_b32 s11, vcc_lo, s11
	s_waitcnt vmcnt(3)
	v_dot4_i32_iu8 v9, v1, v27, v9 neg_lo:[1,1,0]
	v_dot4_i32_iu8 v12, v28, v1, v12 neg_lo:[1,1,0]
	;; [unrolled: 1-line block ×4, first 2 shown]
	v_or_b32_e32 v10, v48, v47
	s_waitcnt vmcnt(2)
	v_dot4_i32_iu8 v9, v7, v14, v9 neg_lo:[1,1,0]
	v_dot4_i32_iu8 v12, v15, v7, v12 neg_lo:[1,1,0]
	;; [unrolled: 1-line block ×4, first 2 shown]
	v_or_b32_e32 v7, v26, v25
	s_waitcnt vmcnt(1)
	v_dot4_i32_iu8 v9, v29, v18, v9 neg_lo:[1,1,0]
	v_dot4_i32_iu8 v12, v19, v29, v12 neg_lo:[1,1,0]
	v_dot4_i32_iu8 v11, v20, v29, v11 neg_lo:[1,1,0]
	v_dot4_i32_iu8 v1, v21, v29, v1 neg_lo:[1,1,0]
	s_waitcnt vmcnt(0)
	v_dot4_i32_iu8 v9, v30, v22, v9 neg_lo:[1,1,0]
	v_dot4_i32_iu8 v12, v23, v30, v12 neg_lo:[1,1,0]
	;; [unrolled: 1-line block ×4, first 2 shown]
	s_and_not1_b32 exec_lo, exec_lo, s11
	s_cbranch_execnz .LBB62_33
; %bb.34:
	s_or_b32 exec_lo, exec_lo, s11
.LBB62_35:
	s_delay_alu instid0(SALU_CYCLE_1) | instskip(NEXT) | instid1(VALU_DEP_2)
	s_or_b32 exec_lo, exec_lo, s10
	v_and_b32_e32 v1, 3, v2
	s_mov_b32 s3, 0
	s_mov_b32 s2, exec_lo
	s_delay_alu instid0(VALU_DEP_1)
	v_cmpx_ne_u32_e32 0, v1
	s_cbranch_execz .LBB62_39
; %bb.36:
	v_lshlrev_b32_e32 v2, 4, v1
.LBB62_37:                              ; =>This Inner Loop Header: Depth=1
	v_ashrrev_i32_e32 v1, 31, v0
	global_load_b128 v[13:16], v[4:5], off
	v_add_nc_u32_e32 v2, -16, v2
	v_lshlrev_b64 v[6:7], 2, v[0:1]
	v_add_nc_u32_e32 v0, 16, v0
	s_delay_alu instid0(VALU_DEP_2) | instskip(NEXT) | instid1(VALU_DEP_3)
	v_add_co_u32 v6, vcc_lo, s8, v6
	v_add_co_ci_u32_e32 v7, vcc_lo, s9, v7, vcc_lo
	global_load_b32 v1, v[6:7], off
	s_waitcnt vmcnt(1)
	v_perm_b32 v17, v14, v13, 0xc0c0501
	v_perm_b32 v18, v16, v15, 0x5010c0c
	;; [unrolled: 1-line block ×4, first 2 shown]
	s_waitcnt vmcnt(0)
	v_subrev_nc_u32_e32 v1, s12, v1
	s_delay_alu instid0(VALU_DEP_1) | instskip(NEXT) | instid1(VALU_DEP_1)
	v_lshlrev_b32_e32 v1, 2, v1
	v_ashrrev_i32_e32 v7, 31, v1
	s_waitcnt lgkmcnt(0)
	v_add_co_u32 v6, vcc_lo, s6, v1
	s_delay_alu instid0(VALU_DEP_2)
	v_add_co_ci_u32_e32 v7, vcc_lo, s7, v7, vcc_lo
	v_add_co_u32 v4, vcc_lo, 0x100, v4
	v_add_co_ci_u32_e32 v5, vcc_lo, 0, v5, vcc_lo
	global_load_b32 v1, v[6:7], off
	v_perm_b32 v6, v14, v13, 0xc0c0400
	v_perm_b32 v7, v16, v15, 0x4000c0c
	;; [unrolled: 1-line block ×4, first 2 shown]
	v_or_b32_e32 v15, v20, v19
	v_cmp_eq_u32_e32 vcc_lo, 0, v2
	v_or_b32_e32 v6, v7, v6
	v_or_b32_e32 v7, v18, v17
	;; [unrolled: 1-line block ×3, first 2 shown]
	s_or_b32 s3, vcc_lo, s3
	s_waitcnt vmcnt(0)
	v_dot4_i32_iu8 v9, v1, v6, v9 neg_lo:[1,1,0]
	v_dot4_i32_iu8 v12, v7, v1, v12 neg_lo:[1,1,0]
	;; [unrolled: 1-line block ×4, first 2 shown]
	s_and_not1_b32 exec_lo, exec_lo, s3
	s_cbranch_execnz .LBB62_37
; %bb.38:
	s_or_b32 exec_lo, exec_lo, s3
.LBB62_39:
	s_delay_alu instid0(SALU_CYCLE_1)
	s_or_b32 exec_lo, exec_lo, s2
.LBB62_40:
	s_delay_alu instid0(SALU_CYCLE_1)
	s_or_b32 exec_lo, exec_lo, s5
.LBB62_41:
	v_mbcnt_lo_u32_b32 v0, -1, 0
	s_mov_b32 s2, -1
	s_delay_alu instid0(VALU_DEP_1) | instskip(SKIP_1) | instid1(VALU_DEP_2)
	v_xor_b32_e32 v1, 8, v0
	v_xor_b32_e32 v6, 4, v0
	v_cmp_gt_i32_e32 vcc_lo, 32, v1
	v_cndmask_b32_e32 v1, v0, v1, vcc_lo
	s_delay_alu instid0(VALU_DEP_3) | instskip(SKIP_1) | instid1(VALU_DEP_1)
	v_cmp_gt_i32_e32 vcc_lo, 32, v6
	v_cndmask_b32_e32 v6, v0, v6, vcc_lo
	v_lshlrev_b32_e32 v6, 2, v6
	s_delay_alu instid0(VALU_DEP_4)
	v_lshlrev_b32_e32 v1, 2, v1
	ds_bpermute_b32 v5, v1, v11
	ds_bpermute_b32 v2, v1, v9
	;; [unrolled: 1-line block ×4, first 2 shown]
	s_waitcnt lgkmcnt(0)
	v_add_nc_u32_e32 v5, v5, v11
	v_xor_b32_e32 v11, 2, v0
	v_add_nc_u32_e32 v4, v4, v12
	v_add_nc_u32_e32 v1, v1, v10
	ds_bpermute_b32 v10, v6, v5
	v_cmp_gt_i32_e32 vcc_lo, 32, v11
	v_add_nc_u32_e32 v2, v2, v9
	ds_bpermute_b32 v9, v6, v4
	v_cndmask_b32_e32 v11, v0, v11, vcc_lo
	ds_bpermute_b32 v7, v6, v2
	ds_bpermute_b32 v6, v6, v1
	v_lshlrev_b32_e32 v11, 2, v11
	s_waitcnt lgkmcnt(3)
	v_add_nc_u32_e32 v5, v10, v5
	s_waitcnt lgkmcnt(2)
	v_add_nc_u32_e32 v4, v9, v4
	ds_bpermute_b32 v9, v11, v5
	s_waitcnt lgkmcnt(2)
	v_add_nc_u32_e32 v2, v7, v2
	s_waitcnt lgkmcnt(1)
	v_add_nc_u32_e32 v6, v6, v1
	ds_bpermute_b32 v7, v11, v4
	ds_bpermute_b32 v1, v11, v2
	;; [unrolled: 1-line block ×3, first 2 shown]
	v_xor_b32_e32 v11, 1, v0
	s_delay_alu instid0(VALU_DEP_1) | instskip(SKIP_2) | instid1(VALU_DEP_2)
	v_cmp_gt_i32_e32 vcc_lo, 32, v11
	v_cndmask_b32_e32 v0, v0, v11, vcc_lo
	v_cmp_eq_u32_e32 vcc_lo, 15, v8
	v_lshlrev_b32_e32 v11, 2, v0
	s_waitcnt lgkmcnt(1)
	v_add_nc_u32_e32 v0, v1, v2
	v_add_nc_u32_e32 v1, v7, v4
	;; [unrolled: 1-line block ×3, first 2 shown]
	s_waitcnt lgkmcnt(0)
	v_add_nc_u32_e32 v4, v10, v6
	ds_bpermute_b32 v5, v11, v0
	ds_bpermute_b32 v6, v11, v1
	;; [unrolled: 1-line block ×4, first 2 shown]
	s_and_b32 exec_lo, exec_lo, vcc_lo
	s_cbranch_execz .LBB62_14
; %bb.42:
	s_load_b64 s[0:1], s[0:1], 0x50
	s_waitcnt lgkmcnt(0)
	v_add_nc_u32_e32 v0, v5, v0
	v_add_nc_u32_e32 v1, v6, v1
	;; [unrolled: 1-line block ×4, first 2 shown]
	v_lshlrev_b32_e32 v5, 2, v3
	v_mul_lo_u32 v0, v0, s13
	v_mul_lo_u32 v1, v1, s13
	;; [unrolled: 1-line block ×4, first 2 shown]
	s_cmp_eq_u32 s14, 0
	s_cbranch_scc1 .LBB62_44
; %bb.43:
	v_ashrrev_i32_e32 v6, 31, v5
	s_mov_b32 s2, 0
	s_delay_alu instid0(VALU_DEP_1) | instskip(NEXT) | instid1(VALU_DEP_1)
	v_lshlrev_b64 v[6:7], 2, v[5:6]
	v_add_co_u32 v13, vcc_lo, s0, v6
	s_delay_alu instid0(VALU_DEP_2)
	v_add_co_ci_u32_e32 v14, vcc_lo, s1, v7, vcc_lo
	global_load_b128 v[6:9], v[13:14], off
	s_waitcnt vmcnt(0)
	v_mad_u64_u32 v[15:16], null, v9, s14, v[4:5]
	v_mad_u64_u32 v[9:10], null, v6, s14, v[0:1]
	;; [unrolled: 1-line block ×4, first 2 shown]
	s_delay_alu instid0(VALU_DEP_4)
	v_mov_b32_e32 v12, v15
	global_store_b128 v[13:14], v[9:12], off
.LBB62_44:
	s_and_not1_b32 vcc_lo, exec_lo, s2
	s_cbranch_vccnz .LBB62_14
; %bb.45:
	v_ashrrev_i32_e32 v6, 31, v5
	s_delay_alu instid0(VALU_DEP_2) | instskip(NEXT) | instid1(VALU_DEP_2)
	v_mov_b32_e32 v3, v4
	v_lshlrev_b64 v[5:6], 2, v[5:6]
	s_delay_alu instid0(VALU_DEP_1) | instskip(NEXT) | instid1(VALU_DEP_2)
	v_add_co_u32 v5, vcc_lo, s0, v5
	v_add_co_ci_u32_e32 v6, vcc_lo, s1, v6, vcc_lo
	global_store_b128 v[5:6], v[0:3], off
	s_nop 0
	s_sendmsg sendmsg(MSG_DEALLOC_VGPRS)
	s_endpgm
	.section	.rodata,"a",@progbits
	.p2align	6, 0x0
	.amdhsa_kernel _ZN9rocsparseL18bsrxmvn_4x4_kernelILj128ELj16EiiiaaiEEvT3_20rocsparse_direction_NS_24const_host_device_scalarIT1_EES1_PKS1_PKT2_SA_S7_PKT4_PKT5_S5_PT6_21rocsparse_index_base_b
		.amdhsa_group_segment_fixed_size 0
		.amdhsa_private_segment_fixed_size 0
		.amdhsa_kernarg_size 96
		.amdhsa_user_sgpr_count 15
		.amdhsa_user_sgpr_dispatch_ptr 0
		.amdhsa_user_sgpr_queue_ptr 0
		.amdhsa_user_sgpr_kernarg_segment_ptr 1
		.amdhsa_user_sgpr_dispatch_id 0
		.amdhsa_user_sgpr_private_segment_size 0
		.amdhsa_wavefront_size32 1
		.amdhsa_uses_dynamic_stack 0
		.amdhsa_enable_private_segment 0
		.amdhsa_system_sgpr_workgroup_id_x 1
		.amdhsa_system_sgpr_workgroup_id_y 0
		.amdhsa_system_sgpr_workgroup_id_z 0
		.amdhsa_system_sgpr_workgroup_info 0
		.amdhsa_system_vgpr_workitem_id 0
		.amdhsa_next_free_vgpr 60
		.amdhsa_next_free_sgpr 17
		.amdhsa_reserve_vcc 1
		.amdhsa_float_round_mode_32 0
		.amdhsa_float_round_mode_16_64 0
		.amdhsa_float_denorm_mode_32 3
		.amdhsa_float_denorm_mode_16_64 3
		.amdhsa_dx10_clamp 1
		.amdhsa_ieee_mode 1
		.amdhsa_fp16_overflow 0
		.amdhsa_workgroup_processor_mode 1
		.amdhsa_memory_ordered 1
		.amdhsa_forward_progress 0
		.amdhsa_shared_vgpr_count 0
		.amdhsa_exception_fp_ieee_invalid_op 0
		.amdhsa_exception_fp_denorm_src 0
		.amdhsa_exception_fp_ieee_div_zero 0
		.amdhsa_exception_fp_ieee_overflow 0
		.amdhsa_exception_fp_ieee_underflow 0
		.amdhsa_exception_fp_ieee_inexact 0
		.amdhsa_exception_int_div_zero 0
	.end_amdhsa_kernel
	.section	.text._ZN9rocsparseL18bsrxmvn_4x4_kernelILj128ELj16EiiiaaiEEvT3_20rocsparse_direction_NS_24const_host_device_scalarIT1_EES1_PKS1_PKT2_SA_S7_PKT4_PKT5_S5_PT6_21rocsparse_index_base_b,"axG",@progbits,_ZN9rocsparseL18bsrxmvn_4x4_kernelILj128ELj16EiiiaaiEEvT3_20rocsparse_direction_NS_24const_host_device_scalarIT1_EES1_PKS1_PKT2_SA_S7_PKT4_PKT5_S5_PT6_21rocsparse_index_base_b,comdat
.Lfunc_end62:
	.size	_ZN9rocsparseL18bsrxmvn_4x4_kernelILj128ELj16EiiiaaiEEvT3_20rocsparse_direction_NS_24const_host_device_scalarIT1_EES1_PKS1_PKT2_SA_S7_PKT4_PKT5_S5_PT6_21rocsparse_index_base_b, .Lfunc_end62-_ZN9rocsparseL18bsrxmvn_4x4_kernelILj128ELj16EiiiaaiEEvT3_20rocsparse_direction_NS_24const_host_device_scalarIT1_EES1_PKS1_PKT2_SA_S7_PKT4_PKT5_S5_PT6_21rocsparse_index_base_b
                                        ; -- End function
	.section	.AMDGPU.csdata,"",@progbits
; Kernel info:
; codeLenInByte = 3892
; NumSgprs: 19
; NumVgprs: 60
; ScratchSize: 0
; MemoryBound: 0
; FloatMode: 240
; IeeeMode: 1
; LDSByteSize: 0 bytes/workgroup (compile time only)
; SGPRBlocks: 2
; VGPRBlocks: 7
; NumSGPRsForWavesPerEU: 19
; NumVGPRsForWavesPerEU: 60
; Occupancy: 16
; WaveLimiterHint : 1
; COMPUTE_PGM_RSRC2:SCRATCH_EN: 0
; COMPUTE_PGM_RSRC2:USER_SGPR: 15
; COMPUTE_PGM_RSRC2:TRAP_HANDLER: 0
; COMPUTE_PGM_RSRC2:TGID_X_EN: 1
; COMPUTE_PGM_RSRC2:TGID_Y_EN: 0
; COMPUTE_PGM_RSRC2:TGID_Z_EN: 0
; COMPUTE_PGM_RSRC2:TIDIG_COMP_CNT: 0
	.section	.text._ZN9rocsparseL18bsrxmvn_4x4_kernelILj128ELj32EiiiaaiEEvT3_20rocsparse_direction_NS_24const_host_device_scalarIT1_EES1_PKS1_PKT2_SA_S7_PKT4_PKT5_S5_PT6_21rocsparse_index_base_b,"axG",@progbits,_ZN9rocsparseL18bsrxmvn_4x4_kernelILj128ELj32EiiiaaiEEvT3_20rocsparse_direction_NS_24const_host_device_scalarIT1_EES1_PKS1_PKT2_SA_S7_PKT4_PKT5_S5_PT6_21rocsparse_index_base_b,comdat
	.globl	_ZN9rocsparseL18bsrxmvn_4x4_kernelILj128ELj32EiiiaaiEEvT3_20rocsparse_direction_NS_24const_host_device_scalarIT1_EES1_PKS1_PKT2_SA_S7_PKT4_PKT5_S5_PT6_21rocsparse_index_base_b ; -- Begin function _ZN9rocsparseL18bsrxmvn_4x4_kernelILj128ELj32EiiiaaiEEvT3_20rocsparse_direction_NS_24const_host_device_scalarIT1_EES1_PKS1_PKT2_SA_S7_PKT4_PKT5_S5_PT6_21rocsparse_index_base_b
	.p2align	8
	.type	_ZN9rocsparseL18bsrxmvn_4x4_kernelILj128ELj32EiiiaaiEEvT3_20rocsparse_direction_NS_24const_host_device_scalarIT1_EES1_PKS1_PKT2_SA_S7_PKT4_PKT5_S5_PT6_21rocsparse_index_base_b,@function
_ZN9rocsparseL18bsrxmvn_4x4_kernelILj128ELj32EiiiaaiEEvT3_20rocsparse_direction_NS_24const_host_device_scalarIT1_EES1_PKS1_PKT2_SA_S7_PKT4_PKT5_S5_PT6_21rocsparse_index_base_b: ; @_ZN9rocsparseL18bsrxmvn_4x4_kernelILj128ELj32EiiiaaiEEvT3_20rocsparse_direction_NS_24const_host_device_scalarIT1_EES1_PKS1_PKT2_SA_S7_PKT4_PKT5_S5_PT6_21rocsparse_index_base_b
; %bb.0:
	s_clause 0x1
	s_load_b64 s[12:13], s[0:1], 0x58
	s_load_b64 s[4:5], s[0:1], 0x8
	s_mov_b32 s7, -1
	s_waitcnt lgkmcnt(0)
	s_bitcmp1_b32 s13, 0
                                        ; implicit-def: $sgpr13
	s_cselect_b32 s2, -1, 0
	s_delay_alu instid0(SALU_CYCLE_1) | instskip(NEXT) | instid1(SALU_CYCLE_1)
	s_xor_b32 s6, s2, -1
	s_and_b32 vcc_lo, exec_lo, s6
	s_cbranch_vccnz .LBB63_4
; %bb.1:
	s_load_b64 s[2:3], s[0:1], 0x48
	s_and_not1_b32 vcc_lo, exec_lo, s7
	s_cbranch_vccz .LBB63_5
.LBB63_2:
	s_and_b32 vcc_lo, exec_lo, s6
	s_cbranch_vccz .LBB63_6
.LBB63_3:
	s_waitcnt lgkmcnt(0)
	s_load_b32 s14, s[2:3], 0x0
	s_cbranch_execz .LBB63_7
	s_branch .LBB63_8
.LBB63_4:
	s_load_b32 s13, s[4:5], 0x0
	s_load_b64 s[2:3], s[0:1], 0x48
	s_cbranch_execnz .LBB63_2
.LBB63_5:
	s_waitcnt lgkmcnt(0)
	s_mov_b32 s13, s4
	s_and_b32 vcc_lo, exec_lo, s6
	s_cbranch_vccnz .LBB63_3
.LBB63_6:
	s_waitcnt lgkmcnt(0)
                                        ; implicit-def: $sgpr14
.LBB63_7:
	s_waitcnt lgkmcnt(0)
	s_mov_b32 s14, s2
.LBB63_8:
	s_cmp_lg_u32 s13, 0
	s_mov_b32 s6, 0
	s_cselect_b32 s2, -1, 0
	s_waitcnt lgkmcnt(0)
	s_cmp_lg_u32 s14, 1
	s_cselect_b32 s3, -1, 0
	s_delay_alu instid0(SALU_CYCLE_1) | instskip(NEXT) | instid1(SALU_CYCLE_1)
	s_or_b32 s2, s2, s3
	s_and_not1_b32 vcc_lo, exec_lo, s2
	s_cbranch_vccnz .LBB63_14
; %bb.9:
	s_clause 0x1
	s_load_b64 s[4:5], s[0:1], 0x18
	s_load_b64 s[2:3], s[0:1], 0x0
	v_lshrrev_b32_e32 v1, 5, v0
	s_delay_alu instid0(VALU_DEP_1)
	v_lshl_or_b32 v3, s15, 2, v1
	s_waitcnt lgkmcnt(0)
	s_cmp_lg_u64 s[4:5], 0
	s_cbranch_scc0 .LBB63_15
; %bb.10:
	s_load_b32 s6, s[0:1], 0x10
	s_mov_b32 s7, 0
                                        ; implicit-def: $vgpr1
	s_waitcnt lgkmcnt(0)
	v_cmp_gt_i32_e32 vcc_lo, s6, v3
	s_mov_b32 s6, 0
	s_and_saveexec_b32 s8, vcc_lo
	s_delay_alu instid0(SALU_CYCLE_1)
	s_xor_b32 s8, exec_lo, s8
	s_cbranch_execz .LBB63_12
; %bb.11:
	v_ashrrev_i32_e32 v4, 31, v3
	s_mov_b32 s6, exec_lo
	s_delay_alu instid0(VALU_DEP_1) | instskip(NEXT) | instid1(VALU_DEP_1)
	v_lshlrev_b64 v[1:2], 2, v[3:4]
	v_add_co_u32 v1, vcc_lo, s4, v1
	s_delay_alu instid0(VALU_DEP_2)
	v_add_co_ci_u32_e32 v2, vcc_lo, s5, v2, vcc_lo
	global_load_b32 v1, v[1:2], off
	s_waitcnt vmcnt(0)
	v_subrev_nc_u32_e32 v1, s12, v1
.LBB63_12:
	s_or_b32 exec_lo, exec_lo, s8
	s_delay_alu instid0(SALU_CYCLE_1)
	s_and_b32 vcc_lo, exec_lo, s7
	s_cbranch_vccz .LBB63_16
.LBB63_13:
	v_cmp_gt_i32_e32 vcc_lo, s2, v3
	s_and_not1_b32 s2, s6, exec_lo
	s_and_b32 s4, vcc_lo, exec_lo
	s_delay_alu instid0(SALU_CYCLE_1) | instskip(NEXT) | instid1(SALU_CYCLE_1)
	s_or_b32 s6, s2, s4
	s_and_saveexec_b32 s2, s6
	s_cbranch_execnz .LBB63_17
.LBB63_14:
	s_nop 0
	s_sendmsg sendmsg(MSG_DEALLOC_VGPRS)
	s_endpgm
.LBB63_15:
                                        ; implicit-def: $vgpr1
	s_cbranch_execnz .LBB63_13
.LBB63_16:
	s_delay_alu instid0(VALU_DEP_1)
	v_mov_b32_e32 v3, v1
	s_and_saveexec_b32 s2, s6
	s_cbranch_execz .LBB63_14
.LBB63_17:
	s_load_b256 s[4:11], s[0:1], 0x20
	s_delay_alu instid0(VALU_DEP_1) | instskip(SKIP_1) | instid1(VALU_DEP_2)
	v_ashrrev_i32_e32 v4, 31, v3
	v_and_b32_e32 v8, 31, v0
	v_lshlrev_b64 v[1:2], 2, v[3:4]
	s_waitcnt lgkmcnt(0)
	s_delay_alu instid0(VALU_DEP_1) | instskip(NEXT) | instid1(VALU_DEP_2)
	v_add_co_u32 v4, vcc_lo, s4, v1
	v_add_co_ci_u32_e32 v5, vcc_lo, s5, v2, vcc_lo
	v_add_co_u32 v1, vcc_lo, s6, v1
	v_add_co_ci_u32_e32 v2, vcc_lo, s7, v2, vcc_lo
	global_load_b32 v13, v[4:5], off
	v_add_co_u32 v4, vcc_lo, v4, 4
	v_add_co_ci_u32_e32 v5, vcc_lo, 0, v5, vcc_lo
	s_cmp_eq_u64 s[6:7], 0
	s_load_b64 s[6:7], s[0:1], 0x40
	s_cselect_b32 vcc_lo, -1, 0
	s_cmp_eq_u32 s3, 1
	v_dual_cndmask_b32 v2, v2, v5 :: v_dual_cndmask_b32 v1, v1, v4
	global_load_b32 v4, v[1:2], off
	s_waitcnt vmcnt(1)
	v_subrev_nc_u32_e32 v0, s12, v13
	s_delay_alu instid0(VALU_DEP_1) | instskip(NEXT) | instid1(VALU_DEP_1)
	v_add_nc_u32_e32 v0, v0, v8
	v_ashrrev_i32_e32 v1, 31, v0
	s_waitcnt vmcnt(0)
	v_subrev_nc_u32_e32 v14, s12, v4
	s_delay_alu instid0(VALU_DEP_2) | instskip(NEXT) | instid1(VALU_DEP_2)
	v_lshlrev_b64 v[1:2], 4, v[0:1]
	v_cmp_lt_i32_e64 s2, v0, v14
	s_delay_alu instid0(VALU_DEP_2) | instskip(NEXT) | instid1(VALU_DEP_3)
	v_add_co_u32 v4, vcc_lo, s10, v1
	v_add_co_ci_u32_e32 v5, vcc_lo, s11, v2, vcc_lo
	s_cbranch_scc1 .LBB63_29
; %bb.18:
	v_dual_mov_b32 v10, 0 :: v_dual_mov_b32 v11, 0
	v_dual_mov_b32 v12, 0 :: v_dual_mov_b32 v9, 0
	s_mov_b32 s10, 0
	s_and_saveexec_b32 s11, s2
	s_cbranch_execz .LBB63_28
; %bb.19:
	v_dual_mov_b32 v12, 0 :: v_dual_add_nc_u32 v1, v13, v8
	v_not_b32_e32 v2, v13
	v_mov_b32_e32 v9, 0
	v_mov_b32_e32 v11, 0
	s_delay_alu instid0(VALU_DEP_4) | instskip(SKIP_2) | instid1(VALU_DEP_1)
	v_subrev_nc_u32_e32 v1, s12, v1
	s_mov_b32 s16, 0
	s_mov_b32 s15, exec_lo
	v_dual_mov_b32 v10, 0 :: v_dual_add_nc_u32 v1, 32, v1
	s_delay_alu instid0(VALU_DEP_1) | instskip(NEXT) | instid1(VALU_DEP_1)
	v_max_i32_e32 v1, v1, v14
	v_add3_u32 v1, v1, s12, v2
	s_delay_alu instid0(VALU_DEP_1) | instskip(SKIP_1) | instid1(VALU_DEP_2)
	v_sub_nc_u32_e32 v2, v1, v8
	v_mov_b32_e32 v1, v0
	v_lshrrev_b32_e32 v6, 5, v2
	s_delay_alu instid0(VALU_DEP_1)
	v_add_nc_u32_e32 v15, 1, v6
	v_dual_mov_b32 v7, v5 :: v_dual_mov_b32 v6, v4
	v_cmpx_lt_u32_e32 0x5f, v2
	s_cbranch_execz .LBB63_23
; %bb.20:
	s_delay_alu instid0(VALU_DEP_3)
	v_dual_mov_b32 v7, v5 :: v_dual_and_b32 v16, 0xffffffc, v15
	v_dual_mov_b32 v10, 0 :: v_dual_mov_b32 v1, v0
	v_dual_mov_b32 v6, v4 :: v_dual_mov_b32 v11, 0
	v_dual_mov_b32 v12, 0 :: v_dual_mov_b32 v9, 0
.LBB63_21:                              ; =>This Inner Loop Header: Depth=1
	s_delay_alu instid0(VALU_DEP_3) | instskip(SKIP_1) | instid1(VALU_DEP_2)
	v_ashrrev_i32_e32 v2, 31, v1
	v_add_nc_u32_e32 v16, -4, v16
	v_lshlrev_b64 v[17:18], 2, v[1:2]
	v_add_nc_u32_e32 v1, 0x80, v1
	s_delay_alu instid0(VALU_DEP_2) | instskip(NEXT) | instid1(VALU_DEP_3)
	v_add_co_u32 v17, vcc_lo, s8, v17
	v_add_co_ci_u32_e32 v18, vcc_lo, s9, v18, vcc_lo
	s_clause 0x3
	global_load_b32 v2, v[17:18], off
	global_load_b32 v33, v[17:18], off offset:128
	global_load_b32 v34, v[17:18], off offset:256
	;; [unrolled: 1-line block ×3, first 2 shown]
	s_clause 0x3
	global_load_b128 v[17:20], v[6:7], off
	global_load_b128 v[21:24], v[6:7], off offset:512
	global_load_b128 v[25:28], v[6:7], off offset:1024
	;; [unrolled: 1-line block ×3, first 2 shown]
	s_waitcnt vmcnt(7)
	v_subrev_nc_u32_e32 v2, s12, v2
	s_waitcnt vmcnt(6)
	v_subrev_nc_u32_e32 v33, s12, v33
	;; [unrolled: 2-line block ×4, first 2 shown]
	v_lshlrev_b32_e32 v2, 2, v2
	v_lshlrev_b32_e32 v33, 2, v33
	;; [unrolled: 1-line block ×3, first 2 shown]
	s_delay_alu instid0(VALU_DEP_4)
	v_lshlrev_b32_e32 v36, 2, v35
	s_waitcnt vmcnt(1)
	v_bfe_i32 v44, v25, 0, 8
	v_ashrrev_i32_e32 v38, 31, v2
	v_ashrrev_i32_e32 v41, 31, v33
	;; [unrolled: 1-line block ×4, first 2 shown]
	s_waitcnt lgkmcnt(0)
	v_add_co_u32 v39, s5, s6, v2
	v_add_co_u32 v33, vcc_lo, s6, v33
	v_add_co_u32 v35, s3, s6, v34
	v_add_co_ci_u32_e64 v40, s5, s7, v38, s5
	v_add_co_u32 v37, s4, s6, v36
	v_add_co_ci_u32_e32 v34, vcc_lo, s7, v41, vcc_lo
	v_add_co_ci_u32_e64 v36, vcc_lo, s7, v42, s3
	v_add_co_ci_u32_e64 v38, vcc_lo, s7, v43, s4
	s_clause 0x3
	global_load_b32 v2, v[39:40], off
	global_load_b32 v33, v[33:34], off
	;; [unrolled: 1-line block ×4, first 2 shown]
	v_lshrrev_b16 v36, 8, v17
	v_ashrrev_i32_e32 v37, 24, v17
	v_bfe_i32 v38, v17, 0, 8
	v_bfe_i32 v17, v17, 16, 8
	v_lshrrev_b16 v39, 8, v21
	v_ashrrev_i32_e32 v40, 24, v21
	v_bfe_i32 v41, v21, 0, 8
	v_bfe_i32 v21, v21, 16, 8
	;; [unrolled: 1-line block ×3, first 2 shown]
	v_lshrrev_b16 v42, 8, v25
	v_ashrrev_i32_e32 v43, 24, v25
	v_bfe_i32 v25, v25, 16, 8
	v_bfe_i32 v39, v39, 0, 8
	s_waitcnt vmcnt(4)
	v_lshrrev_b16 v45, 8, v29
	v_ashrrev_i32_e32 v46, 24, v29
	v_bfe_i32 v47, v29, 0, 8
	v_bfe_i32 v29, v29, 16, 8
	;; [unrolled: 1-line block ×4, first 2 shown]
	v_add_co_u32 v6, vcc_lo, 0x800, v6
	v_add_co_ci_u32_e32 v7, vcc_lo, 0, v7, vcc_lo
	v_cmp_eq_u32_e32 vcc_lo, 0, v16
	s_or_b32 s16, vcc_lo, s16
	s_waitcnt vmcnt(3)
	v_lshrrev_b16 v48, 8, v2
	v_ashrrev_i32_e32 v50, 24, v2
	v_bfe_i32 v51, v2, 16, 8
	v_bfe_i32 v49, v2, 0, 8
	v_dot4_i32_iu8 v12, v2, v18, v12 neg_lo:[1,1,0]
	v_dot4_i32_iu8 v11, v2, v19, v11 neg_lo:[1,1,0]
	;; [unrolled: 1-line block ×3, first 2 shown]
	s_waitcnt vmcnt(2)
	v_lshrrev_b16 v10, 8, v33
	v_ashrrev_i32_e32 v19, 24, v33
	v_bfe_i32 v20, v33, 16, 8
	v_bfe_i32 v48, v48, 0, 8
	v_mul_i32_i24_e32 v17, v51, v17
	v_mul_i32_i24_e32 v37, v50, v37
	v_bfe_i32 v18, v33, 0, 8
	s_waitcnt vmcnt(1)
	v_lshrrev_b16 v52, 8, v34
	v_ashrrev_i32_e32 v54, 24, v34
	v_bfe_i32 v55, v34, 16, 8
	v_bfe_i32 v10, v10, 0, 8
	v_mul_i32_i24_e32 v20, v20, v21
	v_mul_i32_i24_e32 v19, v19, v40
	v_dot4_i32_iu8 v2, v33, v24, v2 neg_lo:[1,1,0]
	v_mad_i32_i24 v17, v49, v38, v17
	v_mad_i32_i24 v24, v48, v36, v37
	v_bfe_i32 v53, v34, 0, 8
	s_waitcnt vmcnt(0)
	v_lshrrev_b16 v56, 8, v35
	v_ashrrev_i32_e32 v58, 24, v35
	v_bfe_i32 v59, v35, 16, 8
	v_dot4_i32_iu8 v12, v33, v22, v12 neg_lo:[1,1,0]
	v_dot4_i32_iu8 v11, v33, v23, v11 neg_lo:[1,1,0]
	v_bfe_i32 v21, v52, 0, 8
	v_mul_i32_i24_e32 v22, v55, v25
	v_mul_i32_i24_e32 v23, v54, v43
	v_mad_i32_i24 v18, v18, v41, v20
	v_mad_i32_i24 v10, v10, v39, v19
	v_add3_u32 v9, v17, v24, v9
	v_bfe_i32 v57, v35, 0, 8
	v_bfe_i32 v25, v56, 0, 8
	v_mul_i32_i24_e32 v29, v59, v29
	v_mul_i32_i24_e32 v17, v58, v46
	v_mad_i32_i24 v19, v53, v44, v22
	v_mad_i32_i24 v20, v21, v42, v23
	v_add3_u32 v9, v18, v10, v9
	v_dot4_i32_iu8 v12, v34, v26, v12 neg_lo:[1,1,0]
	v_dot4_i32_iu8 v10, v34, v27, v11 neg_lo:[1,1,0]
	;; [unrolled: 1-line block ×3, first 2 shown]
	v_mad_i32_i24 v18, v57, v47, v29
	v_mad_i32_i24 v17, v25, v45, v17
	v_add3_u32 v9, v19, v20, v9
	v_dot4_i32_iu8 v12, v35, v30, v12 neg_lo:[1,1,0]
	v_dot4_i32_iu8 v11, v35, v31, v10 neg_lo:[1,1,0]
	;; [unrolled: 1-line block ×3, first 2 shown]
	s_delay_alu instid0(VALU_DEP_4)
	v_add3_u32 v9, v18, v17, v9
	s_and_not1_b32 exec_lo, exec_lo, s16
	s_cbranch_execnz .LBB63_21
; %bb.22:
	s_or_b32 exec_lo, exec_lo, s16
.LBB63_23:
	s_delay_alu instid0(SALU_CYCLE_1) | instskip(SKIP_3) | instid1(VALU_DEP_1)
	s_or_b32 exec_lo, exec_lo, s15
	v_and_b32_e32 v2, 3, v15
	s_mov_b32 s4, 0
	s_mov_b32 s3, exec_lo
	v_cmpx_ne_u32_e32 0, v2
	s_cbranch_execz .LBB63_27
; %bb.24:
	v_lshlrev_b32_e32 v15, 4, v2
.LBB63_25:                              ; =>This Inner Loop Header: Depth=1
	v_ashrrev_i32_e32 v2, 31, v1
	s_delay_alu instid0(VALU_DEP_2) | instskip(NEXT) | instid1(VALU_DEP_2)
	v_add_nc_u32_e32 v15, -16, v15
	v_lshlrev_b64 v[16:17], 2, v[1:2]
	v_add_nc_u32_e32 v1, 32, v1
	s_delay_alu instid0(VALU_DEP_2) | instskip(NEXT) | instid1(VALU_DEP_3)
	v_add_co_u32 v16, vcc_lo, s8, v16
	v_add_co_ci_u32_e32 v17, vcc_lo, s9, v17, vcc_lo
	global_load_b32 v2, v[16:17], off
	s_waitcnt vmcnt(0)
	v_subrev_nc_u32_e32 v2, s12, v2
	s_delay_alu instid0(VALU_DEP_1) | instskip(NEXT) | instid1(VALU_DEP_1)
	v_lshlrev_b32_e32 v2, 2, v2
	v_ashrrev_i32_e32 v16, 31, v2
	s_waitcnt lgkmcnt(0)
	v_add_co_u32 v20, vcc_lo, s6, v2
	s_delay_alu instid0(VALU_DEP_2)
	v_add_co_ci_u32_e32 v21, vcc_lo, s7, v16, vcc_lo
	global_load_b128 v[16:19], v[6:7], off
	global_load_b32 v2, v[20:21], off
	v_add_co_u32 v6, vcc_lo, 0x200, v6
	v_add_co_ci_u32_e32 v7, vcc_lo, 0, v7, vcc_lo
	v_cmp_eq_u32_e32 vcc_lo, 0, v15
	s_or_b32 s4, vcc_lo, s4
	s_waitcnt vmcnt(1)
	v_lshrrev_b16 v20, 8, v16
	v_ashrrev_i32_e32 v21, 24, v16
	v_bfe_i32 v22, v16, 0, 8
	v_bfe_i32 v16, v16, 16, 8
	s_waitcnt vmcnt(0)
	v_lshrrev_b16 v23, 8, v2
	v_bfe_i32 v24, v2, 16, 8
	v_ashrrev_i32_e32 v25, 24, v2
	v_bfe_i32 v20, v20, 0, 8
	v_bfe_i32 v26, v2, 0, 8
	;; [unrolled: 1-line block ×3, first 2 shown]
	v_mul_i32_i24_e32 v16, v24, v16
	v_mul_i32_i24_e32 v21, v25, v21
	v_dot4_i32_iu8 v12, v2, v17, v12 neg_lo:[1,1,0]
	v_dot4_i32_iu8 v11, v2, v18, v11 neg_lo:[1,1,0]
	;; [unrolled: 1-line block ×3, first 2 shown]
	v_mad_i32_i24 v16, v26, v22, v16
	v_mad_i32_i24 v20, v23, v20, v21
	s_delay_alu instid0(VALU_DEP_1)
	v_add3_u32 v9, v16, v20, v9
	s_and_not1_b32 exec_lo, exec_lo, s4
	s_cbranch_execnz .LBB63_25
; %bb.26:
	s_or_b32 exec_lo, exec_lo, s4
.LBB63_27:
	s_delay_alu instid0(SALU_CYCLE_1)
	s_or_b32 exec_lo, exec_lo, s3
.LBB63_28:
	s_delay_alu instid0(SALU_CYCLE_1) | instskip(NEXT) | instid1(SALU_CYCLE_1)
	s_or_b32 exec_lo, exec_lo, s11
	s_and_not1_b32 vcc_lo, exec_lo, s10
	s_cbranch_vccz .LBB63_30
	s_branch .LBB63_41
.LBB63_29:
                                        ; implicit-def: $vgpr10
                                        ; implicit-def: $vgpr11
                                        ; implicit-def: $vgpr12
                                        ; implicit-def: $vgpr9
.LBB63_30:
	v_dual_mov_b32 v10, 0 :: v_dual_mov_b32 v11, 0
	v_dual_mov_b32 v12, 0 :: v_dual_mov_b32 v9, 0
	s_and_saveexec_b32 s5, s2
	s_cbranch_execz .LBB63_40
; %bb.31:
	v_dual_mov_b32 v12, 0 :: v_dual_add_nc_u32 v1, v13, v8
	v_not_b32_e32 v2, v13
	v_mov_b32_e32 v11, 0
	s_mov_b32 s11, 0
	s_delay_alu instid0(VALU_DEP_3) | instskip(SKIP_1) | instid1(VALU_DEP_1)
	v_subrev_nc_u32_e32 v1, s12, v1
	s_mov_b32 s10, exec_lo
	v_dual_mov_b32 v10, 0 :: v_dual_add_nc_u32 v1, 32, v1
	s_delay_alu instid0(VALU_DEP_1) | instskip(NEXT) | instid1(VALU_DEP_1)
	v_max_i32_e32 v1, v1, v14
	v_add3_u32 v1, v1, s12, v2
	s_delay_alu instid0(VALU_DEP_1) | instskip(NEXT) | instid1(VALU_DEP_1)
	v_sub_nc_u32_e32 v1, v1, v8
	v_lshrrev_b32_e32 v2, 5, v1
	s_delay_alu instid0(VALU_DEP_1)
	v_dual_mov_b32 v9, 0 :: v_dual_add_nc_u32 v2, 1, v2
	v_cmpx_lt_u32_e32 0x5f, v1
	s_cbranch_execz .LBB63_35
; %bb.32:
	s_delay_alu instid0(VALU_DEP_2)
	v_dual_mov_b32 v11, 0 :: v_dual_and_b32 v6, 0xffffffc, v2
	v_dual_mov_b32 v10, 0 :: v_dual_mov_b32 v9, 0
	v_mov_b32_e32 v12, 0
.LBB63_33:                              ; =>This Inner Loop Header: Depth=1
	v_ashrrev_i32_e32 v1, 31, v0
	s_delay_alu instid0(VALU_DEP_4) | instskip(NEXT) | instid1(VALU_DEP_2)
	v_add_nc_u32_e32 v6, -4, v6
	v_lshlrev_b64 v[13:14], 2, v[0:1]
	v_add_nc_u32_e32 v0, 0x80, v0
	s_delay_alu instid0(VALU_DEP_2) | instskip(NEXT) | instid1(VALU_DEP_3)
	v_add_co_u32 v13, vcc_lo, s8, v13
	v_add_co_ci_u32_e32 v14, vcc_lo, s9, v14, vcc_lo
	s_clause 0x3
	global_load_b32 v1, v[13:14], off
	global_load_b32 v7, v[13:14], off offset:128
	global_load_b32 v29, v[13:14], off offset:256
	;; [unrolled: 1-line block ×3, first 2 shown]
	s_clause 0x3
	global_load_b128 v[13:16], v[4:5], off
	global_load_b128 v[17:20], v[4:5], off offset:512
	global_load_b128 v[21:24], v[4:5], off offset:1024
	global_load_b128 v[25:28], v[4:5], off offset:1536
	s_waitcnt vmcnt(7)
	v_subrev_nc_u32_e32 v1, s12, v1
	s_waitcnt vmcnt(6)
	v_subrev_nc_u32_e32 v7, s12, v7
	;; [unrolled: 2-line block ×4, first 2 shown]
	v_lshlrev_b32_e32 v1, 2, v1
	v_lshlrev_b32_e32 v7, 2, v7
	;; [unrolled: 1-line block ×3, first 2 shown]
	s_delay_alu instid0(VALU_DEP_4)
	v_lshlrev_b32_e32 v30, 2, v30
	s_waitcnt vmcnt(2)
	v_perm_b32 v38, v20, v19, 0x5010c0c
	v_ashrrev_i32_e32 v32, 31, v1
	s_waitcnt lgkmcnt(0)
	v_add_co_u32 v34, s4, s6, v1
	v_ashrrev_i32_e32 v36, 31, v7
	v_add_co_u32 v29, vcc_lo, s6, v7
	v_add_co_ci_u32_e64 v35, s4, s7, v32, s4
	v_ashrrev_i32_e32 v7, 31, v31
	v_ashrrev_i32_e32 v37, 31, v30
	v_add_co_u32 v33, s3, s6, v30
	v_add_co_ci_u32_e32 v30, vcc_lo, s7, v36, vcc_lo
	global_load_b32 v1, v[34:35], off
	v_add_co_u32 v31, s2, s6, v31
	s_delay_alu instid0(VALU_DEP_1)
	v_add_co_ci_u32_e64 v32, vcc_lo, s7, v7, s2
	global_load_b32 v7, v[29:30], off
	v_add_co_ci_u32_e64 v34, vcc_lo, s7, v37, s3
	s_clause 0x1
	global_load_b32 v29, v[31:32], off
	global_load_b32 v30, v[33:34], off
	v_perm_b32 v31, v14, v13, 0xc0c0400
	v_perm_b32 v32, v16, v15, 0x4000c0c
	v_perm_b32 v33, v14, v13, 0xc0c0501
	v_perm_b32 v34, v16, v15, 0x5010c0c
	v_perm_b32 v35, v14, v13, 0xc0c0602
	v_perm_b32 v36, v16, v15, 0x6020c0c
	v_perm_b32 v13, v14, v13, 0xc0c0703
	v_perm_b32 v14, v16, v15, 0x7030c0c
	v_perm_b32 v15, v18, v17, 0xc0c0400
	v_perm_b32 v16, v20, v19, 0x4000c0c
	v_perm_b32 v37, v18, v17, 0xc0c0501
	v_perm_b32 v39, v18, v17, 0xc0c0602
	v_perm_b32 v40, v20, v19, 0x6020c0c
	v_perm_b32 v17, v18, v17, 0xc0c0703
	v_perm_b32 v18, v20, v19, 0x7030c0c
	s_waitcnt vmcnt(5)
	v_perm_b32 v19, v22, v21, 0xc0c0400
	v_perm_b32 v20, v24, v23, 0x4000c0c
	;; [unrolled: 1-line block ×8, first 2 shown]
	s_waitcnt vmcnt(4)
	v_perm_b32 v23, v26, v25, 0xc0c0400
	v_perm_b32 v24, v28, v27, 0x4000c0c
	;; [unrolled: 1-line block ×8, first 2 shown]
	v_or_b32_e32 v27, v32, v31
	v_or_b32_e32 v28, v34, v33
	;; [unrolled: 1-line block ×12, first 2 shown]
	v_add_co_u32 v4, vcc_lo, 0x800, v4
	v_or_b32_e32 v22, v24, v23
	v_or_b32_e32 v23, v46, v45
	v_add_co_ci_u32_e32 v5, vcc_lo, 0, v5, vcc_lo
	v_cmp_eq_u32_e32 vcc_lo, 0, v6
	s_or_b32 s11, vcc_lo, s11
	s_waitcnt vmcnt(3)
	v_dot4_i32_iu8 v9, v1, v27, v9 neg_lo:[1,1,0]
	v_dot4_i32_iu8 v12, v28, v1, v12 neg_lo:[1,1,0]
	;; [unrolled: 1-line block ×4, first 2 shown]
	v_or_b32_e32 v10, v48, v47
	s_waitcnt vmcnt(2)
	v_dot4_i32_iu8 v9, v7, v14, v9 neg_lo:[1,1,0]
	v_dot4_i32_iu8 v12, v15, v7, v12 neg_lo:[1,1,0]
	;; [unrolled: 1-line block ×4, first 2 shown]
	v_or_b32_e32 v7, v26, v25
	s_waitcnt vmcnt(1)
	v_dot4_i32_iu8 v9, v29, v18, v9 neg_lo:[1,1,0]
	v_dot4_i32_iu8 v12, v19, v29, v12 neg_lo:[1,1,0]
	;; [unrolled: 1-line block ×4, first 2 shown]
	s_waitcnt vmcnt(0)
	v_dot4_i32_iu8 v9, v30, v22, v9 neg_lo:[1,1,0]
	v_dot4_i32_iu8 v12, v23, v30, v12 neg_lo:[1,1,0]
	v_dot4_i32_iu8 v11, v10, v30, v11 neg_lo:[1,1,0]
	v_dot4_i32_iu8 v10, v7, v30, v1 neg_lo:[1,1,0]
	s_and_not1_b32 exec_lo, exec_lo, s11
	s_cbranch_execnz .LBB63_33
; %bb.34:
	s_or_b32 exec_lo, exec_lo, s11
.LBB63_35:
	s_delay_alu instid0(SALU_CYCLE_1) | instskip(NEXT) | instid1(VALU_DEP_2)
	s_or_b32 exec_lo, exec_lo, s10
	v_and_b32_e32 v1, 3, v2
	s_mov_b32 s3, 0
	s_mov_b32 s2, exec_lo
	s_delay_alu instid0(VALU_DEP_1)
	v_cmpx_ne_u32_e32 0, v1
	s_cbranch_execz .LBB63_39
; %bb.36:
	v_lshlrev_b32_e32 v2, 4, v1
.LBB63_37:                              ; =>This Inner Loop Header: Depth=1
	v_ashrrev_i32_e32 v1, 31, v0
	global_load_b128 v[13:16], v[4:5], off
	v_add_nc_u32_e32 v2, -16, v2
	v_lshlrev_b64 v[6:7], 2, v[0:1]
	v_add_nc_u32_e32 v0, 32, v0
	s_delay_alu instid0(VALU_DEP_2) | instskip(NEXT) | instid1(VALU_DEP_3)
	v_add_co_u32 v6, vcc_lo, s8, v6
	v_add_co_ci_u32_e32 v7, vcc_lo, s9, v7, vcc_lo
	global_load_b32 v1, v[6:7], off
	s_waitcnt vmcnt(1)
	v_perm_b32 v17, v14, v13, 0xc0c0501
	v_perm_b32 v18, v16, v15, 0x5010c0c
	;; [unrolled: 1-line block ×4, first 2 shown]
	s_waitcnt vmcnt(0)
	v_subrev_nc_u32_e32 v1, s12, v1
	s_delay_alu instid0(VALU_DEP_1) | instskip(NEXT) | instid1(VALU_DEP_1)
	v_lshlrev_b32_e32 v1, 2, v1
	v_ashrrev_i32_e32 v7, 31, v1
	s_waitcnt lgkmcnt(0)
	v_add_co_u32 v6, vcc_lo, s6, v1
	s_delay_alu instid0(VALU_DEP_2)
	v_add_co_ci_u32_e32 v7, vcc_lo, s7, v7, vcc_lo
	v_add_co_u32 v4, vcc_lo, 0x200, v4
	v_add_co_ci_u32_e32 v5, vcc_lo, 0, v5, vcc_lo
	global_load_b32 v1, v[6:7], off
	v_perm_b32 v6, v14, v13, 0xc0c0400
	v_perm_b32 v7, v16, v15, 0x4000c0c
	;; [unrolled: 1-line block ×4, first 2 shown]
	v_or_b32_e32 v15, v20, v19
	v_cmp_eq_u32_e32 vcc_lo, 0, v2
	v_or_b32_e32 v6, v7, v6
	v_or_b32_e32 v7, v18, v17
	;; [unrolled: 1-line block ×3, first 2 shown]
	s_or_b32 s3, vcc_lo, s3
	s_waitcnt vmcnt(0)
	v_dot4_i32_iu8 v9, v1, v6, v9 neg_lo:[1,1,0]
	v_dot4_i32_iu8 v12, v7, v1, v12 neg_lo:[1,1,0]
	;; [unrolled: 1-line block ×4, first 2 shown]
	s_and_not1_b32 exec_lo, exec_lo, s3
	s_cbranch_execnz .LBB63_37
; %bb.38:
	s_or_b32 exec_lo, exec_lo, s3
.LBB63_39:
	s_delay_alu instid0(SALU_CYCLE_1)
	s_or_b32 exec_lo, exec_lo, s2
.LBB63_40:
	s_delay_alu instid0(SALU_CYCLE_1)
	s_or_b32 exec_lo, exec_lo, s5
.LBB63_41:
	v_mbcnt_lo_u32_b32 v0, -1, 0
	s_mov_b32 s2, -1
	s_delay_alu instid0(VALU_DEP_1) | instskip(SKIP_1) | instid1(VALU_DEP_2)
	v_xor_b32_e32 v1, 16, v0
	v_xor_b32_e32 v6, 8, v0
	v_cmp_gt_i32_e32 vcc_lo, 32, v1
	v_cndmask_b32_e32 v1, v0, v1, vcc_lo
	s_delay_alu instid0(VALU_DEP_3) | instskip(SKIP_1) | instid1(VALU_DEP_1)
	v_cmp_gt_i32_e32 vcc_lo, 32, v6
	v_cndmask_b32_e32 v6, v0, v6, vcc_lo
	v_lshlrev_b32_e32 v6, 2, v6
	s_delay_alu instid0(VALU_DEP_4)
	v_lshlrev_b32_e32 v1, 2, v1
	ds_bpermute_b32 v5, v1, v11
	ds_bpermute_b32 v2, v1, v9
	;; [unrolled: 1-line block ×4, first 2 shown]
	s_waitcnt lgkmcnt(0)
	v_add_nc_u32_e32 v5, v5, v11
	v_xor_b32_e32 v11, 4, v0
	v_add_nc_u32_e32 v4, v4, v12
	v_add_nc_u32_e32 v1, v1, v10
	ds_bpermute_b32 v10, v6, v5
	v_cmp_gt_i32_e32 vcc_lo, 32, v11
	v_add_nc_u32_e32 v2, v2, v9
	ds_bpermute_b32 v9, v6, v4
	v_cndmask_b32_e32 v11, v0, v11, vcc_lo
	ds_bpermute_b32 v7, v6, v2
	ds_bpermute_b32 v6, v6, v1
	v_lshlrev_b32_e32 v11, 2, v11
	s_waitcnt lgkmcnt(3)
	v_add_nc_u32_e32 v5, v10, v5
	s_waitcnt lgkmcnt(2)
	v_add_nc_u32_e32 v4, v9, v4
	ds_bpermute_b32 v9, v11, v5
	s_waitcnt lgkmcnt(2)
	v_add_nc_u32_e32 v2, v7, v2
	s_waitcnt lgkmcnt(1)
	v_add_nc_u32_e32 v1, v6, v1
	ds_bpermute_b32 v7, v11, v4
	ds_bpermute_b32 v6, v11, v2
	;; [unrolled: 1-line block ×3, first 2 shown]
	v_xor_b32_e32 v11, 2, v0
	s_delay_alu instid0(VALU_DEP_1) | instskip(SKIP_3) | instid1(VALU_DEP_2)
	v_cmp_gt_i32_e32 vcc_lo, 32, v11
	v_cndmask_b32_e32 v11, v0, v11, vcc_lo
	s_waitcnt lgkmcnt(3)
	v_add_nc_u32_e32 v5, v9, v5
	v_lshlrev_b32_e32 v11, 2, v11
	s_waitcnt lgkmcnt(2)
	v_add_nc_u32_e32 v4, v7, v4
	s_waitcnt lgkmcnt(1)
	v_add_nc_u32_e32 v2, v6, v2
	;; [unrolled: 2-line block ×3, first 2 shown]
	ds_bpermute_b32 v9, v11, v5
	ds_bpermute_b32 v7, v11, v4
	;; [unrolled: 1-line block ×4, first 2 shown]
	v_xor_b32_e32 v11, 1, v0
	s_delay_alu instid0(VALU_DEP_1) | instskip(SKIP_2) | instid1(VALU_DEP_2)
	v_cmp_gt_i32_e32 vcc_lo, 32, v11
	v_cndmask_b32_e32 v0, v0, v11, vcc_lo
	v_cmp_eq_u32_e32 vcc_lo, 31, v8
	v_lshlrev_b32_e32 v11, 2, v0
	s_waitcnt lgkmcnt(1)
	v_add_nc_u32_e32 v0, v1, v2
	v_add_nc_u32_e32 v1, v7, v4
	;; [unrolled: 1-line block ×3, first 2 shown]
	s_waitcnt lgkmcnt(0)
	v_add_nc_u32_e32 v4, v10, v6
	ds_bpermute_b32 v5, v11, v0
	ds_bpermute_b32 v6, v11, v1
	;; [unrolled: 1-line block ×4, first 2 shown]
	s_and_b32 exec_lo, exec_lo, vcc_lo
	s_cbranch_execz .LBB63_14
; %bb.42:
	s_load_b64 s[0:1], s[0:1], 0x50
	s_waitcnt lgkmcnt(0)
	v_add_nc_u32_e32 v0, v5, v0
	v_add_nc_u32_e32 v1, v6, v1
	;; [unrolled: 1-line block ×4, first 2 shown]
	v_lshlrev_b32_e32 v5, 2, v3
	v_mul_lo_u32 v0, v0, s13
	v_mul_lo_u32 v1, v1, s13
	;; [unrolled: 1-line block ×4, first 2 shown]
	s_cmp_eq_u32 s14, 0
	s_cbranch_scc1 .LBB63_44
; %bb.43:
	v_ashrrev_i32_e32 v6, 31, v5
	s_mov_b32 s2, 0
	s_delay_alu instid0(VALU_DEP_1) | instskip(NEXT) | instid1(VALU_DEP_1)
	v_lshlrev_b64 v[6:7], 2, v[5:6]
	v_add_co_u32 v13, vcc_lo, s0, v6
	s_delay_alu instid0(VALU_DEP_2)
	v_add_co_ci_u32_e32 v14, vcc_lo, s1, v7, vcc_lo
	global_load_b128 v[6:9], v[13:14], off
	s_waitcnt vmcnt(0)
	v_mad_u64_u32 v[15:16], null, v9, s14, v[4:5]
	v_mad_u64_u32 v[9:10], null, v6, s14, v[0:1]
	;; [unrolled: 1-line block ×4, first 2 shown]
	s_delay_alu instid0(VALU_DEP_4)
	v_mov_b32_e32 v12, v15
	global_store_b128 v[13:14], v[9:12], off
.LBB63_44:
	s_and_not1_b32 vcc_lo, exec_lo, s2
	s_cbranch_vccnz .LBB63_14
; %bb.45:
	v_ashrrev_i32_e32 v6, 31, v5
	s_delay_alu instid0(VALU_DEP_2) | instskip(NEXT) | instid1(VALU_DEP_2)
	v_mov_b32_e32 v3, v4
	v_lshlrev_b64 v[5:6], 2, v[5:6]
	s_delay_alu instid0(VALU_DEP_1) | instskip(NEXT) | instid1(VALU_DEP_2)
	v_add_co_u32 v5, vcc_lo, s0, v5
	v_add_co_ci_u32_e32 v6, vcc_lo, s1, v6, vcc_lo
	global_store_b128 v[5:6], v[0:3], off
	s_nop 0
	s_sendmsg sendmsg(MSG_DEALLOC_VGPRS)
	s_endpgm
	.section	.rodata,"a",@progbits
	.p2align	6, 0x0
	.amdhsa_kernel _ZN9rocsparseL18bsrxmvn_4x4_kernelILj128ELj32EiiiaaiEEvT3_20rocsparse_direction_NS_24const_host_device_scalarIT1_EES1_PKS1_PKT2_SA_S7_PKT4_PKT5_S5_PT6_21rocsparse_index_base_b
		.amdhsa_group_segment_fixed_size 0
		.amdhsa_private_segment_fixed_size 0
		.amdhsa_kernarg_size 96
		.amdhsa_user_sgpr_count 15
		.amdhsa_user_sgpr_dispatch_ptr 0
		.amdhsa_user_sgpr_queue_ptr 0
		.amdhsa_user_sgpr_kernarg_segment_ptr 1
		.amdhsa_user_sgpr_dispatch_id 0
		.amdhsa_user_sgpr_private_segment_size 0
		.amdhsa_wavefront_size32 1
		.amdhsa_uses_dynamic_stack 0
		.amdhsa_enable_private_segment 0
		.amdhsa_system_sgpr_workgroup_id_x 1
		.amdhsa_system_sgpr_workgroup_id_y 0
		.amdhsa_system_sgpr_workgroup_id_z 0
		.amdhsa_system_sgpr_workgroup_info 0
		.amdhsa_system_vgpr_workitem_id 0
		.amdhsa_next_free_vgpr 60
		.amdhsa_next_free_sgpr 17
		.amdhsa_reserve_vcc 1
		.amdhsa_float_round_mode_32 0
		.amdhsa_float_round_mode_16_64 0
		.amdhsa_float_denorm_mode_32 3
		.amdhsa_float_denorm_mode_16_64 3
		.amdhsa_dx10_clamp 1
		.amdhsa_ieee_mode 1
		.amdhsa_fp16_overflow 0
		.amdhsa_workgroup_processor_mode 1
		.amdhsa_memory_ordered 1
		.amdhsa_forward_progress 0
		.amdhsa_shared_vgpr_count 0
		.amdhsa_exception_fp_ieee_invalid_op 0
		.amdhsa_exception_fp_denorm_src 0
		.amdhsa_exception_fp_ieee_div_zero 0
		.amdhsa_exception_fp_ieee_overflow 0
		.amdhsa_exception_fp_ieee_underflow 0
		.amdhsa_exception_fp_ieee_inexact 0
		.amdhsa_exception_int_div_zero 0
	.end_amdhsa_kernel
	.section	.text._ZN9rocsparseL18bsrxmvn_4x4_kernelILj128ELj32EiiiaaiEEvT3_20rocsparse_direction_NS_24const_host_device_scalarIT1_EES1_PKS1_PKT2_SA_S7_PKT4_PKT5_S5_PT6_21rocsparse_index_base_b,"axG",@progbits,_ZN9rocsparseL18bsrxmvn_4x4_kernelILj128ELj32EiiiaaiEEvT3_20rocsparse_direction_NS_24const_host_device_scalarIT1_EES1_PKS1_PKT2_SA_S7_PKT4_PKT5_S5_PT6_21rocsparse_index_base_b,comdat
.Lfunc_end63:
	.size	_ZN9rocsparseL18bsrxmvn_4x4_kernelILj128ELj32EiiiaaiEEvT3_20rocsparse_direction_NS_24const_host_device_scalarIT1_EES1_PKS1_PKT2_SA_S7_PKT4_PKT5_S5_PT6_21rocsparse_index_base_b, .Lfunc_end63-_ZN9rocsparseL18bsrxmvn_4x4_kernelILj128ELj32EiiiaaiEEvT3_20rocsparse_direction_NS_24const_host_device_scalarIT1_EES1_PKS1_PKT2_SA_S7_PKT4_PKT5_S5_PT6_21rocsparse_index_base_b
                                        ; -- End function
	.section	.AMDGPU.csdata,"",@progbits
; Kernel info:
; codeLenInByte = 3992
; NumSgprs: 19
; NumVgprs: 60
; ScratchSize: 0
; MemoryBound: 0
; FloatMode: 240
; IeeeMode: 1
; LDSByteSize: 0 bytes/workgroup (compile time only)
; SGPRBlocks: 2
; VGPRBlocks: 7
; NumSGPRsForWavesPerEU: 19
; NumVGPRsForWavesPerEU: 60
; Occupancy: 16
; WaveLimiterHint : 1
; COMPUTE_PGM_RSRC2:SCRATCH_EN: 0
; COMPUTE_PGM_RSRC2:USER_SGPR: 15
; COMPUTE_PGM_RSRC2:TRAP_HANDLER: 0
; COMPUTE_PGM_RSRC2:TGID_X_EN: 1
; COMPUTE_PGM_RSRC2:TGID_Y_EN: 0
; COMPUTE_PGM_RSRC2:TGID_Z_EN: 0
; COMPUTE_PGM_RSRC2:TIDIG_COMP_CNT: 0
	.section	.text._ZN9rocsparseL18bsrxmvn_4x4_kernelILj128ELj64EiiiaaiEEvT3_20rocsparse_direction_NS_24const_host_device_scalarIT1_EES1_PKS1_PKT2_SA_S7_PKT4_PKT5_S5_PT6_21rocsparse_index_base_b,"axG",@progbits,_ZN9rocsparseL18bsrxmvn_4x4_kernelILj128ELj64EiiiaaiEEvT3_20rocsparse_direction_NS_24const_host_device_scalarIT1_EES1_PKS1_PKT2_SA_S7_PKT4_PKT5_S5_PT6_21rocsparse_index_base_b,comdat
	.globl	_ZN9rocsparseL18bsrxmvn_4x4_kernelILj128ELj64EiiiaaiEEvT3_20rocsparse_direction_NS_24const_host_device_scalarIT1_EES1_PKS1_PKT2_SA_S7_PKT4_PKT5_S5_PT6_21rocsparse_index_base_b ; -- Begin function _ZN9rocsparseL18bsrxmvn_4x4_kernelILj128ELj64EiiiaaiEEvT3_20rocsparse_direction_NS_24const_host_device_scalarIT1_EES1_PKS1_PKT2_SA_S7_PKT4_PKT5_S5_PT6_21rocsparse_index_base_b
	.p2align	8
	.type	_ZN9rocsparseL18bsrxmvn_4x4_kernelILj128ELj64EiiiaaiEEvT3_20rocsparse_direction_NS_24const_host_device_scalarIT1_EES1_PKS1_PKT2_SA_S7_PKT4_PKT5_S5_PT6_21rocsparse_index_base_b,@function
_ZN9rocsparseL18bsrxmvn_4x4_kernelILj128ELj64EiiiaaiEEvT3_20rocsparse_direction_NS_24const_host_device_scalarIT1_EES1_PKS1_PKT2_SA_S7_PKT4_PKT5_S5_PT6_21rocsparse_index_base_b: ; @_ZN9rocsparseL18bsrxmvn_4x4_kernelILj128ELj64EiiiaaiEEvT3_20rocsparse_direction_NS_24const_host_device_scalarIT1_EES1_PKS1_PKT2_SA_S7_PKT4_PKT5_S5_PT6_21rocsparse_index_base_b
; %bb.0:
	s_clause 0x1
	s_load_b64 s[12:13], s[0:1], 0x58
	s_load_b64 s[4:5], s[0:1], 0x8
	s_mov_b32 s7, -1
	s_waitcnt lgkmcnt(0)
	s_bitcmp1_b32 s13, 0
                                        ; implicit-def: $sgpr13
	s_cselect_b32 s2, -1, 0
	s_delay_alu instid0(SALU_CYCLE_1) | instskip(NEXT) | instid1(SALU_CYCLE_1)
	s_xor_b32 s6, s2, -1
	s_and_b32 vcc_lo, exec_lo, s6
	s_cbranch_vccnz .LBB64_4
; %bb.1:
	s_load_b64 s[2:3], s[0:1], 0x48
	s_and_not1_b32 vcc_lo, exec_lo, s7
	s_cbranch_vccz .LBB64_5
.LBB64_2:
	s_and_b32 vcc_lo, exec_lo, s6
	s_cbranch_vccz .LBB64_6
.LBB64_3:
	s_waitcnt lgkmcnt(0)
	s_load_b32 s14, s[2:3], 0x0
	s_cbranch_execz .LBB64_7
	s_branch .LBB64_8
.LBB64_4:
	s_load_b32 s13, s[4:5], 0x0
	s_load_b64 s[2:3], s[0:1], 0x48
	s_cbranch_execnz .LBB64_2
.LBB64_5:
	s_waitcnt lgkmcnt(0)
	s_mov_b32 s13, s4
	s_and_b32 vcc_lo, exec_lo, s6
	s_cbranch_vccnz .LBB64_3
.LBB64_6:
	s_waitcnt lgkmcnt(0)
                                        ; implicit-def: $sgpr14
.LBB64_7:
	s_waitcnt lgkmcnt(0)
	s_mov_b32 s14, s2
.LBB64_8:
	s_cmp_lg_u32 s13, 0
	s_mov_b32 s6, 0
	s_cselect_b32 s2, -1, 0
	s_waitcnt lgkmcnt(0)
	s_cmp_lg_u32 s14, 1
	s_cselect_b32 s3, -1, 0
	s_delay_alu instid0(SALU_CYCLE_1) | instskip(NEXT) | instid1(SALU_CYCLE_1)
	s_or_b32 s2, s2, s3
	s_and_not1_b32 vcc_lo, exec_lo, s2
	s_cbranch_vccnz .LBB64_14
; %bb.9:
	s_clause 0x1
	s_load_b64 s[4:5], s[0:1], 0x18
	s_load_b64 s[2:3], s[0:1], 0x0
	v_lshrrev_b32_e32 v1, 6, v0
	s_delay_alu instid0(VALU_DEP_1)
	v_lshl_or_b32 v3, s15, 1, v1
	s_waitcnt lgkmcnt(0)
	s_cmp_lg_u64 s[4:5], 0
	s_cbranch_scc0 .LBB64_15
; %bb.10:
	s_load_b32 s6, s[0:1], 0x10
	s_mov_b32 s7, 0
                                        ; implicit-def: $vgpr1
	s_waitcnt lgkmcnt(0)
	v_cmp_gt_i32_e32 vcc_lo, s6, v3
	s_mov_b32 s6, 0
	s_and_saveexec_b32 s8, vcc_lo
	s_delay_alu instid0(SALU_CYCLE_1)
	s_xor_b32 s8, exec_lo, s8
	s_cbranch_execz .LBB64_12
; %bb.11:
	v_ashrrev_i32_e32 v4, 31, v3
	s_mov_b32 s6, exec_lo
	s_delay_alu instid0(VALU_DEP_1) | instskip(NEXT) | instid1(VALU_DEP_1)
	v_lshlrev_b64 v[1:2], 2, v[3:4]
	v_add_co_u32 v1, vcc_lo, s4, v1
	s_delay_alu instid0(VALU_DEP_2)
	v_add_co_ci_u32_e32 v2, vcc_lo, s5, v2, vcc_lo
	global_load_b32 v1, v[1:2], off
	s_waitcnt vmcnt(0)
	v_subrev_nc_u32_e32 v1, s12, v1
.LBB64_12:
	s_or_b32 exec_lo, exec_lo, s8
	s_delay_alu instid0(SALU_CYCLE_1)
	s_and_b32 vcc_lo, exec_lo, s7
	s_cbranch_vccz .LBB64_16
.LBB64_13:
	v_cmp_gt_i32_e32 vcc_lo, s2, v3
	s_and_not1_b32 s2, s6, exec_lo
	s_and_b32 s4, vcc_lo, exec_lo
	s_delay_alu instid0(SALU_CYCLE_1) | instskip(NEXT) | instid1(SALU_CYCLE_1)
	s_or_b32 s6, s2, s4
	s_and_saveexec_b32 s2, s6
	s_cbranch_execnz .LBB64_17
.LBB64_14:
	s_nop 0
	s_sendmsg sendmsg(MSG_DEALLOC_VGPRS)
	s_endpgm
.LBB64_15:
                                        ; implicit-def: $vgpr1
	s_cbranch_execnz .LBB64_13
.LBB64_16:
	s_delay_alu instid0(VALU_DEP_1)
	v_mov_b32_e32 v3, v1
	s_and_saveexec_b32 s2, s6
	s_cbranch_execz .LBB64_14
.LBB64_17:
	s_load_b256 s[4:11], s[0:1], 0x20
	s_delay_alu instid0(VALU_DEP_1) | instskip(SKIP_1) | instid1(VALU_DEP_2)
	v_ashrrev_i32_e32 v4, 31, v3
	v_and_b32_e32 v8, 63, v0
	v_lshlrev_b64 v[1:2], 2, v[3:4]
	s_waitcnt lgkmcnt(0)
	s_delay_alu instid0(VALU_DEP_1) | instskip(NEXT) | instid1(VALU_DEP_2)
	v_add_co_u32 v4, vcc_lo, s4, v1
	v_add_co_ci_u32_e32 v5, vcc_lo, s5, v2, vcc_lo
	v_add_co_u32 v1, vcc_lo, s6, v1
	v_add_co_ci_u32_e32 v2, vcc_lo, s7, v2, vcc_lo
	global_load_b32 v13, v[4:5], off
	v_add_co_u32 v4, vcc_lo, v4, 4
	v_add_co_ci_u32_e32 v5, vcc_lo, 0, v5, vcc_lo
	s_cmp_eq_u64 s[6:7], 0
	s_load_b64 s[6:7], s[0:1], 0x40
	s_cselect_b32 vcc_lo, -1, 0
	s_cmp_eq_u32 s3, 1
	v_dual_cndmask_b32 v2, v2, v5 :: v_dual_cndmask_b32 v1, v1, v4
	global_load_b32 v4, v[1:2], off
	s_waitcnt vmcnt(1)
	v_subrev_nc_u32_e32 v0, s12, v13
	s_delay_alu instid0(VALU_DEP_1) | instskip(NEXT) | instid1(VALU_DEP_1)
	v_add_nc_u32_e32 v0, v0, v8
	v_ashrrev_i32_e32 v1, 31, v0
	s_waitcnt vmcnt(0)
	v_subrev_nc_u32_e32 v14, s12, v4
	s_delay_alu instid0(VALU_DEP_2) | instskip(NEXT) | instid1(VALU_DEP_2)
	v_lshlrev_b64 v[1:2], 4, v[0:1]
	v_cmp_lt_i32_e64 s2, v0, v14
	s_delay_alu instid0(VALU_DEP_2) | instskip(NEXT) | instid1(VALU_DEP_3)
	v_add_co_u32 v4, vcc_lo, s10, v1
	v_add_co_ci_u32_e32 v5, vcc_lo, s11, v2, vcc_lo
	s_cbranch_scc1 .LBB64_29
; %bb.18:
	v_dual_mov_b32 v10, 0 :: v_dual_mov_b32 v11, 0
	v_dual_mov_b32 v12, 0 :: v_dual_mov_b32 v9, 0
	s_mov_b32 s10, 0
	s_and_saveexec_b32 s11, s2
	s_cbranch_execz .LBB64_28
; %bb.19:
	v_dual_mov_b32 v12, 0 :: v_dual_add_nc_u32 v1, v13, v8
	v_not_b32_e32 v2, v13
	v_mov_b32_e32 v9, 0
	v_mov_b32_e32 v11, 0
	s_delay_alu instid0(VALU_DEP_4) | instskip(SKIP_2) | instid1(VALU_DEP_1)
	v_subrev_nc_u32_e32 v1, s12, v1
	s_mov_b32 s16, 0
	s_mov_b32 s15, exec_lo
	v_dual_mov_b32 v10, 0 :: v_dual_add_nc_u32 v1, 64, v1
	s_delay_alu instid0(VALU_DEP_1) | instskip(NEXT) | instid1(VALU_DEP_1)
	v_max_i32_e32 v1, v1, v14
	v_add3_u32 v1, v1, s12, v2
	s_delay_alu instid0(VALU_DEP_1) | instskip(SKIP_1) | instid1(VALU_DEP_2)
	v_sub_nc_u32_e32 v2, v1, v8
	v_mov_b32_e32 v1, v0
	v_lshrrev_b32_e32 v6, 6, v2
	s_delay_alu instid0(VALU_DEP_1)
	v_add_nc_u32_e32 v15, 1, v6
	v_dual_mov_b32 v7, v5 :: v_dual_mov_b32 v6, v4
	v_cmpx_lt_u32_e32 0xbf, v2
	s_cbranch_execz .LBB64_23
; %bb.20:
	s_delay_alu instid0(VALU_DEP_3)
	v_dual_mov_b32 v7, v5 :: v_dual_and_b32 v16, 0x7fffffc, v15
	v_dual_mov_b32 v10, 0 :: v_dual_mov_b32 v1, v0
	v_dual_mov_b32 v6, v4 :: v_dual_mov_b32 v11, 0
	;; [unrolled: 1-line block ×3, first 2 shown]
.LBB64_21:                              ; =>This Inner Loop Header: Depth=1
	s_delay_alu instid0(VALU_DEP_3) | instskip(SKIP_1) | instid1(VALU_DEP_2)
	v_ashrrev_i32_e32 v2, 31, v1
	v_add_nc_u32_e32 v16, -4, v16
	v_lshlrev_b64 v[17:18], 2, v[1:2]
	v_add_nc_u32_e32 v1, 0x100, v1
	s_delay_alu instid0(VALU_DEP_2) | instskip(NEXT) | instid1(VALU_DEP_3)
	v_add_co_u32 v17, vcc_lo, s8, v17
	v_add_co_ci_u32_e32 v18, vcc_lo, s9, v18, vcc_lo
	s_clause 0x3
	global_load_b32 v2, v[17:18], off
	global_load_b32 v33, v[17:18], off offset:256
	global_load_b32 v34, v[17:18], off offset:512
	global_load_b32 v35, v[17:18], off offset:768
	s_clause 0x3
	global_load_b128 v[17:20], v[6:7], off
	global_load_b128 v[21:24], v[6:7], off offset:1024
	global_load_b128 v[25:28], v[6:7], off offset:2048
	;; [unrolled: 1-line block ×3, first 2 shown]
	s_waitcnt vmcnt(7)
	v_subrev_nc_u32_e32 v2, s12, v2
	s_waitcnt vmcnt(6)
	v_subrev_nc_u32_e32 v33, s12, v33
	;; [unrolled: 2-line block ×4, first 2 shown]
	v_lshlrev_b32_e32 v2, 2, v2
	v_lshlrev_b32_e32 v33, 2, v33
	;; [unrolled: 1-line block ×3, first 2 shown]
	s_delay_alu instid0(VALU_DEP_4)
	v_lshlrev_b32_e32 v36, 2, v35
	s_waitcnt vmcnt(1)
	v_bfe_i32 v44, v25, 0, 8
	v_ashrrev_i32_e32 v38, 31, v2
	v_ashrrev_i32_e32 v41, 31, v33
	;; [unrolled: 1-line block ×4, first 2 shown]
	s_waitcnt lgkmcnt(0)
	v_add_co_u32 v39, s5, s6, v2
	v_add_co_u32 v33, vcc_lo, s6, v33
	v_add_co_u32 v35, s3, s6, v34
	v_add_co_ci_u32_e64 v40, s5, s7, v38, s5
	v_add_co_u32 v37, s4, s6, v36
	v_add_co_ci_u32_e32 v34, vcc_lo, s7, v41, vcc_lo
	v_add_co_ci_u32_e64 v36, vcc_lo, s7, v42, s3
	v_add_co_ci_u32_e64 v38, vcc_lo, s7, v43, s4
	s_clause 0x3
	global_load_b32 v2, v[39:40], off
	global_load_b32 v33, v[33:34], off
	;; [unrolled: 1-line block ×4, first 2 shown]
	v_lshrrev_b16 v36, 8, v17
	v_ashrrev_i32_e32 v37, 24, v17
	v_bfe_i32 v38, v17, 0, 8
	v_bfe_i32 v17, v17, 16, 8
	v_lshrrev_b16 v39, 8, v21
	v_ashrrev_i32_e32 v40, 24, v21
	v_bfe_i32 v41, v21, 0, 8
	v_bfe_i32 v21, v21, 16, 8
	;; [unrolled: 1-line block ×3, first 2 shown]
	v_lshrrev_b16 v42, 8, v25
	v_ashrrev_i32_e32 v43, 24, v25
	v_bfe_i32 v25, v25, 16, 8
	v_bfe_i32 v39, v39, 0, 8
	s_waitcnt vmcnt(4)
	v_lshrrev_b16 v45, 8, v29
	v_ashrrev_i32_e32 v46, 24, v29
	v_bfe_i32 v47, v29, 0, 8
	v_bfe_i32 v29, v29, 16, 8
	;; [unrolled: 1-line block ×4, first 2 shown]
	v_add_co_u32 v6, vcc_lo, 0x1000, v6
	v_add_co_ci_u32_e32 v7, vcc_lo, 0, v7, vcc_lo
	v_cmp_eq_u32_e32 vcc_lo, 0, v16
	s_or_b32 s16, vcc_lo, s16
	s_waitcnt vmcnt(3)
	v_lshrrev_b16 v48, 8, v2
	v_ashrrev_i32_e32 v50, 24, v2
	v_bfe_i32 v51, v2, 16, 8
	v_bfe_i32 v49, v2, 0, 8
	v_dot4_i32_iu8 v12, v2, v18, v12 neg_lo:[1,1,0]
	v_dot4_i32_iu8 v11, v2, v19, v11 neg_lo:[1,1,0]
	;; [unrolled: 1-line block ×3, first 2 shown]
	s_waitcnt vmcnt(2)
	v_lshrrev_b16 v10, 8, v33
	v_ashrrev_i32_e32 v19, 24, v33
	v_bfe_i32 v20, v33, 16, 8
	v_bfe_i32 v48, v48, 0, 8
	v_mul_i32_i24_e32 v17, v51, v17
	v_mul_i32_i24_e32 v37, v50, v37
	v_bfe_i32 v18, v33, 0, 8
	s_waitcnt vmcnt(1)
	v_lshrrev_b16 v52, 8, v34
	v_ashrrev_i32_e32 v54, 24, v34
	v_bfe_i32 v55, v34, 16, 8
	v_bfe_i32 v10, v10, 0, 8
	v_mul_i32_i24_e32 v20, v20, v21
	v_mul_i32_i24_e32 v19, v19, v40
	v_dot4_i32_iu8 v2, v33, v24, v2 neg_lo:[1,1,0]
	v_mad_i32_i24 v17, v49, v38, v17
	v_mad_i32_i24 v24, v48, v36, v37
	v_bfe_i32 v53, v34, 0, 8
	s_waitcnt vmcnt(0)
	v_lshrrev_b16 v56, 8, v35
	v_ashrrev_i32_e32 v58, 24, v35
	v_bfe_i32 v59, v35, 16, 8
	v_dot4_i32_iu8 v12, v33, v22, v12 neg_lo:[1,1,0]
	v_dot4_i32_iu8 v11, v33, v23, v11 neg_lo:[1,1,0]
	v_bfe_i32 v21, v52, 0, 8
	v_mul_i32_i24_e32 v22, v55, v25
	v_mul_i32_i24_e32 v23, v54, v43
	v_mad_i32_i24 v18, v18, v41, v20
	v_mad_i32_i24 v10, v10, v39, v19
	v_add3_u32 v9, v17, v24, v9
	v_bfe_i32 v57, v35, 0, 8
	v_bfe_i32 v25, v56, 0, 8
	v_mul_i32_i24_e32 v29, v59, v29
	v_mul_i32_i24_e32 v17, v58, v46
	v_mad_i32_i24 v19, v53, v44, v22
	v_mad_i32_i24 v20, v21, v42, v23
	v_add3_u32 v9, v18, v10, v9
	v_dot4_i32_iu8 v12, v34, v26, v12 neg_lo:[1,1,0]
	v_dot4_i32_iu8 v10, v34, v27, v11 neg_lo:[1,1,0]
	;; [unrolled: 1-line block ×3, first 2 shown]
	v_mad_i32_i24 v18, v57, v47, v29
	v_mad_i32_i24 v17, v25, v45, v17
	v_add3_u32 v9, v19, v20, v9
	v_dot4_i32_iu8 v12, v35, v30, v12 neg_lo:[1,1,0]
	v_dot4_i32_iu8 v11, v35, v31, v10 neg_lo:[1,1,0]
	;; [unrolled: 1-line block ×3, first 2 shown]
	s_delay_alu instid0(VALU_DEP_4)
	v_add3_u32 v9, v18, v17, v9
	s_and_not1_b32 exec_lo, exec_lo, s16
	s_cbranch_execnz .LBB64_21
; %bb.22:
	s_or_b32 exec_lo, exec_lo, s16
.LBB64_23:
	s_delay_alu instid0(SALU_CYCLE_1) | instskip(SKIP_3) | instid1(VALU_DEP_1)
	s_or_b32 exec_lo, exec_lo, s15
	v_and_b32_e32 v2, 3, v15
	s_mov_b32 s4, 0
	s_mov_b32 s3, exec_lo
	v_cmpx_ne_u32_e32 0, v2
	s_cbranch_execz .LBB64_27
; %bb.24:
	v_lshlrev_b32_e32 v15, 4, v2
.LBB64_25:                              ; =>This Inner Loop Header: Depth=1
	v_ashrrev_i32_e32 v2, 31, v1
	s_delay_alu instid0(VALU_DEP_2) | instskip(NEXT) | instid1(VALU_DEP_2)
	v_add_nc_u32_e32 v15, -16, v15
	v_lshlrev_b64 v[16:17], 2, v[1:2]
	v_add_nc_u32_e32 v1, 64, v1
	s_delay_alu instid0(VALU_DEP_2) | instskip(NEXT) | instid1(VALU_DEP_3)
	v_add_co_u32 v16, vcc_lo, s8, v16
	v_add_co_ci_u32_e32 v17, vcc_lo, s9, v17, vcc_lo
	global_load_b32 v2, v[16:17], off
	s_waitcnt vmcnt(0)
	v_subrev_nc_u32_e32 v2, s12, v2
	s_delay_alu instid0(VALU_DEP_1) | instskip(NEXT) | instid1(VALU_DEP_1)
	v_lshlrev_b32_e32 v2, 2, v2
	v_ashrrev_i32_e32 v16, 31, v2
	s_waitcnt lgkmcnt(0)
	v_add_co_u32 v20, vcc_lo, s6, v2
	s_delay_alu instid0(VALU_DEP_2)
	v_add_co_ci_u32_e32 v21, vcc_lo, s7, v16, vcc_lo
	global_load_b128 v[16:19], v[6:7], off
	global_load_b32 v2, v[20:21], off
	v_add_co_u32 v6, vcc_lo, 0x400, v6
	v_add_co_ci_u32_e32 v7, vcc_lo, 0, v7, vcc_lo
	v_cmp_eq_u32_e32 vcc_lo, 0, v15
	s_or_b32 s4, vcc_lo, s4
	s_waitcnt vmcnt(1)
	v_lshrrev_b16 v20, 8, v16
	v_ashrrev_i32_e32 v21, 24, v16
	v_bfe_i32 v22, v16, 0, 8
	v_bfe_i32 v16, v16, 16, 8
	s_waitcnt vmcnt(0)
	v_lshrrev_b16 v23, 8, v2
	v_bfe_i32 v24, v2, 16, 8
	v_ashrrev_i32_e32 v25, 24, v2
	v_bfe_i32 v20, v20, 0, 8
	v_bfe_i32 v26, v2, 0, 8
	v_bfe_i32 v23, v23, 0, 8
	v_mul_i32_i24_e32 v16, v24, v16
	v_mul_i32_i24_e32 v21, v25, v21
	v_dot4_i32_iu8 v12, v2, v17, v12 neg_lo:[1,1,0]
	v_dot4_i32_iu8 v11, v2, v18, v11 neg_lo:[1,1,0]
	;; [unrolled: 1-line block ×3, first 2 shown]
	v_mad_i32_i24 v16, v26, v22, v16
	v_mad_i32_i24 v20, v23, v20, v21
	s_delay_alu instid0(VALU_DEP_1)
	v_add3_u32 v9, v16, v20, v9
	s_and_not1_b32 exec_lo, exec_lo, s4
	s_cbranch_execnz .LBB64_25
; %bb.26:
	s_or_b32 exec_lo, exec_lo, s4
.LBB64_27:
	s_delay_alu instid0(SALU_CYCLE_1)
	s_or_b32 exec_lo, exec_lo, s3
.LBB64_28:
	s_delay_alu instid0(SALU_CYCLE_1) | instskip(NEXT) | instid1(SALU_CYCLE_1)
	s_or_b32 exec_lo, exec_lo, s11
	s_and_not1_b32 vcc_lo, exec_lo, s10
	s_cbranch_vccz .LBB64_30
	s_branch .LBB64_41
.LBB64_29:
                                        ; implicit-def: $vgpr10
                                        ; implicit-def: $vgpr11
                                        ; implicit-def: $vgpr12
                                        ; implicit-def: $vgpr9
.LBB64_30:
	v_dual_mov_b32 v10, 0 :: v_dual_mov_b32 v11, 0
	v_dual_mov_b32 v12, 0 :: v_dual_mov_b32 v9, 0
	s_and_saveexec_b32 s5, s2
	s_cbranch_execz .LBB64_40
; %bb.31:
	v_dual_mov_b32 v12, 0 :: v_dual_add_nc_u32 v1, v13, v8
	v_not_b32_e32 v2, v13
	v_mov_b32_e32 v11, 0
	s_mov_b32 s11, 0
	s_delay_alu instid0(VALU_DEP_3) | instskip(SKIP_1) | instid1(VALU_DEP_1)
	v_subrev_nc_u32_e32 v1, s12, v1
	s_mov_b32 s10, exec_lo
	v_dual_mov_b32 v10, 0 :: v_dual_add_nc_u32 v1, 64, v1
	s_delay_alu instid0(VALU_DEP_1) | instskip(NEXT) | instid1(VALU_DEP_1)
	v_max_i32_e32 v1, v1, v14
	v_add3_u32 v1, v1, s12, v2
	s_delay_alu instid0(VALU_DEP_1) | instskip(NEXT) | instid1(VALU_DEP_1)
	v_sub_nc_u32_e32 v1, v1, v8
	v_lshrrev_b32_e32 v2, 6, v1
	s_delay_alu instid0(VALU_DEP_1)
	v_dual_mov_b32 v9, 0 :: v_dual_add_nc_u32 v2, 1, v2
	v_cmpx_lt_u32_e32 0xbf, v1
	s_cbranch_execz .LBB64_35
; %bb.32:
	s_delay_alu instid0(VALU_DEP_2)
	v_dual_mov_b32 v11, 0 :: v_dual_and_b32 v6, 0x7fffffc, v2
	v_dual_mov_b32 v10, 0 :: v_dual_mov_b32 v9, 0
	v_mov_b32_e32 v12, 0
.LBB64_33:                              ; =>This Inner Loop Header: Depth=1
	v_ashrrev_i32_e32 v1, 31, v0
	s_delay_alu instid0(VALU_DEP_4) | instskip(NEXT) | instid1(VALU_DEP_2)
	v_add_nc_u32_e32 v6, -4, v6
	v_lshlrev_b64 v[13:14], 2, v[0:1]
	v_add_nc_u32_e32 v0, 0x100, v0
	s_delay_alu instid0(VALU_DEP_2) | instskip(NEXT) | instid1(VALU_DEP_3)
	v_add_co_u32 v13, vcc_lo, s8, v13
	v_add_co_ci_u32_e32 v14, vcc_lo, s9, v14, vcc_lo
	s_clause 0x3
	global_load_b32 v1, v[13:14], off
	global_load_b32 v7, v[13:14], off offset:256
	global_load_b32 v29, v[13:14], off offset:512
	;; [unrolled: 1-line block ×3, first 2 shown]
	s_clause 0x3
	global_load_b128 v[13:16], v[4:5], off
	global_load_b128 v[17:20], v[4:5], off offset:1024
	global_load_b128 v[21:24], v[4:5], off offset:2048
	;; [unrolled: 1-line block ×3, first 2 shown]
	s_waitcnt vmcnt(7)
	v_subrev_nc_u32_e32 v1, s12, v1
	s_waitcnt vmcnt(6)
	v_subrev_nc_u32_e32 v7, s12, v7
	;; [unrolled: 2-line block ×4, first 2 shown]
	v_lshlrev_b32_e32 v1, 2, v1
	v_lshlrev_b32_e32 v7, 2, v7
	;; [unrolled: 1-line block ×3, first 2 shown]
	s_delay_alu instid0(VALU_DEP_4)
	v_lshlrev_b32_e32 v30, 2, v30
	s_waitcnt vmcnt(2)
	v_perm_b32 v38, v20, v19, 0x5010c0c
	v_ashrrev_i32_e32 v32, 31, v1
	s_waitcnt lgkmcnt(0)
	v_add_co_u32 v34, s4, s6, v1
	v_ashrrev_i32_e32 v36, 31, v7
	v_add_co_u32 v29, vcc_lo, s6, v7
	v_add_co_ci_u32_e64 v35, s4, s7, v32, s4
	v_ashrrev_i32_e32 v7, 31, v31
	v_ashrrev_i32_e32 v37, 31, v30
	v_add_co_u32 v33, s3, s6, v30
	v_add_co_ci_u32_e32 v30, vcc_lo, s7, v36, vcc_lo
	global_load_b32 v1, v[34:35], off
	v_add_co_u32 v31, s2, s6, v31
	s_delay_alu instid0(VALU_DEP_1)
	v_add_co_ci_u32_e64 v32, vcc_lo, s7, v7, s2
	global_load_b32 v7, v[29:30], off
	v_add_co_ci_u32_e64 v34, vcc_lo, s7, v37, s3
	s_clause 0x1
	global_load_b32 v29, v[31:32], off
	global_load_b32 v30, v[33:34], off
	v_perm_b32 v31, v14, v13, 0xc0c0400
	v_perm_b32 v32, v16, v15, 0x4000c0c
	;; [unrolled: 1-line block ×15, first 2 shown]
	s_waitcnt vmcnt(5)
	v_perm_b32 v19, v22, v21, 0xc0c0400
	v_perm_b32 v20, v24, v23, 0x4000c0c
	;; [unrolled: 1-line block ×8, first 2 shown]
	s_waitcnt vmcnt(4)
	v_perm_b32 v23, v26, v25, 0xc0c0400
	v_perm_b32 v24, v28, v27, 0x4000c0c
	;; [unrolled: 1-line block ×8, first 2 shown]
	v_or_b32_e32 v27, v32, v31
	v_or_b32_e32 v28, v34, v33
	;; [unrolled: 1-line block ×12, first 2 shown]
	v_add_co_u32 v4, vcc_lo, 0x1000, v4
	v_or_b32_e32 v22, v24, v23
	v_or_b32_e32 v23, v46, v45
	v_add_co_ci_u32_e32 v5, vcc_lo, 0, v5, vcc_lo
	v_cmp_eq_u32_e32 vcc_lo, 0, v6
	s_or_b32 s11, vcc_lo, s11
	s_waitcnt vmcnt(3)
	v_dot4_i32_iu8 v9, v1, v27, v9 neg_lo:[1,1,0]
	v_dot4_i32_iu8 v12, v28, v1, v12 neg_lo:[1,1,0]
	v_dot4_i32_iu8 v11, v31, v1, v11 neg_lo:[1,1,0]
	v_dot4_i32_iu8 v1, v13, v1, v10 neg_lo:[1,1,0]
	v_or_b32_e32 v10, v48, v47
	s_waitcnt vmcnt(2)
	v_dot4_i32_iu8 v9, v7, v14, v9 neg_lo:[1,1,0]
	v_dot4_i32_iu8 v12, v15, v7, v12 neg_lo:[1,1,0]
	;; [unrolled: 1-line block ×4, first 2 shown]
	v_or_b32_e32 v7, v26, v25
	s_waitcnt vmcnt(1)
	v_dot4_i32_iu8 v9, v29, v18, v9 neg_lo:[1,1,0]
	v_dot4_i32_iu8 v12, v19, v29, v12 neg_lo:[1,1,0]
	v_dot4_i32_iu8 v11, v20, v29, v11 neg_lo:[1,1,0]
	v_dot4_i32_iu8 v1, v21, v29, v1 neg_lo:[1,1,0]
	s_waitcnt vmcnt(0)
	v_dot4_i32_iu8 v9, v30, v22, v9 neg_lo:[1,1,0]
	v_dot4_i32_iu8 v12, v23, v30, v12 neg_lo:[1,1,0]
	;; [unrolled: 1-line block ×4, first 2 shown]
	s_and_not1_b32 exec_lo, exec_lo, s11
	s_cbranch_execnz .LBB64_33
; %bb.34:
	s_or_b32 exec_lo, exec_lo, s11
.LBB64_35:
	s_delay_alu instid0(SALU_CYCLE_1) | instskip(NEXT) | instid1(VALU_DEP_2)
	s_or_b32 exec_lo, exec_lo, s10
	v_and_b32_e32 v1, 3, v2
	s_mov_b32 s3, 0
	s_mov_b32 s2, exec_lo
	s_delay_alu instid0(VALU_DEP_1)
	v_cmpx_ne_u32_e32 0, v1
	s_cbranch_execz .LBB64_39
; %bb.36:
	v_lshlrev_b32_e32 v2, 4, v1
.LBB64_37:                              ; =>This Inner Loop Header: Depth=1
	v_ashrrev_i32_e32 v1, 31, v0
	global_load_b128 v[13:16], v[4:5], off
	v_add_nc_u32_e32 v2, -16, v2
	v_lshlrev_b64 v[6:7], 2, v[0:1]
	v_add_nc_u32_e32 v0, 64, v0
	s_delay_alu instid0(VALU_DEP_2) | instskip(NEXT) | instid1(VALU_DEP_3)
	v_add_co_u32 v6, vcc_lo, s8, v6
	v_add_co_ci_u32_e32 v7, vcc_lo, s9, v7, vcc_lo
	global_load_b32 v1, v[6:7], off
	s_waitcnt vmcnt(1)
	v_perm_b32 v17, v14, v13, 0xc0c0501
	v_perm_b32 v18, v16, v15, 0x5010c0c
	;; [unrolled: 1-line block ×4, first 2 shown]
	s_waitcnt vmcnt(0)
	v_subrev_nc_u32_e32 v1, s12, v1
	s_delay_alu instid0(VALU_DEP_1) | instskip(NEXT) | instid1(VALU_DEP_1)
	v_lshlrev_b32_e32 v1, 2, v1
	v_ashrrev_i32_e32 v7, 31, v1
	s_waitcnt lgkmcnt(0)
	v_add_co_u32 v6, vcc_lo, s6, v1
	s_delay_alu instid0(VALU_DEP_2)
	v_add_co_ci_u32_e32 v7, vcc_lo, s7, v7, vcc_lo
	v_add_co_u32 v4, vcc_lo, 0x400, v4
	v_add_co_ci_u32_e32 v5, vcc_lo, 0, v5, vcc_lo
	global_load_b32 v1, v[6:7], off
	v_perm_b32 v6, v14, v13, 0xc0c0400
	v_perm_b32 v7, v16, v15, 0x4000c0c
	;; [unrolled: 1-line block ×4, first 2 shown]
	v_or_b32_e32 v15, v20, v19
	v_cmp_eq_u32_e32 vcc_lo, 0, v2
	v_or_b32_e32 v6, v7, v6
	v_or_b32_e32 v7, v18, v17
	;; [unrolled: 1-line block ×3, first 2 shown]
	s_or_b32 s3, vcc_lo, s3
	s_waitcnt vmcnt(0)
	v_dot4_i32_iu8 v9, v1, v6, v9 neg_lo:[1,1,0]
	v_dot4_i32_iu8 v12, v7, v1, v12 neg_lo:[1,1,0]
	v_dot4_i32_iu8 v11, v15, v1, v11 neg_lo:[1,1,0]
	v_dot4_i32_iu8 v10, v13, v1, v10 neg_lo:[1,1,0]
	s_and_not1_b32 exec_lo, exec_lo, s3
	s_cbranch_execnz .LBB64_37
; %bb.38:
	s_or_b32 exec_lo, exec_lo, s3
.LBB64_39:
	s_delay_alu instid0(SALU_CYCLE_1)
	s_or_b32 exec_lo, exec_lo, s2
.LBB64_40:
	s_delay_alu instid0(SALU_CYCLE_1)
	s_or_b32 exec_lo, exec_lo, s5
.LBB64_41:
	v_mbcnt_lo_u32_b32 v0, -1, 0
	s_mov_b32 s2, -1
	s_delay_alu instid0(VALU_DEP_1) | instskip(SKIP_1) | instid1(VALU_DEP_2)
	v_or_b32_e32 v1, 32, v0
	v_xor_b32_e32 v6, 16, v0
	v_cmp_gt_i32_e32 vcc_lo, 32, v1
	v_cndmask_b32_e32 v1, v0, v1, vcc_lo
	s_delay_alu instid0(VALU_DEP_3) | instskip(SKIP_1) | instid1(VALU_DEP_1)
	v_cmp_gt_i32_e32 vcc_lo, 32, v6
	v_cndmask_b32_e32 v6, v0, v6, vcc_lo
	v_lshlrev_b32_e32 v6, 2, v6
	s_delay_alu instid0(VALU_DEP_4)
	v_lshlrev_b32_e32 v1, 2, v1
	ds_bpermute_b32 v5, v1, v11
	ds_bpermute_b32 v2, v1, v9
	;; [unrolled: 1-line block ×4, first 2 shown]
	s_waitcnt lgkmcnt(0)
	v_add_nc_u32_e32 v5, v5, v11
	v_xor_b32_e32 v11, 8, v0
	v_add_nc_u32_e32 v4, v4, v12
	v_add_nc_u32_e32 v1, v1, v10
	ds_bpermute_b32 v10, v6, v5
	v_cmp_gt_i32_e32 vcc_lo, 32, v11
	v_add_nc_u32_e32 v2, v2, v9
	ds_bpermute_b32 v9, v6, v4
	v_cndmask_b32_e32 v11, v0, v11, vcc_lo
	ds_bpermute_b32 v7, v6, v2
	ds_bpermute_b32 v6, v6, v1
	v_lshlrev_b32_e32 v11, 2, v11
	s_waitcnt lgkmcnt(3)
	v_add_nc_u32_e32 v5, v10, v5
	s_waitcnt lgkmcnt(2)
	v_add_nc_u32_e32 v4, v9, v4
	ds_bpermute_b32 v9, v11, v5
	s_waitcnt lgkmcnt(2)
	v_add_nc_u32_e32 v2, v7, v2
	s_waitcnt lgkmcnt(1)
	v_add_nc_u32_e32 v1, v6, v1
	ds_bpermute_b32 v7, v11, v4
	ds_bpermute_b32 v6, v11, v2
	ds_bpermute_b32 v10, v11, v1
	v_xor_b32_e32 v11, 4, v0
	s_delay_alu instid0(VALU_DEP_1) | instskip(SKIP_3) | instid1(VALU_DEP_2)
	v_cmp_gt_i32_e32 vcc_lo, 32, v11
	v_cndmask_b32_e32 v11, v0, v11, vcc_lo
	s_waitcnt lgkmcnt(3)
	v_add_nc_u32_e32 v5, v9, v5
	v_lshlrev_b32_e32 v11, 2, v11
	s_waitcnt lgkmcnt(2)
	v_add_nc_u32_e32 v4, v7, v4
	s_waitcnt lgkmcnt(1)
	v_add_nc_u32_e32 v2, v6, v2
	;; [unrolled: 2-line block ×3, first 2 shown]
	ds_bpermute_b32 v9, v11, v5
	ds_bpermute_b32 v7, v11, v4
	;; [unrolled: 1-line block ×4, first 2 shown]
	v_xor_b32_e32 v11, 2, v0
	s_delay_alu instid0(VALU_DEP_1) | instskip(SKIP_1) | instid1(VALU_DEP_1)
	v_cmp_gt_i32_e32 vcc_lo, 32, v11
	v_cndmask_b32_e32 v11, v0, v11, vcc_lo
	v_lshlrev_b32_e32 v11, 2, v11
	s_waitcnt lgkmcnt(2)
	v_add_nc_u32_e32 v4, v7, v4
	v_add_nc_u32_e32 v5, v9, v5
	s_waitcnt lgkmcnt(1)
	v_add_nc_u32_e32 v2, v6, v2
	s_waitcnt lgkmcnt(0)
	v_add_nc_u32_e32 v6, v10, v1
	ds_bpermute_b32 v7, v11, v4
	ds_bpermute_b32 v9, v11, v5
	;; [unrolled: 1-line block ×4, first 2 shown]
	v_xor_b32_e32 v11, 1, v0
	s_delay_alu instid0(VALU_DEP_1) | instskip(SKIP_2) | instid1(VALU_DEP_2)
	v_cmp_gt_i32_e32 vcc_lo, 32, v11
	v_cndmask_b32_e32 v0, v0, v11, vcc_lo
	v_cmp_eq_u32_e32 vcc_lo, 63, v8
	v_lshlrev_b32_e32 v11, 2, v0
	s_waitcnt lgkmcnt(1)
	v_add_nc_u32_e32 v0, v1, v2
	v_add_nc_u32_e32 v1, v7, v4
	;; [unrolled: 1-line block ×3, first 2 shown]
	s_waitcnt lgkmcnt(0)
	v_add_nc_u32_e32 v4, v10, v6
	ds_bpermute_b32 v5, v11, v0
	ds_bpermute_b32 v6, v11, v1
	;; [unrolled: 1-line block ×4, first 2 shown]
	s_and_b32 exec_lo, exec_lo, vcc_lo
	s_cbranch_execz .LBB64_14
; %bb.42:
	s_load_b64 s[0:1], s[0:1], 0x50
	s_waitcnt lgkmcnt(0)
	v_add_nc_u32_e32 v0, v5, v0
	v_add_nc_u32_e32 v1, v6, v1
	;; [unrolled: 1-line block ×4, first 2 shown]
	v_lshlrev_b32_e32 v5, 2, v3
	v_mul_lo_u32 v0, v0, s13
	v_mul_lo_u32 v1, v1, s13
	;; [unrolled: 1-line block ×4, first 2 shown]
	s_cmp_eq_u32 s14, 0
	s_cbranch_scc1 .LBB64_44
; %bb.43:
	v_ashrrev_i32_e32 v6, 31, v5
	s_mov_b32 s2, 0
	s_delay_alu instid0(VALU_DEP_1) | instskip(NEXT) | instid1(VALU_DEP_1)
	v_lshlrev_b64 v[6:7], 2, v[5:6]
	v_add_co_u32 v13, vcc_lo, s0, v6
	s_delay_alu instid0(VALU_DEP_2)
	v_add_co_ci_u32_e32 v14, vcc_lo, s1, v7, vcc_lo
	global_load_b128 v[6:9], v[13:14], off
	s_waitcnt vmcnt(0)
	v_mad_u64_u32 v[15:16], null, v9, s14, v[4:5]
	v_mad_u64_u32 v[9:10], null, v6, s14, v[0:1]
	v_mad_u64_u32 v[10:11], null, v7, s14, v[1:2]
	v_mad_u64_u32 v[11:12], null, v8, s14, v[2:3]
	s_delay_alu instid0(VALU_DEP_4)
	v_mov_b32_e32 v12, v15
	global_store_b128 v[13:14], v[9:12], off
.LBB64_44:
	s_and_not1_b32 vcc_lo, exec_lo, s2
	s_cbranch_vccnz .LBB64_14
; %bb.45:
	v_ashrrev_i32_e32 v6, 31, v5
	s_delay_alu instid0(VALU_DEP_2) | instskip(NEXT) | instid1(VALU_DEP_2)
	v_mov_b32_e32 v3, v4
	v_lshlrev_b64 v[5:6], 2, v[5:6]
	s_delay_alu instid0(VALU_DEP_1) | instskip(NEXT) | instid1(VALU_DEP_2)
	v_add_co_u32 v5, vcc_lo, s0, v5
	v_add_co_ci_u32_e32 v6, vcc_lo, s1, v6, vcc_lo
	global_store_b128 v[5:6], v[0:3], off
	s_nop 0
	s_sendmsg sendmsg(MSG_DEALLOC_VGPRS)
	s_endpgm
	.section	.rodata,"a",@progbits
	.p2align	6, 0x0
	.amdhsa_kernel _ZN9rocsparseL18bsrxmvn_4x4_kernelILj128ELj64EiiiaaiEEvT3_20rocsparse_direction_NS_24const_host_device_scalarIT1_EES1_PKS1_PKT2_SA_S7_PKT4_PKT5_S5_PT6_21rocsparse_index_base_b
		.amdhsa_group_segment_fixed_size 0
		.amdhsa_private_segment_fixed_size 0
		.amdhsa_kernarg_size 96
		.amdhsa_user_sgpr_count 15
		.amdhsa_user_sgpr_dispatch_ptr 0
		.amdhsa_user_sgpr_queue_ptr 0
		.amdhsa_user_sgpr_kernarg_segment_ptr 1
		.amdhsa_user_sgpr_dispatch_id 0
		.amdhsa_user_sgpr_private_segment_size 0
		.amdhsa_wavefront_size32 1
		.amdhsa_uses_dynamic_stack 0
		.amdhsa_enable_private_segment 0
		.amdhsa_system_sgpr_workgroup_id_x 1
		.amdhsa_system_sgpr_workgroup_id_y 0
		.amdhsa_system_sgpr_workgroup_id_z 0
		.amdhsa_system_sgpr_workgroup_info 0
		.amdhsa_system_vgpr_workitem_id 0
		.amdhsa_next_free_vgpr 60
		.amdhsa_next_free_sgpr 17
		.amdhsa_reserve_vcc 1
		.amdhsa_float_round_mode_32 0
		.amdhsa_float_round_mode_16_64 0
		.amdhsa_float_denorm_mode_32 3
		.amdhsa_float_denorm_mode_16_64 3
		.amdhsa_dx10_clamp 1
		.amdhsa_ieee_mode 1
		.amdhsa_fp16_overflow 0
		.amdhsa_workgroup_processor_mode 1
		.amdhsa_memory_ordered 1
		.amdhsa_forward_progress 0
		.amdhsa_shared_vgpr_count 0
		.amdhsa_exception_fp_ieee_invalid_op 0
		.amdhsa_exception_fp_denorm_src 0
		.amdhsa_exception_fp_ieee_div_zero 0
		.amdhsa_exception_fp_ieee_overflow 0
		.amdhsa_exception_fp_ieee_underflow 0
		.amdhsa_exception_fp_ieee_inexact 0
		.amdhsa_exception_int_div_zero 0
	.end_amdhsa_kernel
	.section	.text._ZN9rocsparseL18bsrxmvn_4x4_kernelILj128ELj64EiiiaaiEEvT3_20rocsparse_direction_NS_24const_host_device_scalarIT1_EES1_PKS1_PKT2_SA_S7_PKT4_PKT5_S5_PT6_21rocsparse_index_base_b,"axG",@progbits,_ZN9rocsparseL18bsrxmvn_4x4_kernelILj128ELj64EiiiaaiEEvT3_20rocsparse_direction_NS_24const_host_device_scalarIT1_EES1_PKS1_PKT2_SA_S7_PKT4_PKT5_S5_PT6_21rocsparse_index_base_b,comdat
.Lfunc_end64:
	.size	_ZN9rocsparseL18bsrxmvn_4x4_kernelILj128ELj64EiiiaaiEEvT3_20rocsparse_direction_NS_24const_host_device_scalarIT1_EES1_PKS1_PKT2_SA_S7_PKT4_PKT5_S5_PT6_21rocsparse_index_base_b, .Lfunc_end64-_ZN9rocsparseL18bsrxmvn_4x4_kernelILj128ELj64EiiiaaiEEvT3_20rocsparse_direction_NS_24const_host_device_scalarIT1_EES1_PKS1_PKT2_SA_S7_PKT4_PKT5_S5_PT6_21rocsparse_index_base_b
                                        ; -- End function
	.section	.AMDGPU.csdata,"",@progbits
; Kernel info:
; codeLenInByte = 4072
; NumSgprs: 19
; NumVgprs: 60
; ScratchSize: 0
; MemoryBound: 0
; FloatMode: 240
; IeeeMode: 1
; LDSByteSize: 0 bytes/workgroup (compile time only)
; SGPRBlocks: 2
; VGPRBlocks: 7
; NumSGPRsForWavesPerEU: 19
; NumVGPRsForWavesPerEU: 60
; Occupancy: 16
; WaveLimiterHint : 1
; COMPUTE_PGM_RSRC2:SCRATCH_EN: 0
; COMPUTE_PGM_RSRC2:USER_SGPR: 15
; COMPUTE_PGM_RSRC2:TRAP_HANDLER: 0
; COMPUTE_PGM_RSRC2:TGID_X_EN: 1
; COMPUTE_PGM_RSRC2:TGID_Y_EN: 0
; COMPUTE_PGM_RSRC2:TGID_Z_EN: 0
; COMPUTE_PGM_RSRC2:TIDIG_COMP_CNT: 0
	.section	.text._ZN9rocsparseL18bsrxmvn_4x4_kernelILj128ELj4EiliaaiEEvT3_20rocsparse_direction_NS_24const_host_device_scalarIT1_EES1_PKS1_PKT2_SA_S7_PKT4_PKT5_S5_PT6_21rocsparse_index_base_b,"axG",@progbits,_ZN9rocsparseL18bsrxmvn_4x4_kernelILj128ELj4EiliaaiEEvT3_20rocsparse_direction_NS_24const_host_device_scalarIT1_EES1_PKS1_PKT2_SA_S7_PKT4_PKT5_S5_PT6_21rocsparse_index_base_b,comdat
	.globl	_ZN9rocsparseL18bsrxmvn_4x4_kernelILj128ELj4EiliaaiEEvT3_20rocsparse_direction_NS_24const_host_device_scalarIT1_EES1_PKS1_PKT2_SA_S7_PKT4_PKT5_S5_PT6_21rocsparse_index_base_b ; -- Begin function _ZN9rocsparseL18bsrxmvn_4x4_kernelILj128ELj4EiliaaiEEvT3_20rocsparse_direction_NS_24const_host_device_scalarIT1_EES1_PKS1_PKT2_SA_S7_PKT4_PKT5_S5_PT6_21rocsparse_index_base_b
	.p2align	8
	.type	_ZN9rocsparseL18bsrxmvn_4x4_kernelILj128ELj4EiliaaiEEvT3_20rocsparse_direction_NS_24const_host_device_scalarIT1_EES1_PKS1_PKT2_SA_S7_PKT4_PKT5_S5_PT6_21rocsparse_index_base_b,@function
_ZN9rocsparseL18bsrxmvn_4x4_kernelILj128ELj4EiliaaiEEvT3_20rocsparse_direction_NS_24const_host_device_scalarIT1_EES1_PKS1_PKT2_SA_S7_PKT4_PKT5_S5_PT6_21rocsparse_index_base_b: ; @_ZN9rocsparseL18bsrxmvn_4x4_kernelILj128ELj4EiliaaiEEvT3_20rocsparse_direction_NS_24const_host_device_scalarIT1_EES1_PKS1_PKT2_SA_S7_PKT4_PKT5_S5_PT6_21rocsparse_index_base_b
; %bb.0:
	s_clause 0x1
	s_load_b64 s[12:13], s[0:1], 0x58
	s_load_b64 s[4:5], s[0:1], 0x8
	s_mov_b32 s7, -1
	s_waitcnt lgkmcnt(0)
	s_bitcmp1_b32 s13, 0
                                        ; implicit-def: $sgpr13
	s_cselect_b32 s2, -1, 0
	s_delay_alu instid0(SALU_CYCLE_1) | instskip(NEXT) | instid1(SALU_CYCLE_1)
	s_xor_b32 s6, s2, -1
	s_and_b32 vcc_lo, exec_lo, s6
	s_cbranch_vccnz .LBB65_4
; %bb.1:
	s_load_b64 s[2:3], s[0:1], 0x48
	s_and_not1_b32 vcc_lo, exec_lo, s7
	s_cbranch_vccz .LBB65_5
.LBB65_2:
	s_and_b32 vcc_lo, exec_lo, s6
	s_cbranch_vccz .LBB65_6
.LBB65_3:
	s_waitcnt lgkmcnt(0)
	s_load_b32 s14, s[2:3], 0x0
	s_cbranch_execz .LBB65_7
	s_branch .LBB65_8
.LBB65_4:
	s_load_b32 s13, s[4:5], 0x0
	s_load_b64 s[2:3], s[0:1], 0x48
	s_cbranch_execnz .LBB65_2
.LBB65_5:
	s_waitcnt lgkmcnt(0)
	s_mov_b32 s13, s4
	s_and_b32 vcc_lo, exec_lo, s6
	s_cbranch_vccnz .LBB65_3
.LBB65_6:
	s_waitcnt lgkmcnt(0)
                                        ; implicit-def: $sgpr14
.LBB65_7:
	s_waitcnt lgkmcnt(0)
	s_mov_b32 s14, s2
.LBB65_8:
	s_cmp_lg_u32 s13, 0
	s_mov_b32 s6, 0
	s_cselect_b32 s2, -1, 0
	s_waitcnt lgkmcnt(0)
	s_cmp_lg_u32 s14, 1
	s_cselect_b32 s3, -1, 0
	s_delay_alu instid0(SALU_CYCLE_1) | instskip(NEXT) | instid1(SALU_CYCLE_1)
	s_or_b32 s2, s2, s3
	s_and_not1_b32 vcc_lo, exec_lo, s2
	s_cbranch_vccnz .LBB65_14
; %bb.9:
	s_clause 0x1
	s_load_b64 s[4:5], s[0:1], 0x18
	s_load_b64 s[2:3], s[0:1], 0x0
	v_lshrrev_b32_e32 v1, 2, v0
	s_delay_alu instid0(VALU_DEP_1)
	v_lshl_or_b32 v3, s15, 5, v1
	s_waitcnt lgkmcnt(0)
	s_cmp_lg_u64 s[4:5], 0
	s_cbranch_scc0 .LBB65_15
; %bb.10:
	s_load_b32 s6, s[0:1], 0x10
	s_mov_b32 s7, 0
                                        ; implicit-def: $vgpr1
	s_waitcnt lgkmcnt(0)
	v_cmp_gt_i32_e32 vcc_lo, s6, v3
	s_mov_b32 s6, 0
	s_and_saveexec_b32 s8, vcc_lo
	s_delay_alu instid0(SALU_CYCLE_1)
	s_xor_b32 s8, exec_lo, s8
	s_cbranch_execz .LBB65_12
; %bb.11:
	v_ashrrev_i32_e32 v4, 31, v3
	s_mov_b32 s6, exec_lo
	s_delay_alu instid0(VALU_DEP_1) | instskip(NEXT) | instid1(VALU_DEP_1)
	v_lshlrev_b64 v[1:2], 2, v[3:4]
	v_add_co_u32 v1, vcc_lo, s4, v1
	s_delay_alu instid0(VALU_DEP_2)
	v_add_co_ci_u32_e32 v2, vcc_lo, s5, v2, vcc_lo
	global_load_b32 v1, v[1:2], off
	s_waitcnt vmcnt(0)
	v_subrev_nc_u32_e32 v1, s12, v1
.LBB65_12:
	s_or_b32 exec_lo, exec_lo, s8
	s_delay_alu instid0(SALU_CYCLE_1)
	s_and_b32 vcc_lo, exec_lo, s7
	s_cbranch_vccz .LBB65_16
.LBB65_13:
	v_cmp_gt_i32_e32 vcc_lo, s2, v3
	s_and_not1_b32 s2, s6, exec_lo
	s_and_b32 s4, vcc_lo, exec_lo
	s_delay_alu instid0(SALU_CYCLE_1) | instskip(NEXT) | instid1(SALU_CYCLE_1)
	s_or_b32 s6, s2, s4
	s_and_saveexec_b32 s2, s6
	s_cbranch_execnz .LBB65_17
.LBB65_14:
	s_nop 0
	s_sendmsg sendmsg(MSG_DEALLOC_VGPRS)
	s_endpgm
.LBB65_15:
                                        ; implicit-def: $vgpr1
	s_cbranch_execnz .LBB65_13
.LBB65_16:
	s_delay_alu instid0(VALU_DEP_1)
	v_mov_b32_e32 v3, v1
	s_and_saveexec_b32 s2, s6
	s_cbranch_execz .LBB65_14
.LBB65_17:
	s_load_b256 s[4:11], s[0:1], 0x20
	s_delay_alu instid0(VALU_DEP_1) | instskip(SKIP_1) | instid1(VALU_DEP_2)
	v_ashrrev_i32_e32 v4, 31, v3
	v_mov_b32_e32 v19, 0
	v_lshlrev_b64 v[1:2], 3, v[3:4]
	s_waitcnt lgkmcnt(0)
	s_delay_alu instid0(VALU_DEP_1) | instskip(NEXT) | instid1(VALU_DEP_2)
	v_add_co_u32 v4, vcc_lo, s4, v1
	v_add_co_ci_u32_e32 v5, vcc_lo, s5, v2, vcc_lo
	v_add_co_u32 v1, vcc_lo, s6, v1
	v_add_co_ci_u32_e32 v2, vcc_lo, s7, v2, vcc_lo
	s_delay_alu instid0(VALU_DEP_4)
	v_add_co_u32 v8, vcc_lo, v4, 8
	global_load_b64 v[6:7], v[4:5], off
	v_add_co_ci_u32_e32 v9, vcc_lo, 0, v5, vcc_lo
	s_cmp_eq_u64 s[6:7], 0
	s_load_b64 s[6:7], s[0:1], 0x40
	s_cselect_b32 vcc_lo, -1, 0
	s_cmp_eq_u32 s3, 1
	v_dual_cndmask_b32 v2, v2, v9 :: v_dual_cndmask_b32 v1, v1, v8
	global_load_b64 v[8:9], v[1:2], off
	v_and_b32_e32 v2, 3, v0
	s_waitcnt vmcnt(1)
	v_sub_co_u32 v0, vcc_lo, v6, s12
	v_subrev_co_ci_u32_e32 v1, vcc_lo, 0, v7, vcc_lo
	s_delay_alu instid0(VALU_DEP_2) | instskip(NEXT) | instid1(VALU_DEP_2)
	v_add_co_u32 v4, vcc_lo, v0, v2
	v_add_co_ci_u32_e32 v5, vcc_lo, 0, v1, vcc_lo
	s_delay_alu instid0(VALU_DEP_1) | instskip(SKIP_3) | instid1(VALU_DEP_3)
	v_lshlrev_b64 v[0:1], 4, v[4:5]
	s_waitcnt vmcnt(0)
	v_sub_co_u32 v8, vcc_lo, v8, s12
	v_subrev_co_ci_u32_e32 v9, vcc_lo, 0, v9, vcc_lo
	v_add_co_u32 v0, vcc_lo, s10, v0
	s_delay_alu instid0(VALU_DEP_2)
	v_cmp_lt_i64_e64 s2, v[4:5], v[8:9]
	v_add_co_ci_u32_e32 v1, vcc_lo, s11, v1, vcc_lo
	s_mov_b32 s10, 0
	s_cbranch_scc1 .LBB65_29
; %bb.18:
	v_dual_mov_b32 v20, 0 :: v_dual_mov_b32 v21, 0
	v_mov_b32_e32 v18, 0
	s_and_saveexec_b32 s11, s2
	s_cbranch_execz .LBB65_28
; %bb.19:
	v_or_b32_e32 v10, 4, v2
	v_not_b32_e32 v13, v6
	v_not_b32_e32 v12, v7
	v_dual_mov_b32 v18, 0 :: v_dual_mov_b32 v21, 0
	s_delay_alu instid0(VALU_DEP_4) | instskip(NEXT) | instid1(VALU_DEP_1)
	v_sub_co_u32 v10, s3, v10, s12
	v_sub_co_ci_u32_e64 v11, null, 0, 0, s3
	v_sub_co_u32 v14, s3, s12, v2
	s_delay_alu instid0(VALU_DEP_3) | instskip(NEXT) | instid1(VALU_DEP_3)
	v_add_co_u32 v10, vcc_lo, v10, v6
	v_add_co_ci_u32_e32 v11, vcc_lo, v11, v7, vcc_lo
	v_sub_co_ci_u32_e64 v15, null, 0, 0, s3
	v_dual_mov_b32 v20, 0 :: v_dual_mov_b32 v19, 0
	s_delay_alu instid0(VALU_DEP_3) | instskip(SKIP_4) | instid1(VALU_DEP_2)
	v_cmp_gt_i64_e32 vcc_lo, v[10:11], v[8:9]
	s_mov_b32 s16, 0
	v_dual_cndmask_b32 v11, v9, v11 :: v_dual_cndmask_b32 v10, v8, v10
	v_add_co_u32 v13, vcc_lo, v14, v13
	v_add_co_ci_u32_e32 v12, vcc_lo, v15, v12, vcc_lo
	v_add_co_u32 v10, vcc_lo, v13, v10
	s_delay_alu instid0(VALU_DEP_2) | instskip(SKIP_1) | instid1(VALU_DEP_2)
	v_add_co_ci_u32_e32 v11, vcc_lo, v12, v11, vcc_lo
	v_dual_mov_b32 v13, v5 :: v_dual_mov_b32 v12, v4
	v_lshrrev_b64 v[14:15], 2, v[10:11]
	v_cmp_lt_u64_e32 vcc_lo, 11, v[10:11]
	v_dual_mov_b32 v11, v1 :: v_dual_mov_b32 v10, v0
	s_delay_alu instid0(VALU_DEP_3) | instskip(NEXT) | instid1(VALU_DEP_1)
	v_add_co_u32 v22, s3, v14, 1
	v_add_co_ci_u32_e64 v15, s3, 0, v15, s3
	s_and_saveexec_b32 s15, vcc_lo
	s_cbranch_execz .LBB65_23
; %bb.20:
	v_lshlrev_b64 v[10:11], 2, v[4:5]
	v_dual_mov_b32 v19, 0 :: v_dual_and_b32 v14, -4, v22
	v_dual_mov_b32 v20, 0 :: v_dual_mov_b32 v21, 0
	v_mov_b32_e32 v18, 0
	s_delay_alu instid0(VALU_DEP_4) | instskip(SKIP_2) | instid1(VALU_DEP_3)
	v_add_co_u32 v12, vcc_lo, v10, s8
	v_add_co_ci_u32_e32 v13, vcc_lo, s9, v11, vcc_lo
	v_dual_mov_b32 v11, v1 :: v_dual_mov_b32 v10, v0
	v_add_co_u32 v16, vcc_lo, v12, 32
	s_delay_alu instid0(VALU_DEP_3)
	v_add_co_ci_u32_e32 v17, vcc_lo, 0, v13, vcc_lo
	v_dual_mov_b32 v13, v5 :: v_dual_mov_b32 v12, v4
.LBB65_21:                              ; =>This Inner Loop Header: Depth=1
	s_clause 0x3
	global_load_b32 v39, v[16:17], off offset:-32
	global_load_b32 v40, v[16:17], off offset:-16
	global_load_b32 v41, v[16:17], off
	global_load_b32 v42, v[16:17], off offset:16
	s_clause 0x3
	global_load_b128 v[23:26], v[10:11], off
	global_load_b128 v[27:30], v[10:11], off offset:64
	global_load_b128 v[31:34], v[10:11], off offset:128
	;; [unrolled: 1-line block ×3, first 2 shown]
	s_waitcnt vmcnt(7)
	v_subrev_nc_u32_e32 v39, s12, v39
	s_waitcnt vmcnt(6)
	v_subrev_nc_u32_e32 v40, s12, v40
	;; [unrolled: 2-line block ×4, first 2 shown]
	v_lshlrev_b32_e32 v44, 2, v39
	v_lshlrev_b32_e32 v39, 2, v40
	;; [unrolled: 1-line block ×3, first 2 shown]
	s_delay_alu instid0(VALU_DEP_4)
	v_lshlrev_b32_e32 v42, 2, v42
	s_waitcnt vmcnt(1)
	v_ashrrev_i32_e32 v50, 24, v31
	v_ashrrev_i32_e32 v46, 31, v44
	;; [unrolled: 1-line block ×5, first 2 shown]
	s_waitcnt lgkmcnt(0)
	v_add_co_u32 v45, s5, s6, v44
	v_add_co_u32 v39, vcc_lo, s6, v39
	v_add_co_u32 v41, s3, s6, v40
	v_add_co_ci_u32_e64 v46, s5, s7, v46, s5
	v_add_co_u32 v43, s4, s6, v42
	v_add_co_ci_u32_e32 v40, vcc_lo, s7, v47, vcc_lo
	v_add_co_ci_u32_e64 v42, vcc_lo, s7, v48, s3
	v_add_co_ci_u32_e64 v44, vcc_lo, s7, v49, s4
	s_clause 0x3
	global_load_b32 v45, v[45:46], off
	global_load_b32 v39, v[39:40], off
	;; [unrolled: 1-line block ×4, first 2 shown]
	v_lshrrev_b16 v42, 8, v23
	v_ashrrev_i32_e32 v43, 24, v23
	v_lshrrev_b16 v46, 8, v27
	v_ashrrev_i32_e32 v47, 24, v27
	v_lshrrev_b16 v49, 8, v31
	v_bfe_i32 v51, v31, 16, 8
	v_bfe_i32 v31, v31, 0, 8
	;; [unrolled: 1-line block ×6, first 2 shown]
	s_waitcnt vmcnt(4)
	v_lshrrev_b16 v52, 8, v35
	v_ashrrev_i32_e32 v53, 24, v35
	v_bfe_i32 v42, v42, 0, 8
	v_bfe_i32 v46, v46, 0, 8
	;; [unrolled: 1-line block ×3, first 2 shown]
	v_add_co_u32 v10, vcc_lo, 0x100, v10
	v_bfe_i32 v54, v35, 16, 8
	v_bfe_i32 v35, v35, 0, 8
	;; [unrolled: 1-line block ×3, first 2 shown]
	v_add_co_ci_u32_e32 v11, vcc_lo, 0, v11, vcc_lo
	v_add_co_u32 v12, vcc_lo, v12, 16
	v_add_co_ci_u32_e32 v13, vcc_lo, 0, v13, vcc_lo
	v_add_co_u32 v14, vcc_lo, v14, -4
	v_add_co_ci_u32_e32 v15, vcc_lo, -1, v15, vcc_lo
	v_add_co_u32 v16, vcc_lo, v16, 64
	v_add_co_ci_u32_e32 v17, vcc_lo, 0, v17, vcc_lo
	s_delay_alu instid0(VALU_DEP_3)
	v_cmp_eq_u64_e32 vcc_lo, 0, v[14:15]
	s_or_b32 s16, vcc_lo, s16
	s_waitcnt vmcnt(3)
	v_lshrrev_b16 v55, 8, v45
	v_ashrrev_i32_e32 v56, 24, v45
	v_dot4_i32_iu8 v21, v45, v24, v21 neg_lo:[1,1,0]
	v_dot4_i32_iu8 v20, v45, v25, v20 neg_lo:[1,1,0]
	s_waitcnt vmcnt(2)
	v_lshrrev_b16 v24, 8, v39
	v_ashrrev_i32_e32 v25, 24, v39
	s_waitcnt vmcnt(1)
	v_lshrrev_b16 v59, 8, v40
	v_ashrrev_i32_e32 v60, 24, v40
	v_bfe_i32 v62, v40, 0, 8
	v_bfe_i32 v57, v45, 16, 8
	;; [unrolled: 1-line block ×3, first 2 shown]
	v_dot4_i32_iu8 v19, v45, v26, v19 neg_lo:[1,1,0]
	v_bfe_i32 v26, v39, 16, 8
	v_bfe_i32 v45, v39, 0, 8
	;; [unrolled: 1-line block ×3, first 2 shown]
	s_waitcnt vmcnt(0)
	v_lshrrev_b16 v63, 8, v41
	v_ashrrev_i32_e32 v64, 24, v41
	v_bfe_i32 v55, v55, 0, 8
	v_mul_i32_i24_e32 v43, v56, v43
	v_bfe_i32 v24, v24, 0, 8
	v_mul_i32_i24_e32 v25, v25, v47
	v_dot4_i32_iu8 v21, v39, v28, v21 neg_lo:[1,1,0]
	v_dot4_i32_iu8 v20, v39, v29, v20 neg_lo:[1,1,0]
	v_bfe_i32 v28, v59, 0, 8
	v_mul_i32_i24_e32 v29, v62, v31
	v_mul_i32_i24_e32 v31, v60, v50
	v_bfe_i32 v65, v41, 16, 8
	v_bfe_i32 v66, v41, 0, 8
	v_mul_i32_i24_e32 v23, v58, v23
	v_mul_i32_i24_e32 v44, v57, v44
	;; [unrolled: 1-line block ×4, first 2 shown]
	v_dot4_i32_iu8 v19, v39, v30, v19 neg_lo:[1,1,0]
	v_mul_i32_i24_e32 v30, v61, v51
	v_bfe_i32 v39, v63, 0, 8
	v_mul_i32_i24_e32 v45, v64, v53
	v_mad_i32_i24 v42, v55, v42, v43
	v_mad_i32_i24 v24, v24, v46, v25
	v_mad_i32_i24 v25, v28, v49, v31
	v_mul_i32_i24_e32 v35, v66, v35
	v_mul_i32_i24_e32 v28, v65, v54
	v_mad_i32_i24 v31, v39, v52, v45
	v_add3_u32 v23, v23, v44, v42
	v_add3_u32 v24, v27, v26, v24
	;; [unrolled: 1-line block ×3, first 2 shown]
	v_dot4_i32_iu8 v21, v40, v32, v21 neg_lo:[1,1,0]
	v_dot4_i32_iu8 v20, v40, v33, v20 neg_lo:[1,1,0]
	;; [unrolled: 1-line block ×3, first 2 shown]
	v_add3_u32 v26, v35, v28, v31
	v_add3_u32 v23, v23, v24, v25
	v_dot4_i32_iu8 v21, v41, v36, v21 neg_lo:[1,1,0]
	v_dot4_i32_iu8 v20, v41, v37, v20 neg_lo:[1,1,0]
	;; [unrolled: 1-line block ×3, first 2 shown]
	s_delay_alu instid0(VALU_DEP_4)
	v_add3_u32 v18, v23, v26, v18
	s_and_not1_b32 exec_lo, exec_lo, s16
	s_cbranch_execnz .LBB65_21
; %bb.22:
	s_or_b32 exec_lo, exec_lo, s16
.LBB65_23:
	s_delay_alu instid0(SALU_CYCLE_1) | instskip(SKIP_2) | instid1(VALU_DEP_1)
	s_or_b32 exec_lo, exec_lo, s15
	v_dual_mov_b32 v15, 0 :: v_dual_and_b32 v14, 3, v22
	s_mov_b32 s3, exec_lo
	v_cmpx_ne_u64_e32 0, v[14:15]
	s_cbranch_execz .LBB65_27
; %bb.24:
	v_lshlrev_b64 v[12:13], 2, v[12:13]
	v_lshlrev_b32_e32 v14, 2, v14
	s_mov_b32 s4, 0
	s_delay_alu instid0(VALU_DEP_2) | instskip(NEXT) | instid1(VALU_DEP_3)
	v_add_co_u32 v12, vcc_lo, s8, v12
	v_add_co_ci_u32_e32 v13, vcc_lo, s9, v13, vcc_lo
.LBB65_25:                              ; =>This Inner Loop Header: Depth=1
	global_load_b32 v16, v[12:13], off
	s_waitcnt vmcnt(0)
	v_subrev_nc_u32_e32 v16, s12, v16
	s_delay_alu instid0(VALU_DEP_1) | instskip(NEXT) | instid1(VALU_DEP_1)
	v_lshlrev_b32_e32 v16, 2, v16
	v_ashrrev_i32_e32 v17, 31, v16
	s_waitcnt lgkmcnt(0)
	v_add_co_u32 v16, vcc_lo, s6, v16
	s_delay_alu instid0(VALU_DEP_2)
	v_add_co_ci_u32_e32 v17, vcc_lo, s7, v17, vcc_lo
	global_load_b128 v[22:25], v[10:11], off
	global_load_b32 v16, v[16:17], off
	v_add_co_u32 v10, vcc_lo, v10, 64
	v_add_co_ci_u32_e32 v11, vcc_lo, 0, v11, vcc_lo
	v_add_co_u32 v14, vcc_lo, v14, -4
	v_add_co_ci_u32_e32 v15, vcc_lo, -1, v15, vcc_lo
	v_add_co_u32 v12, vcc_lo, v12, 16
	v_add_co_ci_u32_e32 v13, vcc_lo, 0, v13, vcc_lo
	s_delay_alu instid0(VALU_DEP_3)
	v_cmp_eq_u64_e32 vcc_lo, 0, v[14:15]
	s_or_b32 s4, vcc_lo, s4
	s_waitcnt vmcnt(1)
	v_lshrrev_b16 v17, 8, v22
	v_ashrrev_i32_e32 v26, 24, v22
	v_bfe_i32 v27, v22, 0, 8
	v_bfe_i32 v22, v22, 16, 8
	s_waitcnt vmcnt(0)
	v_lshrrev_b16 v28, 8, v16
	v_bfe_i32 v29, v16, 16, 8
	v_ashrrev_i32_e32 v30, 24, v16
	v_bfe_i32 v17, v17, 0, 8
	v_bfe_i32 v31, v16, 0, 8
	;; [unrolled: 1-line block ×3, first 2 shown]
	v_mul_i32_i24_e32 v22, v29, v22
	v_mul_i32_i24_e32 v26, v30, v26
	v_dot4_i32_iu8 v21, v16, v23, v21 neg_lo:[1,1,0]
	v_dot4_i32_iu8 v20, v16, v24, v20 neg_lo:[1,1,0]
	;; [unrolled: 1-line block ×3, first 2 shown]
	v_mad_i32_i24 v22, v31, v27, v22
	v_mad_i32_i24 v17, v28, v17, v26
	s_delay_alu instid0(VALU_DEP_1)
	v_add3_u32 v18, v22, v17, v18
	s_and_not1_b32 exec_lo, exec_lo, s4
	s_cbranch_execnz .LBB65_25
; %bb.26:
	s_or_b32 exec_lo, exec_lo, s4
.LBB65_27:
	s_delay_alu instid0(SALU_CYCLE_1)
	s_or_b32 exec_lo, exec_lo, s3
.LBB65_28:
	s_delay_alu instid0(SALU_CYCLE_1) | instskip(NEXT) | instid1(SALU_CYCLE_1)
	s_or_b32 exec_lo, exec_lo, s11
	s_and_not1_b32 vcc_lo, exec_lo, s10
	s_cbranch_vccz .LBB65_30
	s_branch .LBB65_41
.LBB65_29:
                                        ; implicit-def: $vgpr19
                                        ; implicit-def: $vgpr20
                                        ; implicit-def: $vgpr21
                                        ; implicit-def: $vgpr18
.LBB65_30:
	v_dual_mov_b32 v19, 0 :: v_dual_mov_b32 v20, 0
	v_dual_mov_b32 v21, 0 :: v_dual_mov_b32 v18, 0
	s_and_saveexec_b32 s5, s2
	s_cbranch_execz .LBB65_40
; %bb.31:
	v_or_b32_e32 v10, 4, v2
	v_dual_mov_b32 v18, 0 :: v_dual_mov_b32 v21, 0
	v_dual_mov_b32 v20, 0 :: v_dual_mov_b32 v19, 0
	s_delay_alu instid0(VALU_DEP_3) | instskip(NEXT) | instid1(VALU_DEP_1)
	v_sub_co_u32 v10, s2, v10, s12
	v_sub_co_ci_u32_e64 v11, null, 0, 0, s2
	v_sub_co_u32 v12, s2, s12, v2
	s_delay_alu instid0(VALU_DEP_3) | instskip(NEXT) | instid1(VALU_DEP_3)
	v_add_co_u32 v10, vcc_lo, v10, v6
	v_add_co_ci_u32_e32 v11, vcc_lo, v11, v7, vcc_lo
	v_not_b32_e32 v6, v6
	v_not_b32_e32 v7, v7
	v_sub_co_ci_u32_e64 v13, null, 0, 0, s2
	s_delay_alu instid0(VALU_DEP_4) | instskip(SKIP_4) | instid1(VALU_DEP_2)
	v_cmp_gt_i64_e32 vcc_lo, v[10:11], v[8:9]
	s_mov_b32 s11, 0
	v_dual_cndmask_b32 v9, v9, v11 :: v_dual_cndmask_b32 v8, v8, v10
	v_add_co_u32 v6, vcc_lo, v12, v6
	v_add_co_ci_u32_e32 v7, vcc_lo, v13, v7, vcc_lo
	v_add_co_u32 v6, vcc_lo, v6, v8
	s_delay_alu instid0(VALU_DEP_2) | instskip(NEXT) | instid1(VALU_DEP_1)
	v_add_co_ci_u32_e32 v7, vcc_lo, v7, v9, vcc_lo
	v_lshrrev_b64 v[8:9], 2, v[6:7]
	v_cmp_lt_u64_e32 vcc_lo, 11, v[6:7]
	s_delay_alu instid0(VALU_DEP_2) | instskip(NEXT) | instid1(VALU_DEP_1)
	v_add_co_u32 v10, s2, v8, 1
	v_add_co_ci_u32_e64 v7, s2, 0, v9, s2
	s_and_saveexec_b32 s10, vcc_lo
	s_cbranch_execz .LBB65_35
; %bb.32:
	v_lshlrev_b64 v[8:9], 2, v[4:5]
	v_dual_mov_b32 v19, 0 :: v_dual_and_b32 v6, -4, v10
	v_dual_mov_b32 v20, 0 :: v_dual_mov_b32 v21, 0
	v_mov_b32_e32 v18, 0
	s_delay_alu instid0(VALU_DEP_4) | instskip(SKIP_1) | instid1(VALU_DEP_2)
	v_add_co_u32 v8, vcc_lo, v8, s8
	v_add_co_ci_u32_e32 v9, vcc_lo, s9, v9, vcc_lo
	v_add_co_u32 v8, vcc_lo, v8, 32
	s_delay_alu instid0(VALU_DEP_2)
	v_add_co_ci_u32_e32 v9, vcc_lo, 0, v9, vcc_lo
.LBB65_33:                              ; =>This Inner Loop Header: Depth=1
	s_clause 0x3
	global_load_b32 v15, v[8:9], off offset:-32
	global_load_b32 v16, v[8:9], off offset:-16
	global_load_b32 v17, v[8:9], off
	global_load_b32 v34, v[8:9], off offset:16
	s_clause 0x3
	global_load_b128 v[11:14], v[0:1], off
	global_load_b128 v[22:25], v[0:1], off offset:64
	global_load_b128 v[26:29], v[0:1], off offset:128
	;; [unrolled: 1-line block ×3, first 2 shown]
	s_waitcnt vmcnt(7)
	v_subrev_nc_u32_e32 v15, s12, v15
	s_waitcnt vmcnt(6)
	v_subrev_nc_u32_e32 v16, s12, v16
	s_waitcnt vmcnt(5)
	v_subrev_nc_u32_e32 v17, s12, v17
	s_waitcnt vmcnt(4)
	v_subrev_nc_u32_e32 v34, s12, v34
	v_lshlrev_b32_e32 v35, 2, v15
	v_lshlrev_b32_e32 v15, 2, v16
	;; [unrolled: 1-line block ×3, first 2 shown]
	s_delay_alu instid0(VALU_DEP_4)
	v_lshlrev_b32_e32 v17, 2, v34
	s_waitcnt vmcnt(2)
	v_perm_b32 v42, v25, v24, 0x5010c0c
	v_ashrrev_i32_e32 v38, 31, v35
	s_waitcnt lgkmcnt(0)
	v_add_co_u32 v37, s4, s6, v35
	v_ashrrev_i32_e32 v39, 31, v15
	v_add_co_u32 v15, vcc_lo, s6, v15
	v_add_co_ci_u32_e64 v38, s4, s7, v38, s4
	v_ashrrev_i32_e32 v40, 31, v16
	v_add_co_u32 v34, s2, s6, v16
	v_ashrrev_i32_e32 v41, 31, v17
	v_add_co_u32 v36, s3, s6, v17
	v_add_co_ci_u32_e32 v16, vcc_lo, s7, v39, vcc_lo
	global_load_b32 v17, v[37:38], off
	v_add_co_ci_u32_e64 v35, vcc_lo, s7, v40, s2
	global_load_b32 v15, v[15:16], off
	v_add_co_ci_u32_e64 v37, vcc_lo, s7, v41, s3
	s_clause 0x1
	global_load_b32 v16, v[34:35], off
	global_load_b32 v34, v[36:37], off
	v_perm_b32 v35, v12, v11, 0xc0c0400
	v_perm_b32 v36, v14, v13, 0x4000c0c
	;; [unrolled: 1-line block ×15, first 2 shown]
	s_waitcnt vmcnt(5)
	v_perm_b32 v24, v27, v26, 0xc0c0400
	v_perm_b32 v25, v29, v28, 0x4000c0c
	;; [unrolled: 1-line block ×8, first 2 shown]
	s_waitcnt vmcnt(4)
	v_perm_b32 v28, v31, v30, 0xc0c0400
	v_perm_b32 v29, v33, v32, 0x4000c0c
	;; [unrolled: 1-line block ×8, first 2 shown]
	v_or_b32_e32 v32, v36, v35
	v_or_b32_e32 v33, v38, v37
	;; [unrolled: 1-line block ×4, first 2 shown]
	v_add_co_u32 v0, vcc_lo, 0x100, v0
	v_or_b32_e32 v12, v14, v13
	v_or_b32_e32 v13, v42, v41
	;; [unrolled: 1-line block ×4, first 2 shown]
	v_add_co_ci_u32_e32 v1, vcc_lo, 0, v1, vcc_lo
	v_add_co_u32 v4, vcc_lo, v4, 16
	v_add_co_ci_u32_e32 v5, vcc_lo, 0, v5, vcc_lo
	v_add_co_u32 v6, vcc_lo, v6, -4
	v_or_b32_e32 v23, v25, v24
	v_or_b32_e32 v24, v46, v45
	;; [unrolled: 1-line block ×4, first 2 shown]
	v_add_co_ci_u32_e32 v7, vcc_lo, -1, v7, vcc_lo
	v_add_co_u32 v8, vcc_lo, v8, 64
	v_or_b32_e32 v27, v29, v28
	v_or_b32_e32 v28, v50, v49
	v_add_co_ci_u32_e32 v9, vcc_lo, 0, v9, vcc_lo
	v_cmp_eq_u64_e32 vcc_lo, 0, v[6:7]
	s_or_b32 s11, vcc_lo, s11
	s_waitcnt vmcnt(3)
	v_dot4_i32_iu8 v18, v17, v32, v18 neg_lo:[1,1,0]
	v_dot4_i32_iu8 v21, v33, v17, v21 neg_lo:[1,1,0]
	;; [unrolled: 1-line block ×4, first 2 shown]
	v_or_b32_e32 v17, v52, v51
	s_waitcnt vmcnt(2)
	v_dot4_i32_iu8 v12, v15, v12, v18 neg_lo:[1,1,0]
	v_dot4_i32_iu8 v13, v13, v15, v21 neg_lo:[1,1,0]
	;; [unrolled: 1-line block ×4, first 2 shown]
	v_or_b32_e32 v15, v31, v30
	s_waitcnt vmcnt(1)
	v_dot4_i32_iu8 v12, v16, v23, v12 neg_lo:[1,1,0]
	v_dot4_i32_iu8 v13, v24, v16, v13 neg_lo:[1,1,0]
	v_dot4_i32_iu8 v14, v25, v16, v14 neg_lo:[1,1,0]
	v_dot4_i32_iu8 v11, v26, v16, v11 neg_lo:[1,1,0]
	s_waitcnt vmcnt(0)
	v_dot4_i32_iu8 v18, v34, v27, v12 neg_lo:[1,1,0]
	v_dot4_i32_iu8 v21, v28, v34, v13 neg_lo:[1,1,0]
	;; [unrolled: 1-line block ×4, first 2 shown]
	s_and_not1_b32 exec_lo, exec_lo, s11
	s_cbranch_execnz .LBB65_33
; %bb.34:
	s_or_b32 exec_lo, exec_lo, s11
.LBB65_35:
	s_delay_alu instid0(SALU_CYCLE_1) | instskip(SKIP_2) | instid1(VALU_DEP_1)
	s_or_b32 exec_lo, exec_lo, s10
	v_dual_mov_b32 v7, 0 :: v_dual_and_b32 v6, 3, v10
	s_mov_b32 s2, exec_lo
	v_cmpx_ne_u64_e32 0, v[6:7]
	s_cbranch_execz .LBB65_39
; %bb.36:
	v_lshlrev_b64 v[4:5], 2, v[4:5]
	v_lshlrev_b32_e32 v6, 2, v6
	s_mov_b32 s3, 0
	s_delay_alu instid0(VALU_DEP_2) | instskip(NEXT) | instid1(VALU_DEP_3)
	v_add_co_u32 v4, vcc_lo, s8, v4
	v_add_co_ci_u32_e32 v5, vcc_lo, s9, v5, vcc_lo
.LBB65_37:                              ; =>This Inner Loop Header: Depth=1
	global_load_b32 v8, v[4:5], off
	s_waitcnt vmcnt(0)
	v_subrev_nc_u32_e32 v8, s12, v8
	s_delay_alu instid0(VALU_DEP_1) | instskip(SKIP_4) | instid1(VALU_DEP_2)
	v_lshlrev_b32_e32 v12, 2, v8
	global_load_b128 v[8:11], v[0:1], off
	v_ashrrev_i32_e32 v13, 31, v12
	s_waitcnt lgkmcnt(0)
	v_add_co_u32 v12, vcc_lo, s6, v12
	v_add_co_ci_u32_e32 v13, vcc_lo, s7, v13, vcc_lo
	v_add_co_u32 v0, vcc_lo, v0, 64
	v_add_co_ci_u32_e32 v1, vcc_lo, 0, v1, vcc_lo
	global_load_b32 v12, v[12:13], off
	v_add_co_u32 v4, vcc_lo, v4, 16
	v_add_co_ci_u32_e32 v5, vcc_lo, 0, v5, vcc_lo
	v_add_co_u32 v6, vcc_lo, v6, -4
	v_add_co_ci_u32_e32 v7, vcc_lo, -1, v7, vcc_lo
	s_delay_alu instid0(VALU_DEP_1)
	v_cmp_eq_u64_e32 vcc_lo, 0, v[6:7]
	s_or_b32 s3, vcc_lo, s3
	s_waitcnt vmcnt(1)
	v_perm_b32 v13, v9, v8, 0xc0c0400
	v_perm_b32 v14, v11, v10, 0x4000c0c
	;; [unrolled: 1-line block ×8, first 2 shown]
	v_or_b32_e32 v10, v14, v13
	v_or_b32_e32 v11, v16, v15
	v_or_b32_e32 v13, v22, v17
	s_delay_alu instid0(VALU_DEP_4)
	v_or_b32_e32 v8, v9, v8
	s_waitcnt vmcnt(0)
	v_dot4_i32_iu8 v18, v12, v10, v18 neg_lo:[1,1,0]
	v_dot4_i32_iu8 v21, v11, v12, v21 neg_lo:[1,1,0]
	;; [unrolled: 1-line block ×4, first 2 shown]
	s_and_not1_b32 exec_lo, exec_lo, s3
	s_cbranch_execnz .LBB65_37
; %bb.38:
	s_or_b32 exec_lo, exec_lo, s3
.LBB65_39:
	s_delay_alu instid0(SALU_CYCLE_1)
	s_or_b32 exec_lo, exec_lo, s2
.LBB65_40:
	s_delay_alu instid0(SALU_CYCLE_1)
	s_or_b32 exec_lo, exec_lo, s5
.LBB65_41:
	v_mbcnt_lo_u32_b32 v0, -1, 0
	s_mov_b32 s2, -1
	s_delay_alu instid0(VALU_DEP_1) | instskip(NEXT) | instid1(VALU_DEP_1)
	v_xor_b32_e32 v1, 2, v0
	v_cmp_gt_i32_e32 vcc_lo, 32, v1
	v_cndmask_b32_e32 v1, v0, v1, vcc_lo
	s_delay_alu instid0(VALU_DEP_1)
	v_lshlrev_b32_e32 v1, 2, v1
	ds_bpermute_b32 v4, v1, v18
	ds_bpermute_b32 v5, v1, v21
	ds_bpermute_b32 v6, v1, v20
	ds_bpermute_b32 v7, v1, v19
	v_xor_b32_e32 v1, 1, v0
	s_delay_alu instid0(VALU_DEP_1)
	v_cmp_gt_i32_e32 vcc_lo, 32, v1
	v_cndmask_b32_e32 v0, v0, v1, vcc_lo
	v_cmp_eq_u32_e32 vcc_lo, 3, v2
	s_waitcnt lgkmcnt(0)
	v_add_nc_u32_e32 v1, v5, v21
	v_add_nc_u32_e32 v5, v7, v19
	v_lshlrev_b32_e32 v9, 2, v0
	v_add_nc_u32_e32 v0, v4, v18
	v_add_nc_u32_e32 v4, v6, v20
	ds_bpermute_b32 v7, v9, v1
	ds_bpermute_b32 v6, v9, v0
	;; [unrolled: 1-line block ×4, first 2 shown]
	s_and_b32 exec_lo, exec_lo, vcc_lo
	s_cbranch_execz .LBB65_14
; %bb.42:
	s_load_b64 s[0:1], s[0:1], 0x50
	s_waitcnt lgkmcnt(0)
	v_add_nc_u32_e32 v0, v6, v0
	v_add_nc_u32_e32 v1, v7, v1
	;; [unrolled: 1-line block ×4, first 2 shown]
	v_lshlrev_b32_e32 v5, 2, v3
	v_mul_lo_u32 v0, v0, s13
	v_mul_lo_u32 v1, v1, s13
	;; [unrolled: 1-line block ×4, first 2 shown]
	s_cmp_eq_u32 s14, 0
	s_cbranch_scc1 .LBB65_44
; %bb.43:
	v_ashrrev_i32_e32 v6, 31, v5
	s_mov_b32 s2, 0
	s_delay_alu instid0(VALU_DEP_1) | instskip(NEXT) | instid1(VALU_DEP_1)
	v_lshlrev_b64 v[6:7], 2, v[5:6]
	v_add_co_u32 v13, vcc_lo, s0, v6
	s_delay_alu instid0(VALU_DEP_2)
	v_add_co_ci_u32_e32 v14, vcc_lo, s1, v7, vcc_lo
	global_load_b128 v[6:9], v[13:14], off
	s_waitcnt vmcnt(0)
	v_mad_u64_u32 v[15:16], null, v9, s14, v[4:5]
	v_mad_u64_u32 v[9:10], null, v6, s14, v[0:1]
	v_mad_u64_u32 v[10:11], null, v7, s14, v[1:2]
	v_mad_u64_u32 v[11:12], null, v8, s14, v[2:3]
	s_delay_alu instid0(VALU_DEP_4)
	v_mov_b32_e32 v12, v15
	global_store_b128 v[13:14], v[9:12], off
.LBB65_44:
	s_and_not1_b32 vcc_lo, exec_lo, s2
	s_cbranch_vccnz .LBB65_14
; %bb.45:
	v_ashrrev_i32_e32 v6, 31, v5
	s_delay_alu instid0(VALU_DEP_2) | instskip(NEXT) | instid1(VALU_DEP_2)
	v_mov_b32_e32 v3, v4
	v_lshlrev_b64 v[5:6], 2, v[5:6]
	s_delay_alu instid0(VALU_DEP_1) | instskip(NEXT) | instid1(VALU_DEP_2)
	v_add_co_u32 v5, vcc_lo, s0, v5
	v_add_co_ci_u32_e32 v6, vcc_lo, s1, v6, vcc_lo
	global_store_b128 v[5:6], v[0:3], off
	s_nop 0
	s_sendmsg sendmsg(MSG_DEALLOC_VGPRS)
	s_endpgm
	.section	.rodata,"a",@progbits
	.p2align	6, 0x0
	.amdhsa_kernel _ZN9rocsparseL18bsrxmvn_4x4_kernelILj128ELj4EiliaaiEEvT3_20rocsparse_direction_NS_24const_host_device_scalarIT1_EES1_PKS1_PKT2_SA_S7_PKT4_PKT5_S5_PT6_21rocsparse_index_base_b
		.amdhsa_group_segment_fixed_size 0
		.amdhsa_private_segment_fixed_size 0
		.amdhsa_kernarg_size 96
		.amdhsa_user_sgpr_count 15
		.amdhsa_user_sgpr_dispatch_ptr 0
		.amdhsa_user_sgpr_queue_ptr 0
		.amdhsa_user_sgpr_kernarg_segment_ptr 1
		.amdhsa_user_sgpr_dispatch_id 0
		.amdhsa_user_sgpr_private_segment_size 0
		.amdhsa_wavefront_size32 1
		.amdhsa_uses_dynamic_stack 0
		.amdhsa_enable_private_segment 0
		.amdhsa_system_sgpr_workgroup_id_x 1
		.amdhsa_system_sgpr_workgroup_id_y 0
		.amdhsa_system_sgpr_workgroup_id_z 0
		.amdhsa_system_sgpr_workgroup_info 0
		.amdhsa_system_vgpr_workitem_id 0
		.amdhsa_next_free_vgpr 67
		.amdhsa_next_free_sgpr 17
		.amdhsa_reserve_vcc 1
		.amdhsa_float_round_mode_32 0
		.amdhsa_float_round_mode_16_64 0
		.amdhsa_float_denorm_mode_32 3
		.amdhsa_float_denorm_mode_16_64 3
		.amdhsa_dx10_clamp 1
		.amdhsa_ieee_mode 1
		.amdhsa_fp16_overflow 0
		.amdhsa_workgroup_processor_mode 1
		.amdhsa_memory_ordered 1
		.amdhsa_forward_progress 0
		.amdhsa_shared_vgpr_count 0
		.amdhsa_exception_fp_ieee_invalid_op 0
		.amdhsa_exception_fp_denorm_src 0
		.amdhsa_exception_fp_ieee_div_zero 0
		.amdhsa_exception_fp_ieee_overflow 0
		.amdhsa_exception_fp_ieee_underflow 0
		.amdhsa_exception_fp_ieee_inexact 0
		.amdhsa_exception_int_div_zero 0
	.end_amdhsa_kernel
	.section	.text._ZN9rocsparseL18bsrxmvn_4x4_kernelILj128ELj4EiliaaiEEvT3_20rocsparse_direction_NS_24const_host_device_scalarIT1_EES1_PKS1_PKT2_SA_S7_PKT4_PKT5_S5_PT6_21rocsparse_index_base_b,"axG",@progbits,_ZN9rocsparseL18bsrxmvn_4x4_kernelILj128ELj4EiliaaiEEvT3_20rocsparse_direction_NS_24const_host_device_scalarIT1_EES1_PKS1_PKT2_SA_S7_PKT4_PKT5_S5_PT6_21rocsparse_index_base_b,comdat
.Lfunc_end65:
	.size	_ZN9rocsparseL18bsrxmvn_4x4_kernelILj128ELj4EiliaaiEEvT3_20rocsparse_direction_NS_24const_host_device_scalarIT1_EES1_PKS1_PKT2_SA_S7_PKT4_PKT5_S5_PT6_21rocsparse_index_base_b, .Lfunc_end65-_ZN9rocsparseL18bsrxmvn_4x4_kernelILj128ELj4EiliaaiEEvT3_20rocsparse_direction_NS_24const_host_device_scalarIT1_EES1_PKS1_PKT2_SA_S7_PKT4_PKT5_S5_PT6_21rocsparse_index_base_b
                                        ; -- End function
	.section	.AMDGPU.csdata,"",@progbits
; Kernel info:
; codeLenInByte = 4008
; NumSgprs: 19
; NumVgprs: 67
; ScratchSize: 0
; MemoryBound: 0
; FloatMode: 240
; IeeeMode: 1
; LDSByteSize: 0 bytes/workgroup (compile time only)
; SGPRBlocks: 2
; VGPRBlocks: 8
; NumSGPRsForWavesPerEU: 19
; NumVGPRsForWavesPerEU: 67
; Occupancy: 16
; WaveLimiterHint : 1
; COMPUTE_PGM_RSRC2:SCRATCH_EN: 0
; COMPUTE_PGM_RSRC2:USER_SGPR: 15
; COMPUTE_PGM_RSRC2:TRAP_HANDLER: 0
; COMPUTE_PGM_RSRC2:TGID_X_EN: 1
; COMPUTE_PGM_RSRC2:TGID_Y_EN: 0
; COMPUTE_PGM_RSRC2:TGID_Z_EN: 0
; COMPUTE_PGM_RSRC2:TIDIG_COMP_CNT: 0
	.section	.text._ZN9rocsparseL18bsrxmvn_4x4_kernelILj128ELj8EiliaaiEEvT3_20rocsparse_direction_NS_24const_host_device_scalarIT1_EES1_PKS1_PKT2_SA_S7_PKT4_PKT5_S5_PT6_21rocsparse_index_base_b,"axG",@progbits,_ZN9rocsparseL18bsrxmvn_4x4_kernelILj128ELj8EiliaaiEEvT3_20rocsparse_direction_NS_24const_host_device_scalarIT1_EES1_PKS1_PKT2_SA_S7_PKT4_PKT5_S5_PT6_21rocsparse_index_base_b,comdat
	.globl	_ZN9rocsparseL18bsrxmvn_4x4_kernelILj128ELj8EiliaaiEEvT3_20rocsparse_direction_NS_24const_host_device_scalarIT1_EES1_PKS1_PKT2_SA_S7_PKT4_PKT5_S5_PT6_21rocsparse_index_base_b ; -- Begin function _ZN9rocsparseL18bsrxmvn_4x4_kernelILj128ELj8EiliaaiEEvT3_20rocsparse_direction_NS_24const_host_device_scalarIT1_EES1_PKS1_PKT2_SA_S7_PKT4_PKT5_S5_PT6_21rocsparse_index_base_b
	.p2align	8
	.type	_ZN9rocsparseL18bsrxmvn_4x4_kernelILj128ELj8EiliaaiEEvT3_20rocsparse_direction_NS_24const_host_device_scalarIT1_EES1_PKS1_PKT2_SA_S7_PKT4_PKT5_S5_PT6_21rocsparse_index_base_b,@function
_ZN9rocsparseL18bsrxmvn_4x4_kernelILj128ELj8EiliaaiEEvT3_20rocsparse_direction_NS_24const_host_device_scalarIT1_EES1_PKS1_PKT2_SA_S7_PKT4_PKT5_S5_PT6_21rocsparse_index_base_b: ; @_ZN9rocsparseL18bsrxmvn_4x4_kernelILj128ELj8EiliaaiEEvT3_20rocsparse_direction_NS_24const_host_device_scalarIT1_EES1_PKS1_PKT2_SA_S7_PKT4_PKT5_S5_PT6_21rocsparse_index_base_b
; %bb.0:
	s_clause 0x1
	s_load_b64 s[12:13], s[0:1], 0x58
	s_load_b64 s[4:5], s[0:1], 0x8
	s_mov_b32 s7, -1
	s_waitcnt lgkmcnt(0)
	s_bitcmp1_b32 s13, 0
                                        ; implicit-def: $sgpr13
	s_cselect_b32 s2, -1, 0
	s_delay_alu instid0(SALU_CYCLE_1) | instskip(NEXT) | instid1(SALU_CYCLE_1)
	s_xor_b32 s6, s2, -1
	s_and_b32 vcc_lo, exec_lo, s6
	s_cbranch_vccnz .LBB66_4
; %bb.1:
	s_load_b64 s[2:3], s[0:1], 0x48
	s_and_not1_b32 vcc_lo, exec_lo, s7
	s_cbranch_vccz .LBB66_5
.LBB66_2:
	s_and_b32 vcc_lo, exec_lo, s6
	s_cbranch_vccz .LBB66_6
.LBB66_3:
	s_waitcnt lgkmcnt(0)
	s_load_b32 s14, s[2:3], 0x0
	s_cbranch_execz .LBB66_7
	s_branch .LBB66_8
.LBB66_4:
	s_load_b32 s13, s[4:5], 0x0
	s_load_b64 s[2:3], s[0:1], 0x48
	s_cbranch_execnz .LBB66_2
.LBB66_5:
	s_waitcnt lgkmcnt(0)
	s_mov_b32 s13, s4
	s_and_b32 vcc_lo, exec_lo, s6
	s_cbranch_vccnz .LBB66_3
.LBB66_6:
	s_waitcnt lgkmcnt(0)
                                        ; implicit-def: $sgpr14
.LBB66_7:
	s_waitcnt lgkmcnt(0)
	s_mov_b32 s14, s2
.LBB66_8:
	s_cmp_lg_u32 s13, 0
	s_mov_b32 s6, 0
	s_cselect_b32 s2, -1, 0
	s_waitcnt lgkmcnt(0)
	s_cmp_lg_u32 s14, 1
	s_cselect_b32 s3, -1, 0
	s_delay_alu instid0(SALU_CYCLE_1) | instskip(NEXT) | instid1(SALU_CYCLE_1)
	s_or_b32 s2, s2, s3
	s_and_not1_b32 vcc_lo, exec_lo, s2
	s_cbranch_vccnz .LBB66_14
; %bb.9:
	s_clause 0x1
	s_load_b64 s[4:5], s[0:1], 0x18
	s_load_b64 s[2:3], s[0:1], 0x0
	v_lshrrev_b32_e32 v1, 3, v0
	s_delay_alu instid0(VALU_DEP_1)
	v_lshl_or_b32 v3, s15, 4, v1
	s_waitcnt lgkmcnt(0)
	s_cmp_lg_u64 s[4:5], 0
	s_cbranch_scc0 .LBB66_15
; %bb.10:
	s_load_b32 s6, s[0:1], 0x10
	s_mov_b32 s7, 0
                                        ; implicit-def: $vgpr1
	s_waitcnt lgkmcnt(0)
	v_cmp_gt_i32_e32 vcc_lo, s6, v3
	s_mov_b32 s6, 0
	s_and_saveexec_b32 s8, vcc_lo
	s_delay_alu instid0(SALU_CYCLE_1)
	s_xor_b32 s8, exec_lo, s8
	s_cbranch_execz .LBB66_12
; %bb.11:
	v_ashrrev_i32_e32 v4, 31, v3
	s_mov_b32 s6, exec_lo
	s_delay_alu instid0(VALU_DEP_1) | instskip(NEXT) | instid1(VALU_DEP_1)
	v_lshlrev_b64 v[1:2], 2, v[3:4]
	v_add_co_u32 v1, vcc_lo, s4, v1
	s_delay_alu instid0(VALU_DEP_2)
	v_add_co_ci_u32_e32 v2, vcc_lo, s5, v2, vcc_lo
	global_load_b32 v1, v[1:2], off
	s_waitcnt vmcnt(0)
	v_subrev_nc_u32_e32 v1, s12, v1
.LBB66_12:
	s_or_b32 exec_lo, exec_lo, s8
	s_delay_alu instid0(SALU_CYCLE_1)
	s_and_b32 vcc_lo, exec_lo, s7
	s_cbranch_vccz .LBB66_16
.LBB66_13:
	v_cmp_gt_i32_e32 vcc_lo, s2, v3
	s_and_not1_b32 s2, s6, exec_lo
	s_and_b32 s4, vcc_lo, exec_lo
	s_delay_alu instid0(SALU_CYCLE_1) | instskip(NEXT) | instid1(SALU_CYCLE_1)
	s_or_b32 s6, s2, s4
	s_and_saveexec_b32 s2, s6
	s_cbranch_execnz .LBB66_17
.LBB66_14:
	s_nop 0
	s_sendmsg sendmsg(MSG_DEALLOC_VGPRS)
	s_endpgm
.LBB66_15:
                                        ; implicit-def: $vgpr1
	s_cbranch_execnz .LBB66_13
.LBB66_16:
	s_delay_alu instid0(VALU_DEP_1)
	v_mov_b32_e32 v3, v1
	s_and_saveexec_b32 s2, s6
	s_cbranch_execz .LBB66_14
.LBB66_17:
	s_load_b256 s[4:11], s[0:1], 0x20
	s_delay_alu instid0(VALU_DEP_1) | instskip(SKIP_1) | instid1(VALU_DEP_2)
	v_ashrrev_i32_e32 v4, 31, v3
	v_mov_b32_e32 v19, 0
	v_lshlrev_b64 v[1:2], 3, v[3:4]
	s_waitcnt lgkmcnt(0)
	s_delay_alu instid0(VALU_DEP_1) | instskip(NEXT) | instid1(VALU_DEP_2)
	v_add_co_u32 v4, vcc_lo, s4, v1
	v_add_co_ci_u32_e32 v5, vcc_lo, s5, v2, vcc_lo
	v_add_co_u32 v1, vcc_lo, s6, v1
	v_add_co_ci_u32_e32 v2, vcc_lo, s7, v2, vcc_lo
	s_delay_alu instid0(VALU_DEP_4)
	v_add_co_u32 v8, vcc_lo, v4, 8
	global_load_b64 v[6:7], v[4:5], off
	v_add_co_ci_u32_e32 v9, vcc_lo, 0, v5, vcc_lo
	s_cmp_eq_u64 s[6:7], 0
	s_load_b64 s[6:7], s[0:1], 0x40
	s_cselect_b32 vcc_lo, -1, 0
	s_cmp_eq_u32 s3, 1
	v_dual_cndmask_b32 v2, v2, v9 :: v_dual_cndmask_b32 v1, v1, v8
	global_load_b64 v[8:9], v[1:2], off
	v_and_b32_e32 v2, 7, v0
	s_waitcnt vmcnt(1)
	v_sub_co_u32 v0, vcc_lo, v6, s12
	v_subrev_co_ci_u32_e32 v1, vcc_lo, 0, v7, vcc_lo
	s_delay_alu instid0(VALU_DEP_2) | instskip(NEXT) | instid1(VALU_DEP_2)
	v_add_co_u32 v4, vcc_lo, v0, v2
	v_add_co_ci_u32_e32 v5, vcc_lo, 0, v1, vcc_lo
	s_delay_alu instid0(VALU_DEP_1) | instskip(SKIP_3) | instid1(VALU_DEP_3)
	v_lshlrev_b64 v[0:1], 4, v[4:5]
	s_waitcnt vmcnt(0)
	v_sub_co_u32 v8, vcc_lo, v8, s12
	v_subrev_co_ci_u32_e32 v9, vcc_lo, 0, v9, vcc_lo
	v_add_co_u32 v0, vcc_lo, s10, v0
	s_delay_alu instid0(VALU_DEP_2)
	v_cmp_lt_i64_e64 s2, v[4:5], v[8:9]
	v_add_co_ci_u32_e32 v1, vcc_lo, s11, v1, vcc_lo
	s_mov_b32 s10, 0
	s_cbranch_scc1 .LBB66_29
; %bb.18:
	v_dual_mov_b32 v20, 0 :: v_dual_mov_b32 v21, 0
	v_mov_b32_e32 v18, 0
	s_and_saveexec_b32 s11, s2
	s_cbranch_execz .LBB66_28
; %bb.19:
	v_or_b32_e32 v10, 8, v2
	v_not_b32_e32 v13, v6
	v_not_b32_e32 v12, v7
	v_dual_mov_b32 v18, 0 :: v_dual_mov_b32 v21, 0
	s_delay_alu instid0(VALU_DEP_4) | instskip(NEXT) | instid1(VALU_DEP_1)
	v_sub_co_u32 v10, s3, v10, s12
	v_sub_co_ci_u32_e64 v11, null, 0, 0, s3
	v_sub_co_u32 v14, s3, s12, v2
	s_delay_alu instid0(VALU_DEP_3) | instskip(NEXT) | instid1(VALU_DEP_3)
	v_add_co_u32 v10, vcc_lo, v10, v6
	v_add_co_ci_u32_e32 v11, vcc_lo, v11, v7, vcc_lo
	v_sub_co_ci_u32_e64 v15, null, 0, 0, s3
	v_dual_mov_b32 v20, 0 :: v_dual_mov_b32 v19, 0
	s_delay_alu instid0(VALU_DEP_3) | instskip(SKIP_4) | instid1(VALU_DEP_2)
	v_cmp_gt_i64_e32 vcc_lo, v[10:11], v[8:9]
	s_mov_b32 s16, 0
	v_dual_cndmask_b32 v11, v9, v11 :: v_dual_cndmask_b32 v10, v8, v10
	v_add_co_u32 v13, vcc_lo, v14, v13
	v_add_co_ci_u32_e32 v12, vcc_lo, v15, v12, vcc_lo
	v_add_co_u32 v10, vcc_lo, v13, v10
	s_delay_alu instid0(VALU_DEP_2) | instskip(SKIP_1) | instid1(VALU_DEP_2)
	v_add_co_ci_u32_e32 v11, vcc_lo, v12, v11, vcc_lo
	v_dual_mov_b32 v13, v5 :: v_dual_mov_b32 v12, v4
	v_lshrrev_b64 v[14:15], 3, v[10:11]
	v_cmp_lt_u64_e32 vcc_lo, 23, v[10:11]
	v_dual_mov_b32 v11, v1 :: v_dual_mov_b32 v10, v0
	s_delay_alu instid0(VALU_DEP_3) | instskip(NEXT) | instid1(VALU_DEP_1)
	v_add_co_u32 v22, s3, v14, 1
	v_add_co_ci_u32_e64 v15, s3, 0, v15, s3
	s_and_saveexec_b32 s15, vcc_lo
	s_cbranch_execz .LBB66_23
; %bb.20:
	v_lshlrev_b64 v[10:11], 2, v[4:5]
	v_dual_mov_b32 v19, 0 :: v_dual_and_b32 v14, -4, v22
	v_dual_mov_b32 v20, 0 :: v_dual_mov_b32 v21, 0
	v_mov_b32_e32 v18, 0
	s_delay_alu instid0(VALU_DEP_4) | instskip(SKIP_2) | instid1(VALU_DEP_3)
	v_add_co_u32 v12, vcc_lo, v10, s8
	v_add_co_ci_u32_e32 v13, vcc_lo, s9, v11, vcc_lo
	v_dual_mov_b32 v11, v1 :: v_dual_mov_b32 v10, v0
	v_add_co_u32 v16, vcc_lo, v12, 64
	s_delay_alu instid0(VALU_DEP_3)
	v_add_co_ci_u32_e32 v17, vcc_lo, 0, v13, vcc_lo
	v_dual_mov_b32 v13, v5 :: v_dual_mov_b32 v12, v4
.LBB66_21:                              ; =>This Inner Loop Header: Depth=1
	s_clause 0x3
	global_load_b32 v39, v[16:17], off offset:-64
	global_load_b32 v40, v[16:17], off offset:-32
	global_load_b32 v41, v[16:17], off
	global_load_b32 v42, v[16:17], off offset:32
	s_clause 0x3
	global_load_b128 v[23:26], v[10:11], off
	global_load_b128 v[27:30], v[10:11], off offset:128
	global_load_b128 v[31:34], v[10:11], off offset:256
	;; [unrolled: 1-line block ×3, first 2 shown]
	s_waitcnt vmcnt(7)
	v_subrev_nc_u32_e32 v39, s12, v39
	s_waitcnt vmcnt(6)
	v_subrev_nc_u32_e32 v40, s12, v40
	;; [unrolled: 2-line block ×4, first 2 shown]
	v_lshlrev_b32_e32 v44, 2, v39
	v_lshlrev_b32_e32 v39, 2, v40
	;; [unrolled: 1-line block ×3, first 2 shown]
	s_delay_alu instid0(VALU_DEP_4)
	v_lshlrev_b32_e32 v42, 2, v42
	s_waitcnt vmcnt(1)
	v_ashrrev_i32_e32 v50, 24, v31
	v_ashrrev_i32_e32 v46, 31, v44
	;; [unrolled: 1-line block ×5, first 2 shown]
	s_waitcnt lgkmcnt(0)
	v_add_co_u32 v45, s5, s6, v44
	v_add_co_u32 v39, vcc_lo, s6, v39
	v_add_co_u32 v41, s3, s6, v40
	v_add_co_ci_u32_e64 v46, s5, s7, v46, s5
	v_add_co_u32 v43, s4, s6, v42
	v_add_co_ci_u32_e32 v40, vcc_lo, s7, v47, vcc_lo
	v_add_co_ci_u32_e64 v42, vcc_lo, s7, v48, s3
	v_add_co_ci_u32_e64 v44, vcc_lo, s7, v49, s4
	s_clause 0x3
	global_load_b32 v45, v[45:46], off
	global_load_b32 v39, v[39:40], off
	;; [unrolled: 1-line block ×4, first 2 shown]
	v_lshrrev_b16 v42, 8, v23
	v_ashrrev_i32_e32 v43, 24, v23
	v_lshrrev_b16 v46, 8, v27
	v_ashrrev_i32_e32 v47, 24, v27
	v_lshrrev_b16 v49, 8, v31
	v_bfe_i32 v51, v31, 16, 8
	v_bfe_i32 v31, v31, 0, 8
	;; [unrolled: 1-line block ×6, first 2 shown]
	s_waitcnt vmcnt(4)
	v_lshrrev_b16 v52, 8, v35
	v_ashrrev_i32_e32 v53, 24, v35
	v_bfe_i32 v42, v42, 0, 8
	v_bfe_i32 v46, v46, 0, 8
	;; [unrolled: 1-line block ×3, first 2 shown]
	v_add_co_u32 v10, vcc_lo, 0x200, v10
	v_bfe_i32 v54, v35, 16, 8
	v_bfe_i32 v35, v35, 0, 8
	v_bfe_i32 v52, v52, 0, 8
	v_add_co_ci_u32_e32 v11, vcc_lo, 0, v11, vcc_lo
	v_add_co_u32 v12, vcc_lo, v12, 32
	v_add_co_ci_u32_e32 v13, vcc_lo, 0, v13, vcc_lo
	v_add_co_u32 v14, vcc_lo, v14, -4
	v_add_co_ci_u32_e32 v15, vcc_lo, -1, v15, vcc_lo
	v_add_co_u32 v16, vcc_lo, 0x80, v16
	v_add_co_ci_u32_e32 v17, vcc_lo, 0, v17, vcc_lo
	s_delay_alu instid0(VALU_DEP_3)
	v_cmp_eq_u64_e32 vcc_lo, 0, v[14:15]
	s_or_b32 s16, vcc_lo, s16
	s_waitcnt vmcnt(3)
	v_lshrrev_b16 v55, 8, v45
	v_ashrrev_i32_e32 v56, 24, v45
	v_dot4_i32_iu8 v21, v45, v24, v21 neg_lo:[1,1,0]
	v_dot4_i32_iu8 v20, v45, v25, v20 neg_lo:[1,1,0]
	s_waitcnt vmcnt(2)
	v_lshrrev_b16 v24, 8, v39
	v_ashrrev_i32_e32 v25, 24, v39
	s_waitcnt vmcnt(1)
	v_lshrrev_b16 v59, 8, v40
	v_ashrrev_i32_e32 v60, 24, v40
	v_bfe_i32 v62, v40, 0, 8
	v_bfe_i32 v57, v45, 16, 8
	;; [unrolled: 1-line block ×3, first 2 shown]
	v_dot4_i32_iu8 v19, v45, v26, v19 neg_lo:[1,1,0]
	v_bfe_i32 v26, v39, 16, 8
	v_bfe_i32 v45, v39, 0, 8
	;; [unrolled: 1-line block ×3, first 2 shown]
	s_waitcnt vmcnt(0)
	v_lshrrev_b16 v63, 8, v41
	v_ashrrev_i32_e32 v64, 24, v41
	v_bfe_i32 v55, v55, 0, 8
	v_mul_i32_i24_e32 v43, v56, v43
	v_bfe_i32 v24, v24, 0, 8
	v_mul_i32_i24_e32 v25, v25, v47
	v_dot4_i32_iu8 v21, v39, v28, v21 neg_lo:[1,1,0]
	v_dot4_i32_iu8 v20, v39, v29, v20 neg_lo:[1,1,0]
	v_bfe_i32 v28, v59, 0, 8
	v_mul_i32_i24_e32 v29, v62, v31
	v_mul_i32_i24_e32 v31, v60, v50
	v_bfe_i32 v65, v41, 16, 8
	v_bfe_i32 v66, v41, 0, 8
	v_mul_i32_i24_e32 v23, v58, v23
	v_mul_i32_i24_e32 v44, v57, v44
	;; [unrolled: 1-line block ×4, first 2 shown]
	v_dot4_i32_iu8 v19, v39, v30, v19 neg_lo:[1,1,0]
	v_mul_i32_i24_e32 v30, v61, v51
	v_bfe_i32 v39, v63, 0, 8
	v_mul_i32_i24_e32 v45, v64, v53
	v_mad_i32_i24 v42, v55, v42, v43
	v_mad_i32_i24 v24, v24, v46, v25
	;; [unrolled: 1-line block ×3, first 2 shown]
	v_mul_i32_i24_e32 v35, v66, v35
	v_mul_i32_i24_e32 v28, v65, v54
	v_mad_i32_i24 v31, v39, v52, v45
	v_add3_u32 v23, v23, v44, v42
	v_add3_u32 v24, v27, v26, v24
	;; [unrolled: 1-line block ×3, first 2 shown]
	v_dot4_i32_iu8 v21, v40, v32, v21 neg_lo:[1,1,0]
	v_dot4_i32_iu8 v20, v40, v33, v20 neg_lo:[1,1,0]
	;; [unrolled: 1-line block ×3, first 2 shown]
	v_add3_u32 v26, v35, v28, v31
	v_add3_u32 v23, v23, v24, v25
	v_dot4_i32_iu8 v21, v41, v36, v21 neg_lo:[1,1,0]
	v_dot4_i32_iu8 v20, v41, v37, v20 neg_lo:[1,1,0]
	;; [unrolled: 1-line block ×3, first 2 shown]
	s_delay_alu instid0(VALU_DEP_4)
	v_add3_u32 v18, v23, v26, v18
	s_and_not1_b32 exec_lo, exec_lo, s16
	s_cbranch_execnz .LBB66_21
; %bb.22:
	s_or_b32 exec_lo, exec_lo, s16
.LBB66_23:
	s_delay_alu instid0(SALU_CYCLE_1) | instskip(SKIP_2) | instid1(VALU_DEP_1)
	s_or_b32 exec_lo, exec_lo, s15
	v_dual_mov_b32 v15, 0 :: v_dual_and_b32 v14, 3, v22
	s_mov_b32 s3, exec_lo
	v_cmpx_ne_u64_e32 0, v[14:15]
	s_cbranch_execz .LBB66_27
; %bb.24:
	v_lshlrev_b64 v[12:13], 2, v[12:13]
	v_lshlrev_b32_e32 v14, 2, v14
	s_mov_b32 s4, 0
	s_delay_alu instid0(VALU_DEP_2) | instskip(NEXT) | instid1(VALU_DEP_3)
	v_add_co_u32 v12, vcc_lo, s8, v12
	v_add_co_ci_u32_e32 v13, vcc_lo, s9, v13, vcc_lo
.LBB66_25:                              ; =>This Inner Loop Header: Depth=1
	global_load_b32 v16, v[12:13], off
	s_waitcnt vmcnt(0)
	v_subrev_nc_u32_e32 v16, s12, v16
	s_delay_alu instid0(VALU_DEP_1) | instskip(NEXT) | instid1(VALU_DEP_1)
	v_lshlrev_b32_e32 v16, 2, v16
	v_ashrrev_i32_e32 v17, 31, v16
	s_waitcnt lgkmcnt(0)
	v_add_co_u32 v16, vcc_lo, s6, v16
	s_delay_alu instid0(VALU_DEP_2)
	v_add_co_ci_u32_e32 v17, vcc_lo, s7, v17, vcc_lo
	global_load_b128 v[22:25], v[10:11], off
	global_load_b32 v16, v[16:17], off
	v_add_co_u32 v10, vcc_lo, 0x80, v10
	v_add_co_ci_u32_e32 v11, vcc_lo, 0, v11, vcc_lo
	v_add_co_u32 v14, vcc_lo, v14, -4
	v_add_co_ci_u32_e32 v15, vcc_lo, -1, v15, vcc_lo
	v_add_co_u32 v12, vcc_lo, v12, 32
	v_add_co_ci_u32_e32 v13, vcc_lo, 0, v13, vcc_lo
	s_delay_alu instid0(VALU_DEP_3)
	v_cmp_eq_u64_e32 vcc_lo, 0, v[14:15]
	s_or_b32 s4, vcc_lo, s4
	s_waitcnt vmcnt(1)
	v_lshrrev_b16 v17, 8, v22
	v_ashrrev_i32_e32 v26, 24, v22
	v_bfe_i32 v27, v22, 0, 8
	v_bfe_i32 v22, v22, 16, 8
	s_waitcnt vmcnt(0)
	v_lshrrev_b16 v28, 8, v16
	v_bfe_i32 v29, v16, 16, 8
	v_ashrrev_i32_e32 v30, 24, v16
	v_bfe_i32 v17, v17, 0, 8
	v_bfe_i32 v31, v16, 0, 8
	;; [unrolled: 1-line block ×3, first 2 shown]
	v_mul_i32_i24_e32 v22, v29, v22
	v_mul_i32_i24_e32 v26, v30, v26
	v_dot4_i32_iu8 v21, v16, v23, v21 neg_lo:[1,1,0]
	v_dot4_i32_iu8 v20, v16, v24, v20 neg_lo:[1,1,0]
	v_dot4_i32_iu8 v19, v16, v25, v19 neg_lo:[1,1,0]
	v_mad_i32_i24 v22, v31, v27, v22
	v_mad_i32_i24 v17, v28, v17, v26
	s_delay_alu instid0(VALU_DEP_1)
	v_add3_u32 v18, v22, v17, v18
	s_and_not1_b32 exec_lo, exec_lo, s4
	s_cbranch_execnz .LBB66_25
; %bb.26:
	s_or_b32 exec_lo, exec_lo, s4
.LBB66_27:
	s_delay_alu instid0(SALU_CYCLE_1)
	s_or_b32 exec_lo, exec_lo, s3
.LBB66_28:
	s_delay_alu instid0(SALU_CYCLE_1) | instskip(NEXT) | instid1(SALU_CYCLE_1)
	s_or_b32 exec_lo, exec_lo, s11
	s_and_not1_b32 vcc_lo, exec_lo, s10
	s_cbranch_vccz .LBB66_30
	s_branch .LBB66_41
.LBB66_29:
                                        ; implicit-def: $vgpr19
                                        ; implicit-def: $vgpr20
                                        ; implicit-def: $vgpr21
                                        ; implicit-def: $vgpr18
.LBB66_30:
	v_dual_mov_b32 v19, 0 :: v_dual_mov_b32 v20, 0
	v_dual_mov_b32 v21, 0 :: v_dual_mov_b32 v18, 0
	s_and_saveexec_b32 s5, s2
	s_cbranch_execz .LBB66_40
; %bb.31:
	v_or_b32_e32 v10, 8, v2
	v_dual_mov_b32 v18, 0 :: v_dual_mov_b32 v21, 0
	v_dual_mov_b32 v20, 0 :: v_dual_mov_b32 v19, 0
	s_delay_alu instid0(VALU_DEP_3) | instskip(NEXT) | instid1(VALU_DEP_1)
	v_sub_co_u32 v10, s2, v10, s12
	v_sub_co_ci_u32_e64 v11, null, 0, 0, s2
	v_sub_co_u32 v12, s2, s12, v2
	s_delay_alu instid0(VALU_DEP_3) | instskip(NEXT) | instid1(VALU_DEP_3)
	v_add_co_u32 v10, vcc_lo, v10, v6
	v_add_co_ci_u32_e32 v11, vcc_lo, v11, v7, vcc_lo
	v_not_b32_e32 v6, v6
	v_not_b32_e32 v7, v7
	v_sub_co_ci_u32_e64 v13, null, 0, 0, s2
	s_delay_alu instid0(VALU_DEP_4) | instskip(SKIP_4) | instid1(VALU_DEP_2)
	v_cmp_gt_i64_e32 vcc_lo, v[10:11], v[8:9]
	s_mov_b32 s11, 0
	v_dual_cndmask_b32 v9, v9, v11 :: v_dual_cndmask_b32 v8, v8, v10
	v_add_co_u32 v6, vcc_lo, v12, v6
	v_add_co_ci_u32_e32 v7, vcc_lo, v13, v7, vcc_lo
	v_add_co_u32 v6, vcc_lo, v6, v8
	s_delay_alu instid0(VALU_DEP_2) | instskip(NEXT) | instid1(VALU_DEP_1)
	v_add_co_ci_u32_e32 v7, vcc_lo, v7, v9, vcc_lo
	v_lshrrev_b64 v[8:9], 3, v[6:7]
	v_cmp_lt_u64_e32 vcc_lo, 23, v[6:7]
	s_delay_alu instid0(VALU_DEP_2) | instskip(NEXT) | instid1(VALU_DEP_1)
	v_add_co_u32 v10, s2, v8, 1
	v_add_co_ci_u32_e64 v7, s2, 0, v9, s2
	s_and_saveexec_b32 s10, vcc_lo
	s_cbranch_execz .LBB66_35
; %bb.32:
	v_lshlrev_b64 v[8:9], 2, v[4:5]
	v_dual_mov_b32 v19, 0 :: v_dual_and_b32 v6, -4, v10
	v_dual_mov_b32 v20, 0 :: v_dual_mov_b32 v21, 0
	v_mov_b32_e32 v18, 0
	s_delay_alu instid0(VALU_DEP_4) | instskip(SKIP_1) | instid1(VALU_DEP_2)
	v_add_co_u32 v8, vcc_lo, v8, s8
	v_add_co_ci_u32_e32 v9, vcc_lo, s9, v9, vcc_lo
	v_add_co_u32 v8, vcc_lo, v8, 64
	s_delay_alu instid0(VALU_DEP_2)
	v_add_co_ci_u32_e32 v9, vcc_lo, 0, v9, vcc_lo
.LBB66_33:                              ; =>This Inner Loop Header: Depth=1
	s_clause 0x3
	global_load_b32 v15, v[8:9], off offset:-64
	global_load_b32 v16, v[8:9], off offset:-32
	global_load_b32 v17, v[8:9], off
	global_load_b32 v34, v[8:9], off offset:32
	s_clause 0x3
	global_load_b128 v[11:14], v[0:1], off
	global_load_b128 v[22:25], v[0:1], off offset:128
	global_load_b128 v[26:29], v[0:1], off offset:256
	;; [unrolled: 1-line block ×3, first 2 shown]
	s_waitcnt vmcnt(7)
	v_subrev_nc_u32_e32 v15, s12, v15
	s_waitcnt vmcnt(6)
	v_subrev_nc_u32_e32 v16, s12, v16
	;; [unrolled: 2-line block ×4, first 2 shown]
	v_lshlrev_b32_e32 v35, 2, v15
	v_lshlrev_b32_e32 v15, 2, v16
	;; [unrolled: 1-line block ×3, first 2 shown]
	s_delay_alu instid0(VALU_DEP_4)
	v_lshlrev_b32_e32 v17, 2, v34
	s_waitcnt vmcnt(2)
	v_perm_b32 v42, v25, v24, 0x5010c0c
	v_ashrrev_i32_e32 v38, 31, v35
	s_waitcnt lgkmcnt(0)
	v_add_co_u32 v37, s4, s6, v35
	v_ashrrev_i32_e32 v39, 31, v15
	v_add_co_u32 v15, vcc_lo, s6, v15
	v_add_co_ci_u32_e64 v38, s4, s7, v38, s4
	v_ashrrev_i32_e32 v40, 31, v16
	v_add_co_u32 v34, s2, s6, v16
	v_ashrrev_i32_e32 v41, 31, v17
	v_add_co_u32 v36, s3, s6, v17
	v_add_co_ci_u32_e32 v16, vcc_lo, s7, v39, vcc_lo
	global_load_b32 v17, v[37:38], off
	v_add_co_ci_u32_e64 v35, vcc_lo, s7, v40, s2
	global_load_b32 v15, v[15:16], off
	v_add_co_ci_u32_e64 v37, vcc_lo, s7, v41, s3
	s_clause 0x1
	global_load_b32 v16, v[34:35], off
	global_load_b32 v34, v[36:37], off
	v_perm_b32 v35, v12, v11, 0xc0c0400
	v_perm_b32 v36, v14, v13, 0x4000c0c
	;; [unrolled: 1-line block ×15, first 2 shown]
	s_waitcnt vmcnt(5)
	v_perm_b32 v24, v27, v26, 0xc0c0400
	v_perm_b32 v25, v29, v28, 0x4000c0c
	;; [unrolled: 1-line block ×8, first 2 shown]
	s_waitcnt vmcnt(4)
	v_perm_b32 v28, v31, v30, 0xc0c0400
	v_perm_b32 v29, v33, v32, 0x4000c0c
	;; [unrolled: 1-line block ×8, first 2 shown]
	v_or_b32_e32 v32, v36, v35
	v_or_b32_e32 v33, v38, v37
	;; [unrolled: 1-line block ×4, first 2 shown]
	v_add_co_u32 v0, vcc_lo, 0x200, v0
	v_or_b32_e32 v12, v14, v13
	v_or_b32_e32 v13, v42, v41
	;; [unrolled: 1-line block ×4, first 2 shown]
	v_add_co_ci_u32_e32 v1, vcc_lo, 0, v1, vcc_lo
	v_add_co_u32 v4, vcc_lo, v4, 32
	v_add_co_ci_u32_e32 v5, vcc_lo, 0, v5, vcc_lo
	v_add_co_u32 v6, vcc_lo, v6, -4
	v_or_b32_e32 v23, v25, v24
	v_or_b32_e32 v24, v46, v45
	;; [unrolled: 1-line block ×4, first 2 shown]
	v_add_co_ci_u32_e32 v7, vcc_lo, -1, v7, vcc_lo
	v_add_co_u32 v8, vcc_lo, 0x80, v8
	v_or_b32_e32 v27, v29, v28
	v_or_b32_e32 v28, v50, v49
	v_add_co_ci_u32_e32 v9, vcc_lo, 0, v9, vcc_lo
	v_cmp_eq_u64_e32 vcc_lo, 0, v[6:7]
	s_or_b32 s11, vcc_lo, s11
	s_waitcnt vmcnt(3)
	v_dot4_i32_iu8 v18, v17, v32, v18 neg_lo:[1,1,0]
	v_dot4_i32_iu8 v21, v33, v17, v21 neg_lo:[1,1,0]
	v_dot4_i32_iu8 v20, v35, v17, v20 neg_lo:[1,1,0]
	v_dot4_i32_iu8 v11, v11, v17, v19 neg_lo:[1,1,0]
	v_or_b32_e32 v17, v52, v51
	s_waitcnt vmcnt(2)
	v_dot4_i32_iu8 v12, v15, v12, v18 neg_lo:[1,1,0]
	v_dot4_i32_iu8 v13, v13, v15, v21 neg_lo:[1,1,0]
	;; [unrolled: 1-line block ×4, first 2 shown]
	v_or_b32_e32 v15, v31, v30
	s_waitcnt vmcnt(1)
	v_dot4_i32_iu8 v12, v16, v23, v12 neg_lo:[1,1,0]
	v_dot4_i32_iu8 v13, v24, v16, v13 neg_lo:[1,1,0]
	;; [unrolled: 1-line block ×4, first 2 shown]
	s_waitcnt vmcnt(0)
	v_dot4_i32_iu8 v18, v34, v27, v12 neg_lo:[1,1,0]
	v_dot4_i32_iu8 v21, v28, v34, v13 neg_lo:[1,1,0]
	;; [unrolled: 1-line block ×4, first 2 shown]
	s_and_not1_b32 exec_lo, exec_lo, s11
	s_cbranch_execnz .LBB66_33
; %bb.34:
	s_or_b32 exec_lo, exec_lo, s11
.LBB66_35:
	s_delay_alu instid0(SALU_CYCLE_1) | instskip(SKIP_2) | instid1(VALU_DEP_1)
	s_or_b32 exec_lo, exec_lo, s10
	v_dual_mov_b32 v7, 0 :: v_dual_and_b32 v6, 3, v10
	s_mov_b32 s2, exec_lo
	v_cmpx_ne_u64_e32 0, v[6:7]
	s_cbranch_execz .LBB66_39
; %bb.36:
	v_lshlrev_b64 v[4:5], 2, v[4:5]
	v_lshlrev_b32_e32 v6, 2, v6
	s_mov_b32 s3, 0
	s_delay_alu instid0(VALU_DEP_2) | instskip(NEXT) | instid1(VALU_DEP_3)
	v_add_co_u32 v4, vcc_lo, s8, v4
	v_add_co_ci_u32_e32 v5, vcc_lo, s9, v5, vcc_lo
.LBB66_37:                              ; =>This Inner Loop Header: Depth=1
	global_load_b32 v8, v[4:5], off
	s_waitcnt vmcnt(0)
	v_subrev_nc_u32_e32 v8, s12, v8
	s_delay_alu instid0(VALU_DEP_1) | instskip(SKIP_4) | instid1(VALU_DEP_2)
	v_lshlrev_b32_e32 v12, 2, v8
	global_load_b128 v[8:11], v[0:1], off
	v_ashrrev_i32_e32 v13, 31, v12
	s_waitcnt lgkmcnt(0)
	v_add_co_u32 v12, vcc_lo, s6, v12
	v_add_co_ci_u32_e32 v13, vcc_lo, s7, v13, vcc_lo
	v_add_co_u32 v0, vcc_lo, 0x80, v0
	v_add_co_ci_u32_e32 v1, vcc_lo, 0, v1, vcc_lo
	global_load_b32 v12, v[12:13], off
	v_add_co_u32 v4, vcc_lo, v4, 32
	v_add_co_ci_u32_e32 v5, vcc_lo, 0, v5, vcc_lo
	v_add_co_u32 v6, vcc_lo, v6, -4
	v_add_co_ci_u32_e32 v7, vcc_lo, -1, v7, vcc_lo
	s_delay_alu instid0(VALU_DEP_1)
	v_cmp_eq_u64_e32 vcc_lo, 0, v[6:7]
	s_or_b32 s3, vcc_lo, s3
	s_waitcnt vmcnt(1)
	v_perm_b32 v13, v9, v8, 0xc0c0400
	v_perm_b32 v14, v11, v10, 0x4000c0c
	;; [unrolled: 1-line block ×8, first 2 shown]
	v_or_b32_e32 v10, v14, v13
	v_or_b32_e32 v11, v16, v15
	v_or_b32_e32 v13, v22, v17
	s_delay_alu instid0(VALU_DEP_4)
	v_or_b32_e32 v8, v9, v8
	s_waitcnt vmcnt(0)
	v_dot4_i32_iu8 v18, v12, v10, v18 neg_lo:[1,1,0]
	v_dot4_i32_iu8 v21, v11, v12, v21 neg_lo:[1,1,0]
	;; [unrolled: 1-line block ×4, first 2 shown]
	s_and_not1_b32 exec_lo, exec_lo, s3
	s_cbranch_execnz .LBB66_37
; %bb.38:
	s_or_b32 exec_lo, exec_lo, s3
.LBB66_39:
	s_delay_alu instid0(SALU_CYCLE_1)
	s_or_b32 exec_lo, exec_lo, s2
.LBB66_40:
	s_delay_alu instid0(SALU_CYCLE_1)
	s_or_b32 exec_lo, exec_lo, s5
.LBB66_41:
	v_mbcnt_lo_u32_b32 v0, -1, 0
	s_mov_b32 s2, -1
	s_delay_alu instid0(VALU_DEP_1) | instskip(SKIP_2) | instid1(VALU_DEP_3)
	v_xor_b32_e32 v1, 4, v0
	v_xor_b32_e32 v7, 2, v0
	;; [unrolled: 1-line block ×3, first 2 shown]
	v_cmp_gt_i32_e32 vcc_lo, 32, v1
	v_cndmask_b32_e32 v1, v0, v1, vcc_lo
	s_delay_alu instid0(VALU_DEP_4) | instskip(SKIP_2) | instid1(VALU_DEP_4)
	v_cmp_gt_i32_e32 vcc_lo, 32, v7
	v_cndmask_b32_e32 v7, v0, v7, vcc_lo
	v_cmp_gt_i32_e32 vcc_lo, 32, v11
	v_lshlrev_b32_e32 v1, 2, v1
	s_delay_alu instid0(VALU_DEP_3)
	v_lshlrev_b32_e32 v7, 2, v7
	v_cndmask_b32_e32 v0, v0, v11, vcc_lo
	ds_bpermute_b32 v4, v1, v18
	ds_bpermute_b32 v5, v1, v21
	ds_bpermute_b32 v6, v1, v20
	ds_bpermute_b32 v1, v1, v19
	v_lshlrev_b32_e32 v11, 2, v0
	v_cmp_eq_u32_e32 vcc_lo, 7, v2
	s_waitcnt lgkmcnt(0)
	v_add_nc_u32_e32 v4, v4, v18
	v_add_nc_u32_e32 v5, v5, v21
	;; [unrolled: 1-line block ×4, first 2 shown]
	ds_bpermute_b32 v1, v7, v4
	ds_bpermute_b32 v9, v7, v5
	;; [unrolled: 1-line block ×4, first 2 shown]
	s_waitcnt lgkmcnt(3)
	v_add_nc_u32_e32 v0, v1, v4
	s_waitcnt lgkmcnt(2)
	v_add_nc_u32_e32 v1, v9, v5
	;; [unrolled: 2-line block ×4, first 2 shown]
	ds_bpermute_b32 v6, v11, v0
	ds_bpermute_b32 v7, v11, v1
	ds_bpermute_b32 v8, v11, v4
	ds_bpermute_b32 v9, v11, v5
	s_and_b32 exec_lo, exec_lo, vcc_lo
	s_cbranch_execz .LBB66_14
; %bb.42:
	s_load_b64 s[0:1], s[0:1], 0x50
	s_waitcnt lgkmcnt(0)
	v_add_nc_u32_e32 v0, v6, v0
	v_add_nc_u32_e32 v1, v7, v1
	;; [unrolled: 1-line block ×4, first 2 shown]
	v_lshlrev_b32_e32 v5, 2, v3
	v_mul_lo_u32 v0, v0, s13
	v_mul_lo_u32 v1, v1, s13
	;; [unrolled: 1-line block ×4, first 2 shown]
	s_cmp_eq_u32 s14, 0
	s_cbranch_scc1 .LBB66_44
; %bb.43:
	v_ashrrev_i32_e32 v6, 31, v5
	s_mov_b32 s2, 0
	s_delay_alu instid0(VALU_DEP_1) | instskip(NEXT) | instid1(VALU_DEP_1)
	v_lshlrev_b64 v[6:7], 2, v[5:6]
	v_add_co_u32 v13, vcc_lo, s0, v6
	s_delay_alu instid0(VALU_DEP_2)
	v_add_co_ci_u32_e32 v14, vcc_lo, s1, v7, vcc_lo
	global_load_b128 v[6:9], v[13:14], off
	s_waitcnt vmcnt(0)
	v_mad_u64_u32 v[15:16], null, v9, s14, v[4:5]
	v_mad_u64_u32 v[9:10], null, v6, s14, v[0:1]
	;; [unrolled: 1-line block ×4, first 2 shown]
	s_delay_alu instid0(VALU_DEP_4)
	v_mov_b32_e32 v12, v15
	global_store_b128 v[13:14], v[9:12], off
.LBB66_44:
	s_and_not1_b32 vcc_lo, exec_lo, s2
	s_cbranch_vccnz .LBB66_14
; %bb.45:
	v_ashrrev_i32_e32 v6, 31, v5
	s_delay_alu instid0(VALU_DEP_2) | instskip(NEXT) | instid1(VALU_DEP_2)
	v_mov_b32_e32 v3, v4
	v_lshlrev_b64 v[5:6], 2, v[5:6]
	s_delay_alu instid0(VALU_DEP_1) | instskip(NEXT) | instid1(VALU_DEP_2)
	v_add_co_u32 v5, vcc_lo, s0, v5
	v_add_co_ci_u32_e32 v6, vcc_lo, s1, v6, vcc_lo
	global_store_b128 v[5:6], v[0:3], off
	s_nop 0
	s_sendmsg sendmsg(MSG_DEALLOC_VGPRS)
	s_endpgm
	.section	.rodata,"a",@progbits
	.p2align	6, 0x0
	.amdhsa_kernel _ZN9rocsparseL18bsrxmvn_4x4_kernelILj128ELj8EiliaaiEEvT3_20rocsparse_direction_NS_24const_host_device_scalarIT1_EES1_PKS1_PKT2_SA_S7_PKT4_PKT5_S5_PT6_21rocsparse_index_base_b
		.amdhsa_group_segment_fixed_size 0
		.amdhsa_private_segment_fixed_size 0
		.amdhsa_kernarg_size 96
		.amdhsa_user_sgpr_count 15
		.amdhsa_user_sgpr_dispatch_ptr 0
		.amdhsa_user_sgpr_queue_ptr 0
		.amdhsa_user_sgpr_kernarg_segment_ptr 1
		.amdhsa_user_sgpr_dispatch_id 0
		.amdhsa_user_sgpr_private_segment_size 0
		.amdhsa_wavefront_size32 1
		.amdhsa_uses_dynamic_stack 0
		.amdhsa_enable_private_segment 0
		.amdhsa_system_sgpr_workgroup_id_x 1
		.amdhsa_system_sgpr_workgroup_id_y 0
		.amdhsa_system_sgpr_workgroup_id_z 0
		.amdhsa_system_sgpr_workgroup_info 0
		.amdhsa_system_vgpr_workitem_id 0
		.amdhsa_next_free_vgpr 67
		.amdhsa_next_free_sgpr 17
		.amdhsa_reserve_vcc 1
		.amdhsa_float_round_mode_32 0
		.amdhsa_float_round_mode_16_64 0
		.amdhsa_float_denorm_mode_32 3
		.amdhsa_float_denorm_mode_16_64 3
		.amdhsa_dx10_clamp 1
		.amdhsa_ieee_mode 1
		.amdhsa_fp16_overflow 0
		.amdhsa_workgroup_processor_mode 1
		.amdhsa_memory_ordered 1
		.amdhsa_forward_progress 0
		.amdhsa_shared_vgpr_count 0
		.amdhsa_exception_fp_ieee_invalid_op 0
		.amdhsa_exception_fp_denorm_src 0
		.amdhsa_exception_fp_ieee_div_zero 0
		.amdhsa_exception_fp_ieee_overflow 0
		.amdhsa_exception_fp_ieee_underflow 0
		.amdhsa_exception_fp_ieee_inexact 0
		.amdhsa_exception_int_div_zero 0
	.end_amdhsa_kernel
	.section	.text._ZN9rocsparseL18bsrxmvn_4x4_kernelILj128ELj8EiliaaiEEvT3_20rocsparse_direction_NS_24const_host_device_scalarIT1_EES1_PKS1_PKT2_SA_S7_PKT4_PKT5_S5_PT6_21rocsparse_index_base_b,"axG",@progbits,_ZN9rocsparseL18bsrxmvn_4x4_kernelILj128ELj8EiliaaiEEvT3_20rocsparse_direction_NS_24const_host_device_scalarIT1_EES1_PKS1_PKT2_SA_S7_PKT4_PKT5_S5_PT6_21rocsparse_index_base_b,comdat
.Lfunc_end66:
	.size	_ZN9rocsparseL18bsrxmvn_4x4_kernelILj128ELj8EiliaaiEEvT3_20rocsparse_direction_NS_24const_host_device_scalarIT1_EES1_PKS1_PKT2_SA_S7_PKT4_PKT5_S5_PT6_21rocsparse_index_base_b, .Lfunc_end66-_ZN9rocsparseL18bsrxmvn_4x4_kernelILj128ELj8EiliaaiEEvT3_20rocsparse_direction_NS_24const_host_device_scalarIT1_EES1_PKS1_PKT2_SA_S7_PKT4_PKT5_S5_PT6_21rocsparse_index_base_b
                                        ; -- End function
	.section	.AMDGPU.csdata,"",@progbits
; Kernel info:
; codeLenInByte = 4104
; NumSgprs: 19
; NumVgprs: 67
; ScratchSize: 0
; MemoryBound: 0
; FloatMode: 240
; IeeeMode: 1
; LDSByteSize: 0 bytes/workgroup (compile time only)
; SGPRBlocks: 2
; VGPRBlocks: 8
; NumSGPRsForWavesPerEU: 19
; NumVGPRsForWavesPerEU: 67
; Occupancy: 16
; WaveLimiterHint : 1
; COMPUTE_PGM_RSRC2:SCRATCH_EN: 0
; COMPUTE_PGM_RSRC2:USER_SGPR: 15
; COMPUTE_PGM_RSRC2:TRAP_HANDLER: 0
; COMPUTE_PGM_RSRC2:TGID_X_EN: 1
; COMPUTE_PGM_RSRC2:TGID_Y_EN: 0
; COMPUTE_PGM_RSRC2:TGID_Z_EN: 0
; COMPUTE_PGM_RSRC2:TIDIG_COMP_CNT: 0
	.section	.text._ZN9rocsparseL18bsrxmvn_4x4_kernelILj128ELj16EiliaaiEEvT3_20rocsparse_direction_NS_24const_host_device_scalarIT1_EES1_PKS1_PKT2_SA_S7_PKT4_PKT5_S5_PT6_21rocsparse_index_base_b,"axG",@progbits,_ZN9rocsparseL18bsrxmvn_4x4_kernelILj128ELj16EiliaaiEEvT3_20rocsparse_direction_NS_24const_host_device_scalarIT1_EES1_PKS1_PKT2_SA_S7_PKT4_PKT5_S5_PT6_21rocsparse_index_base_b,comdat
	.globl	_ZN9rocsparseL18bsrxmvn_4x4_kernelILj128ELj16EiliaaiEEvT3_20rocsparse_direction_NS_24const_host_device_scalarIT1_EES1_PKS1_PKT2_SA_S7_PKT4_PKT5_S5_PT6_21rocsparse_index_base_b ; -- Begin function _ZN9rocsparseL18bsrxmvn_4x4_kernelILj128ELj16EiliaaiEEvT3_20rocsparse_direction_NS_24const_host_device_scalarIT1_EES1_PKS1_PKT2_SA_S7_PKT4_PKT5_S5_PT6_21rocsparse_index_base_b
	.p2align	8
	.type	_ZN9rocsparseL18bsrxmvn_4x4_kernelILj128ELj16EiliaaiEEvT3_20rocsparse_direction_NS_24const_host_device_scalarIT1_EES1_PKS1_PKT2_SA_S7_PKT4_PKT5_S5_PT6_21rocsparse_index_base_b,@function
_ZN9rocsparseL18bsrxmvn_4x4_kernelILj128ELj16EiliaaiEEvT3_20rocsparse_direction_NS_24const_host_device_scalarIT1_EES1_PKS1_PKT2_SA_S7_PKT4_PKT5_S5_PT6_21rocsparse_index_base_b: ; @_ZN9rocsparseL18bsrxmvn_4x4_kernelILj128ELj16EiliaaiEEvT3_20rocsparse_direction_NS_24const_host_device_scalarIT1_EES1_PKS1_PKT2_SA_S7_PKT4_PKT5_S5_PT6_21rocsparse_index_base_b
; %bb.0:
	s_clause 0x1
	s_load_b64 s[12:13], s[0:1], 0x58
	s_load_b64 s[4:5], s[0:1], 0x8
	s_mov_b32 s7, -1
	s_waitcnt lgkmcnt(0)
	s_bitcmp1_b32 s13, 0
                                        ; implicit-def: $sgpr13
	s_cselect_b32 s2, -1, 0
	s_delay_alu instid0(SALU_CYCLE_1) | instskip(NEXT) | instid1(SALU_CYCLE_1)
	s_xor_b32 s6, s2, -1
	s_and_b32 vcc_lo, exec_lo, s6
	s_cbranch_vccnz .LBB67_4
; %bb.1:
	s_load_b64 s[2:3], s[0:1], 0x48
	s_and_not1_b32 vcc_lo, exec_lo, s7
	s_cbranch_vccz .LBB67_5
.LBB67_2:
	s_and_b32 vcc_lo, exec_lo, s6
	s_cbranch_vccz .LBB67_6
.LBB67_3:
	s_waitcnt lgkmcnt(0)
	s_load_b32 s14, s[2:3], 0x0
	s_cbranch_execz .LBB67_7
	s_branch .LBB67_8
.LBB67_4:
	s_load_b32 s13, s[4:5], 0x0
	s_load_b64 s[2:3], s[0:1], 0x48
	s_cbranch_execnz .LBB67_2
.LBB67_5:
	s_waitcnt lgkmcnt(0)
	s_mov_b32 s13, s4
	s_and_b32 vcc_lo, exec_lo, s6
	s_cbranch_vccnz .LBB67_3
.LBB67_6:
	s_waitcnt lgkmcnt(0)
                                        ; implicit-def: $sgpr14
.LBB67_7:
	s_waitcnt lgkmcnt(0)
	s_mov_b32 s14, s2
.LBB67_8:
	s_cmp_lg_u32 s13, 0
	s_mov_b32 s6, 0
	s_cselect_b32 s2, -1, 0
	s_waitcnt lgkmcnt(0)
	s_cmp_lg_u32 s14, 1
	s_cselect_b32 s3, -1, 0
	s_delay_alu instid0(SALU_CYCLE_1) | instskip(NEXT) | instid1(SALU_CYCLE_1)
	s_or_b32 s2, s2, s3
	s_and_not1_b32 vcc_lo, exec_lo, s2
	s_cbranch_vccnz .LBB67_14
; %bb.9:
	s_clause 0x1
	s_load_b64 s[4:5], s[0:1], 0x18
	s_load_b64 s[2:3], s[0:1], 0x0
	v_lshrrev_b32_e32 v1, 4, v0
	s_delay_alu instid0(VALU_DEP_1)
	v_lshl_or_b32 v3, s15, 3, v1
	s_waitcnt lgkmcnt(0)
	s_cmp_lg_u64 s[4:5], 0
	s_cbranch_scc0 .LBB67_15
; %bb.10:
	s_load_b32 s6, s[0:1], 0x10
	s_mov_b32 s7, 0
                                        ; implicit-def: $vgpr1
	s_waitcnt lgkmcnt(0)
	v_cmp_gt_i32_e32 vcc_lo, s6, v3
	s_mov_b32 s6, 0
	s_and_saveexec_b32 s8, vcc_lo
	s_delay_alu instid0(SALU_CYCLE_1)
	s_xor_b32 s8, exec_lo, s8
	s_cbranch_execz .LBB67_12
; %bb.11:
	v_ashrrev_i32_e32 v4, 31, v3
	s_mov_b32 s6, exec_lo
	s_delay_alu instid0(VALU_DEP_1) | instskip(NEXT) | instid1(VALU_DEP_1)
	v_lshlrev_b64 v[1:2], 2, v[3:4]
	v_add_co_u32 v1, vcc_lo, s4, v1
	s_delay_alu instid0(VALU_DEP_2)
	v_add_co_ci_u32_e32 v2, vcc_lo, s5, v2, vcc_lo
	global_load_b32 v1, v[1:2], off
	s_waitcnt vmcnt(0)
	v_subrev_nc_u32_e32 v1, s12, v1
.LBB67_12:
	s_or_b32 exec_lo, exec_lo, s8
	s_delay_alu instid0(SALU_CYCLE_1)
	s_and_b32 vcc_lo, exec_lo, s7
	s_cbranch_vccz .LBB67_16
.LBB67_13:
	v_cmp_gt_i32_e32 vcc_lo, s2, v3
	s_and_not1_b32 s2, s6, exec_lo
	s_and_b32 s4, vcc_lo, exec_lo
	s_delay_alu instid0(SALU_CYCLE_1) | instskip(NEXT) | instid1(SALU_CYCLE_1)
	s_or_b32 s6, s2, s4
	s_and_saveexec_b32 s2, s6
	s_cbranch_execnz .LBB67_17
.LBB67_14:
	s_nop 0
	s_sendmsg sendmsg(MSG_DEALLOC_VGPRS)
	s_endpgm
.LBB67_15:
                                        ; implicit-def: $vgpr1
	s_cbranch_execnz .LBB67_13
.LBB67_16:
	s_delay_alu instid0(VALU_DEP_1)
	v_mov_b32_e32 v3, v1
	s_and_saveexec_b32 s2, s6
	s_cbranch_execz .LBB67_14
.LBB67_17:
	s_load_b256 s[4:11], s[0:1], 0x20
	s_delay_alu instid0(VALU_DEP_1) | instskip(SKIP_1) | instid1(VALU_DEP_2)
	v_ashrrev_i32_e32 v4, 31, v3
	v_mov_b32_e32 v19, 0
	v_lshlrev_b64 v[1:2], 3, v[3:4]
	s_waitcnt lgkmcnt(0)
	s_delay_alu instid0(VALU_DEP_1) | instskip(NEXT) | instid1(VALU_DEP_2)
	v_add_co_u32 v4, vcc_lo, s4, v1
	v_add_co_ci_u32_e32 v5, vcc_lo, s5, v2, vcc_lo
	v_add_co_u32 v1, vcc_lo, s6, v1
	v_add_co_ci_u32_e32 v2, vcc_lo, s7, v2, vcc_lo
	s_delay_alu instid0(VALU_DEP_4)
	v_add_co_u32 v8, vcc_lo, v4, 8
	global_load_b64 v[6:7], v[4:5], off
	v_add_co_ci_u32_e32 v9, vcc_lo, 0, v5, vcc_lo
	s_cmp_eq_u64 s[6:7], 0
	s_load_b64 s[6:7], s[0:1], 0x40
	s_cselect_b32 vcc_lo, -1, 0
	s_cmp_eq_u32 s3, 1
	v_dual_cndmask_b32 v2, v2, v9 :: v_dual_cndmask_b32 v1, v1, v8
	global_load_b64 v[8:9], v[1:2], off
	v_and_b32_e32 v2, 15, v0
	s_waitcnt vmcnt(1)
	v_sub_co_u32 v0, vcc_lo, v6, s12
	v_subrev_co_ci_u32_e32 v1, vcc_lo, 0, v7, vcc_lo
	s_delay_alu instid0(VALU_DEP_2) | instskip(NEXT) | instid1(VALU_DEP_2)
	v_add_co_u32 v4, vcc_lo, v0, v2
	v_add_co_ci_u32_e32 v5, vcc_lo, 0, v1, vcc_lo
	s_delay_alu instid0(VALU_DEP_1) | instskip(SKIP_3) | instid1(VALU_DEP_3)
	v_lshlrev_b64 v[0:1], 4, v[4:5]
	s_waitcnt vmcnt(0)
	v_sub_co_u32 v8, vcc_lo, v8, s12
	v_subrev_co_ci_u32_e32 v9, vcc_lo, 0, v9, vcc_lo
	v_add_co_u32 v0, vcc_lo, s10, v0
	s_delay_alu instid0(VALU_DEP_2)
	v_cmp_lt_i64_e64 s2, v[4:5], v[8:9]
	v_add_co_ci_u32_e32 v1, vcc_lo, s11, v1, vcc_lo
	s_mov_b32 s10, 0
	s_cbranch_scc1 .LBB67_29
; %bb.18:
	v_dual_mov_b32 v20, 0 :: v_dual_mov_b32 v21, 0
	v_mov_b32_e32 v18, 0
	s_and_saveexec_b32 s11, s2
	s_cbranch_execz .LBB67_28
; %bb.19:
	v_or_b32_e32 v10, 16, v2
	v_not_b32_e32 v13, v6
	v_not_b32_e32 v12, v7
	v_dual_mov_b32 v18, 0 :: v_dual_mov_b32 v21, 0
	s_delay_alu instid0(VALU_DEP_4) | instskip(NEXT) | instid1(VALU_DEP_1)
	v_sub_co_u32 v10, s3, v10, s12
	v_sub_co_ci_u32_e64 v11, null, 0, 0, s3
	v_sub_co_u32 v14, s3, s12, v2
	s_delay_alu instid0(VALU_DEP_3) | instskip(NEXT) | instid1(VALU_DEP_3)
	v_add_co_u32 v10, vcc_lo, v10, v6
	v_add_co_ci_u32_e32 v11, vcc_lo, v11, v7, vcc_lo
	v_sub_co_ci_u32_e64 v15, null, 0, 0, s3
	v_dual_mov_b32 v20, 0 :: v_dual_mov_b32 v19, 0
	s_delay_alu instid0(VALU_DEP_3) | instskip(SKIP_4) | instid1(VALU_DEP_2)
	v_cmp_gt_i64_e32 vcc_lo, v[10:11], v[8:9]
	s_mov_b32 s16, 0
	v_dual_cndmask_b32 v11, v9, v11 :: v_dual_cndmask_b32 v10, v8, v10
	v_add_co_u32 v13, vcc_lo, v14, v13
	v_add_co_ci_u32_e32 v12, vcc_lo, v15, v12, vcc_lo
	v_add_co_u32 v10, vcc_lo, v13, v10
	s_delay_alu instid0(VALU_DEP_2) | instskip(SKIP_1) | instid1(VALU_DEP_2)
	v_add_co_ci_u32_e32 v11, vcc_lo, v12, v11, vcc_lo
	v_dual_mov_b32 v13, v5 :: v_dual_mov_b32 v12, v4
	v_lshrrev_b64 v[14:15], 4, v[10:11]
	v_cmp_lt_u64_e32 vcc_lo, 47, v[10:11]
	v_dual_mov_b32 v11, v1 :: v_dual_mov_b32 v10, v0
	s_delay_alu instid0(VALU_DEP_3) | instskip(NEXT) | instid1(VALU_DEP_1)
	v_add_co_u32 v22, s3, v14, 1
	v_add_co_ci_u32_e64 v15, s3, 0, v15, s3
	s_and_saveexec_b32 s15, vcc_lo
	s_cbranch_execz .LBB67_23
; %bb.20:
	v_lshlrev_b64 v[10:11], 2, v[4:5]
	v_dual_mov_b32 v19, 0 :: v_dual_and_b32 v14, -4, v22
	v_dual_mov_b32 v20, 0 :: v_dual_mov_b32 v21, 0
	v_mov_b32_e32 v18, 0
	s_delay_alu instid0(VALU_DEP_4) | instskip(SKIP_2) | instid1(VALU_DEP_3)
	v_add_co_u32 v12, vcc_lo, v10, s8
	v_add_co_ci_u32_e32 v13, vcc_lo, s9, v11, vcc_lo
	v_dual_mov_b32 v11, v1 :: v_dual_mov_b32 v10, v0
	v_add_co_u32 v16, vcc_lo, 0x80, v12
	s_delay_alu instid0(VALU_DEP_3)
	v_add_co_ci_u32_e32 v17, vcc_lo, 0, v13, vcc_lo
	v_dual_mov_b32 v13, v5 :: v_dual_mov_b32 v12, v4
.LBB67_21:                              ; =>This Inner Loop Header: Depth=1
	s_clause 0x3
	global_load_b32 v39, v[16:17], off offset:-128
	global_load_b32 v40, v[16:17], off offset:-64
	global_load_b32 v41, v[16:17], off
	global_load_b32 v42, v[16:17], off offset:64
	s_clause 0x3
	global_load_b128 v[23:26], v[10:11], off
	global_load_b128 v[27:30], v[10:11], off offset:256
	global_load_b128 v[31:34], v[10:11], off offset:512
	;; [unrolled: 1-line block ×3, first 2 shown]
	s_waitcnt vmcnt(7)
	v_subrev_nc_u32_e32 v39, s12, v39
	s_waitcnt vmcnt(6)
	v_subrev_nc_u32_e32 v40, s12, v40
	;; [unrolled: 2-line block ×4, first 2 shown]
	v_lshlrev_b32_e32 v44, 2, v39
	v_lshlrev_b32_e32 v39, 2, v40
	;; [unrolled: 1-line block ×3, first 2 shown]
	s_delay_alu instid0(VALU_DEP_4)
	v_lshlrev_b32_e32 v42, 2, v42
	s_waitcnt vmcnt(1)
	v_ashrrev_i32_e32 v50, 24, v31
	v_ashrrev_i32_e32 v46, 31, v44
	;; [unrolled: 1-line block ×5, first 2 shown]
	s_waitcnt lgkmcnt(0)
	v_add_co_u32 v45, s5, s6, v44
	v_add_co_u32 v39, vcc_lo, s6, v39
	v_add_co_u32 v41, s3, s6, v40
	v_add_co_ci_u32_e64 v46, s5, s7, v46, s5
	v_add_co_u32 v43, s4, s6, v42
	v_add_co_ci_u32_e32 v40, vcc_lo, s7, v47, vcc_lo
	v_add_co_ci_u32_e64 v42, vcc_lo, s7, v48, s3
	v_add_co_ci_u32_e64 v44, vcc_lo, s7, v49, s4
	s_clause 0x3
	global_load_b32 v45, v[45:46], off
	global_load_b32 v39, v[39:40], off
	;; [unrolled: 1-line block ×4, first 2 shown]
	v_lshrrev_b16 v42, 8, v23
	v_ashrrev_i32_e32 v43, 24, v23
	v_lshrrev_b16 v46, 8, v27
	v_ashrrev_i32_e32 v47, 24, v27
	v_lshrrev_b16 v49, 8, v31
	v_bfe_i32 v51, v31, 16, 8
	v_bfe_i32 v31, v31, 0, 8
	;; [unrolled: 1-line block ×6, first 2 shown]
	s_waitcnt vmcnt(4)
	v_lshrrev_b16 v52, 8, v35
	v_ashrrev_i32_e32 v53, 24, v35
	v_bfe_i32 v42, v42, 0, 8
	v_bfe_i32 v46, v46, 0, 8
	;; [unrolled: 1-line block ×3, first 2 shown]
	v_add_co_u32 v10, vcc_lo, 0x400, v10
	v_bfe_i32 v54, v35, 16, 8
	v_bfe_i32 v35, v35, 0, 8
	v_bfe_i32 v52, v52, 0, 8
	v_add_co_ci_u32_e32 v11, vcc_lo, 0, v11, vcc_lo
	v_add_co_u32 v12, vcc_lo, v12, 64
	v_add_co_ci_u32_e32 v13, vcc_lo, 0, v13, vcc_lo
	v_add_co_u32 v14, vcc_lo, v14, -4
	v_add_co_ci_u32_e32 v15, vcc_lo, -1, v15, vcc_lo
	v_add_co_u32 v16, vcc_lo, 0x100, v16
	v_add_co_ci_u32_e32 v17, vcc_lo, 0, v17, vcc_lo
	s_delay_alu instid0(VALU_DEP_3)
	v_cmp_eq_u64_e32 vcc_lo, 0, v[14:15]
	s_or_b32 s16, vcc_lo, s16
	s_waitcnt vmcnt(3)
	v_lshrrev_b16 v55, 8, v45
	v_ashrrev_i32_e32 v56, 24, v45
	v_dot4_i32_iu8 v21, v45, v24, v21 neg_lo:[1,1,0]
	v_dot4_i32_iu8 v20, v45, v25, v20 neg_lo:[1,1,0]
	s_waitcnt vmcnt(2)
	v_lshrrev_b16 v24, 8, v39
	v_ashrrev_i32_e32 v25, 24, v39
	s_waitcnt vmcnt(1)
	v_lshrrev_b16 v59, 8, v40
	v_ashrrev_i32_e32 v60, 24, v40
	v_bfe_i32 v62, v40, 0, 8
	v_bfe_i32 v57, v45, 16, 8
	;; [unrolled: 1-line block ×3, first 2 shown]
	v_dot4_i32_iu8 v19, v45, v26, v19 neg_lo:[1,1,0]
	v_bfe_i32 v26, v39, 16, 8
	v_bfe_i32 v45, v39, 0, 8
	;; [unrolled: 1-line block ×3, first 2 shown]
	s_waitcnt vmcnt(0)
	v_lshrrev_b16 v63, 8, v41
	v_ashrrev_i32_e32 v64, 24, v41
	v_bfe_i32 v55, v55, 0, 8
	v_mul_i32_i24_e32 v43, v56, v43
	v_bfe_i32 v24, v24, 0, 8
	v_mul_i32_i24_e32 v25, v25, v47
	v_dot4_i32_iu8 v21, v39, v28, v21 neg_lo:[1,1,0]
	v_dot4_i32_iu8 v20, v39, v29, v20 neg_lo:[1,1,0]
	v_bfe_i32 v28, v59, 0, 8
	v_mul_i32_i24_e32 v29, v62, v31
	v_mul_i32_i24_e32 v31, v60, v50
	v_bfe_i32 v65, v41, 16, 8
	v_bfe_i32 v66, v41, 0, 8
	v_mul_i32_i24_e32 v23, v58, v23
	v_mul_i32_i24_e32 v44, v57, v44
	;; [unrolled: 1-line block ×4, first 2 shown]
	v_dot4_i32_iu8 v19, v39, v30, v19 neg_lo:[1,1,0]
	v_mul_i32_i24_e32 v30, v61, v51
	v_bfe_i32 v39, v63, 0, 8
	v_mul_i32_i24_e32 v45, v64, v53
	v_mad_i32_i24 v42, v55, v42, v43
	v_mad_i32_i24 v24, v24, v46, v25
	;; [unrolled: 1-line block ×3, first 2 shown]
	v_mul_i32_i24_e32 v35, v66, v35
	v_mul_i32_i24_e32 v28, v65, v54
	v_mad_i32_i24 v31, v39, v52, v45
	v_add3_u32 v23, v23, v44, v42
	v_add3_u32 v24, v27, v26, v24
	;; [unrolled: 1-line block ×3, first 2 shown]
	v_dot4_i32_iu8 v21, v40, v32, v21 neg_lo:[1,1,0]
	v_dot4_i32_iu8 v20, v40, v33, v20 neg_lo:[1,1,0]
	;; [unrolled: 1-line block ×3, first 2 shown]
	v_add3_u32 v26, v35, v28, v31
	v_add3_u32 v23, v23, v24, v25
	v_dot4_i32_iu8 v21, v41, v36, v21 neg_lo:[1,1,0]
	v_dot4_i32_iu8 v20, v41, v37, v20 neg_lo:[1,1,0]
	;; [unrolled: 1-line block ×3, first 2 shown]
	s_delay_alu instid0(VALU_DEP_4)
	v_add3_u32 v18, v23, v26, v18
	s_and_not1_b32 exec_lo, exec_lo, s16
	s_cbranch_execnz .LBB67_21
; %bb.22:
	s_or_b32 exec_lo, exec_lo, s16
.LBB67_23:
	s_delay_alu instid0(SALU_CYCLE_1) | instskip(SKIP_2) | instid1(VALU_DEP_1)
	s_or_b32 exec_lo, exec_lo, s15
	v_dual_mov_b32 v15, 0 :: v_dual_and_b32 v14, 3, v22
	s_mov_b32 s3, exec_lo
	v_cmpx_ne_u64_e32 0, v[14:15]
	s_cbranch_execz .LBB67_27
; %bb.24:
	v_lshlrev_b64 v[12:13], 2, v[12:13]
	v_lshlrev_b32_e32 v14, 2, v14
	s_mov_b32 s4, 0
	s_delay_alu instid0(VALU_DEP_2) | instskip(NEXT) | instid1(VALU_DEP_3)
	v_add_co_u32 v12, vcc_lo, s8, v12
	v_add_co_ci_u32_e32 v13, vcc_lo, s9, v13, vcc_lo
.LBB67_25:                              ; =>This Inner Loop Header: Depth=1
	global_load_b32 v16, v[12:13], off
	s_waitcnt vmcnt(0)
	v_subrev_nc_u32_e32 v16, s12, v16
	s_delay_alu instid0(VALU_DEP_1) | instskip(NEXT) | instid1(VALU_DEP_1)
	v_lshlrev_b32_e32 v16, 2, v16
	v_ashrrev_i32_e32 v17, 31, v16
	s_waitcnt lgkmcnt(0)
	v_add_co_u32 v16, vcc_lo, s6, v16
	s_delay_alu instid0(VALU_DEP_2)
	v_add_co_ci_u32_e32 v17, vcc_lo, s7, v17, vcc_lo
	global_load_b128 v[22:25], v[10:11], off
	global_load_b32 v16, v[16:17], off
	v_add_co_u32 v10, vcc_lo, 0x100, v10
	v_add_co_ci_u32_e32 v11, vcc_lo, 0, v11, vcc_lo
	v_add_co_u32 v14, vcc_lo, v14, -4
	v_add_co_ci_u32_e32 v15, vcc_lo, -1, v15, vcc_lo
	v_add_co_u32 v12, vcc_lo, v12, 64
	v_add_co_ci_u32_e32 v13, vcc_lo, 0, v13, vcc_lo
	s_delay_alu instid0(VALU_DEP_3)
	v_cmp_eq_u64_e32 vcc_lo, 0, v[14:15]
	s_or_b32 s4, vcc_lo, s4
	s_waitcnt vmcnt(1)
	v_lshrrev_b16 v17, 8, v22
	v_ashrrev_i32_e32 v26, 24, v22
	v_bfe_i32 v27, v22, 0, 8
	v_bfe_i32 v22, v22, 16, 8
	s_waitcnt vmcnt(0)
	v_lshrrev_b16 v28, 8, v16
	v_bfe_i32 v29, v16, 16, 8
	v_ashrrev_i32_e32 v30, 24, v16
	v_bfe_i32 v17, v17, 0, 8
	v_bfe_i32 v31, v16, 0, 8
	;; [unrolled: 1-line block ×3, first 2 shown]
	v_mul_i32_i24_e32 v22, v29, v22
	v_mul_i32_i24_e32 v26, v30, v26
	v_dot4_i32_iu8 v21, v16, v23, v21 neg_lo:[1,1,0]
	v_dot4_i32_iu8 v20, v16, v24, v20 neg_lo:[1,1,0]
	;; [unrolled: 1-line block ×3, first 2 shown]
	v_mad_i32_i24 v22, v31, v27, v22
	v_mad_i32_i24 v17, v28, v17, v26
	s_delay_alu instid0(VALU_DEP_1)
	v_add3_u32 v18, v22, v17, v18
	s_and_not1_b32 exec_lo, exec_lo, s4
	s_cbranch_execnz .LBB67_25
; %bb.26:
	s_or_b32 exec_lo, exec_lo, s4
.LBB67_27:
	s_delay_alu instid0(SALU_CYCLE_1)
	s_or_b32 exec_lo, exec_lo, s3
.LBB67_28:
	s_delay_alu instid0(SALU_CYCLE_1) | instskip(NEXT) | instid1(SALU_CYCLE_1)
	s_or_b32 exec_lo, exec_lo, s11
	s_and_not1_b32 vcc_lo, exec_lo, s10
	s_cbranch_vccz .LBB67_30
	s_branch .LBB67_41
.LBB67_29:
                                        ; implicit-def: $vgpr19
                                        ; implicit-def: $vgpr20
                                        ; implicit-def: $vgpr21
                                        ; implicit-def: $vgpr18
.LBB67_30:
	v_dual_mov_b32 v19, 0 :: v_dual_mov_b32 v20, 0
	v_dual_mov_b32 v21, 0 :: v_dual_mov_b32 v18, 0
	s_and_saveexec_b32 s5, s2
	s_cbranch_execz .LBB67_40
; %bb.31:
	v_or_b32_e32 v10, 16, v2
	v_dual_mov_b32 v18, 0 :: v_dual_mov_b32 v21, 0
	v_dual_mov_b32 v20, 0 :: v_dual_mov_b32 v19, 0
	s_delay_alu instid0(VALU_DEP_3) | instskip(NEXT) | instid1(VALU_DEP_1)
	v_sub_co_u32 v10, s2, v10, s12
	v_sub_co_ci_u32_e64 v11, null, 0, 0, s2
	v_sub_co_u32 v12, s2, s12, v2
	s_delay_alu instid0(VALU_DEP_3) | instskip(NEXT) | instid1(VALU_DEP_3)
	v_add_co_u32 v10, vcc_lo, v10, v6
	v_add_co_ci_u32_e32 v11, vcc_lo, v11, v7, vcc_lo
	v_not_b32_e32 v6, v6
	v_not_b32_e32 v7, v7
	v_sub_co_ci_u32_e64 v13, null, 0, 0, s2
	s_delay_alu instid0(VALU_DEP_4) | instskip(SKIP_4) | instid1(VALU_DEP_2)
	v_cmp_gt_i64_e32 vcc_lo, v[10:11], v[8:9]
	s_mov_b32 s11, 0
	v_dual_cndmask_b32 v9, v9, v11 :: v_dual_cndmask_b32 v8, v8, v10
	v_add_co_u32 v6, vcc_lo, v12, v6
	v_add_co_ci_u32_e32 v7, vcc_lo, v13, v7, vcc_lo
	v_add_co_u32 v6, vcc_lo, v6, v8
	s_delay_alu instid0(VALU_DEP_2) | instskip(NEXT) | instid1(VALU_DEP_1)
	v_add_co_ci_u32_e32 v7, vcc_lo, v7, v9, vcc_lo
	v_lshrrev_b64 v[8:9], 4, v[6:7]
	v_cmp_lt_u64_e32 vcc_lo, 47, v[6:7]
	s_delay_alu instid0(VALU_DEP_2) | instskip(NEXT) | instid1(VALU_DEP_1)
	v_add_co_u32 v10, s2, v8, 1
	v_add_co_ci_u32_e64 v7, s2, 0, v9, s2
	s_and_saveexec_b32 s10, vcc_lo
	s_cbranch_execz .LBB67_35
; %bb.32:
	v_lshlrev_b64 v[8:9], 2, v[4:5]
	v_dual_mov_b32 v19, 0 :: v_dual_and_b32 v6, -4, v10
	v_dual_mov_b32 v20, 0 :: v_dual_mov_b32 v21, 0
	v_mov_b32_e32 v18, 0
	s_delay_alu instid0(VALU_DEP_4) | instskip(SKIP_1) | instid1(VALU_DEP_2)
	v_add_co_u32 v8, vcc_lo, v8, s8
	v_add_co_ci_u32_e32 v9, vcc_lo, s9, v9, vcc_lo
	v_add_co_u32 v8, vcc_lo, 0x80, v8
	s_delay_alu instid0(VALU_DEP_2)
	v_add_co_ci_u32_e32 v9, vcc_lo, 0, v9, vcc_lo
.LBB67_33:                              ; =>This Inner Loop Header: Depth=1
	s_clause 0x3
	global_load_b32 v15, v[8:9], off offset:-128
	global_load_b32 v16, v[8:9], off offset:-64
	global_load_b32 v17, v[8:9], off
	global_load_b32 v34, v[8:9], off offset:64
	s_clause 0x3
	global_load_b128 v[11:14], v[0:1], off
	global_load_b128 v[22:25], v[0:1], off offset:256
	global_load_b128 v[26:29], v[0:1], off offset:512
	;; [unrolled: 1-line block ×3, first 2 shown]
	s_waitcnt vmcnt(7)
	v_subrev_nc_u32_e32 v15, s12, v15
	s_waitcnt vmcnt(6)
	v_subrev_nc_u32_e32 v16, s12, v16
	;; [unrolled: 2-line block ×4, first 2 shown]
	v_lshlrev_b32_e32 v35, 2, v15
	v_lshlrev_b32_e32 v15, 2, v16
	;; [unrolled: 1-line block ×3, first 2 shown]
	s_delay_alu instid0(VALU_DEP_4)
	v_lshlrev_b32_e32 v17, 2, v34
	s_waitcnt vmcnt(2)
	v_perm_b32 v42, v25, v24, 0x5010c0c
	v_ashrrev_i32_e32 v38, 31, v35
	s_waitcnt lgkmcnt(0)
	v_add_co_u32 v37, s4, s6, v35
	v_ashrrev_i32_e32 v39, 31, v15
	v_add_co_u32 v15, vcc_lo, s6, v15
	v_add_co_ci_u32_e64 v38, s4, s7, v38, s4
	v_ashrrev_i32_e32 v40, 31, v16
	v_add_co_u32 v34, s2, s6, v16
	v_ashrrev_i32_e32 v41, 31, v17
	v_add_co_u32 v36, s3, s6, v17
	v_add_co_ci_u32_e32 v16, vcc_lo, s7, v39, vcc_lo
	global_load_b32 v17, v[37:38], off
	v_add_co_ci_u32_e64 v35, vcc_lo, s7, v40, s2
	global_load_b32 v15, v[15:16], off
	v_add_co_ci_u32_e64 v37, vcc_lo, s7, v41, s3
	s_clause 0x1
	global_load_b32 v16, v[34:35], off
	global_load_b32 v34, v[36:37], off
	v_perm_b32 v35, v12, v11, 0xc0c0400
	v_perm_b32 v36, v14, v13, 0x4000c0c
	;; [unrolled: 1-line block ×15, first 2 shown]
	s_waitcnt vmcnt(5)
	v_perm_b32 v24, v27, v26, 0xc0c0400
	v_perm_b32 v25, v29, v28, 0x4000c0c
	;; [unrolled: 1-line block ×8, first 2 shown]
	s_waitcnt vmcnt(4)
	v_perm_b32 v28, v31, v30, 0xc0c0400
	v_perm_b32 v29, v33, v32, 0x4000c0c
	;; [unrolled: 1-line block ×8, first 2 shown]
	v_or_b32_e32 v32, v36, v35
	v_or_b32_e32 v33, v38, v37
	;; [unrolled: 1-line block ×4, first 2 shown]
	v_add_co_u32 v0, vcc_lo, 0x400, v0
	v_or_b32_e32 v12, v14, v13
	v_or_b32_e32 v13, v42, v41
	;; [unrolled: 1-line block ×4, first 2 shown]
	v_add_co_ci_u32_e32 v1, vcc_lo, 0, v1, vcc_lo
	v_add_co_u32 v4, vcc_lo, v4, 64
	v_add_co_ci_u32_e32 v5, vcc_lo, 0, v5, vcc_lo
	v_add_co_u32 v6, vcc_lo, v6, -4
	v_or_b32_e32 v23, v25, v24
	v_or_b32_e32 v24, v46, v45
	;; [unrolled: 1-line block ×4, first 2 shown]
	v_add_co_ci_u32_e32 v7, vcc_lo, -1, v7, vcc_lo
	v_add_co_u32 v8, vcc_lo, 0x100, v8
	v_or_b32_e32 v27, v29, v28
	v_or_b32_e32 v28, v50, v49
	v_add_co_ci_u32_e32 v9, vcc_lo, 0, v9, vcc_lo
	v_cmp_eq_u64_e32 vcc_lo, 0, v[6:7]
	s_or_b32 s11, vcc_lo, s11
	s_waitcnt vmcnt(3)
	v_dot4_i32_iu8 v18, v17, v32, v18 neg_lo:[1,1,0]
	v_dot4_i32_iu8 v21, v33, v17, v21 neg_lo:[1,1,0]
	v_dot4_i32_iu8 v20, v35, v17, v20 neg_lo:[1,1,0]
	v_dot4_i32_iu8 v11, v11, v17, v19 neg_lo:[1,1,0]
	v_or_b32_e32 v17, v52, v51
	s_waitcnt vmcnt(2)
	v_dot4_i32_iu8 v12, v15, v12, v18 neg_lo:[1,1,0]
	v_dot4_i32_iu8 v13, v13, v15, v21 neg_lo:[1,1,0]
	v_dot4_i32_iu8 v14, v14, v15, v20 neg_lo:[1,1,0]
	v_dot4_i32_iu8 v11, v22, v15, v11 neg_lo:[1,1,0]
	v_or_b32_e32 v15, v31, v30
	s_waitcnt vmcnt(1)
	v_dot4_i32_iu8 v12, v16, v23, v12 neg_lo:[1,1,0]
	v_dot4_i32_iu8 v13, v24, v16, v13 neg_lo:[1,1,0]
	;; [unrolled: 1-line block ×4, first 2 shown]
	s_waitcnt vmcnt(0)
	v_dot4_i32_iu8 v18, v34, v27, v12 neg_lo:[1,1,0]
	v_dot4_i32_iu8 v21, v28, v34, v13 neg_lo:[1,1,0]
	;; [unrolled: 1-line block ×4, first 2 shown]
	s_and_not1_b32 exec_lo, exec_lo, s11
	s_cbranch_execnz .LBB67_33
; %bb.34:
	s_or_b32 exec_lo, exec_lo, s11
.LBB67_35:
	s_delay_alu instid0(SALU_CYCLE_1) | instskip(SKIP_2) | instid1(VALU_DEP_1)
	s_or_b32 exec_lo, exec_lo, s10
	v_dual_mov_b32 v7, 0 :: v_dual_and_b32 v6, 3, v10
	s_mov_b32 s2, exec_lo
	v_cmpx_ne_u64_e32 0, v[6:7]
	s_cbranch_execz .LBB67_39
; %bb.36:
	v_lshlrev_b64 v[4:5], 2, v[4:5]
	v_lshlrev_b32_e32 v6, 2, v6
	s_mov_b32 s3, 0
	s_delay_alu instid0(VALU_DEP_2) | instskip(NEXT) | instid1(VALU_DEP_3)
	v_add_co_u32 v4, vcc_lo, s8, v4
	v_add_co_ci_u32_e32 v5, vcc_lo, s9, v5, vcc_lo
.LBB67_37:                              ; =>This Inner Loop Header: Depth=1
	global_load_b32 v8, v[4:5], off
	s_waitcnt vmcnt(0)
	v_subrev_nc_u32_e32 v8, s12, v8
	s_delay_alu instid0(VALU_DEP_1) | instskip(SKIP_4) | instid1(VALU_DEP_2)
	v_lshlrev_b32_e32 v12, 2, v8
	global_load_b128 v[8:11], v[0:1], off
	v_ashrrev_i32_e32 v13, 31, v12
	s_waitcnt lgkmcnt(0)
	v_add_co_u32 v12, vcc_lo, s6, v12
	v_add_co_ci_u32_e32 v13, vcc_lo, s7, v13, vcc_lo
	v_add_co_u32 v0, vcc_lo, 0x100, v0
	v_add_co_ci_u32_e32 v1, vcc_lo, 0, v1, vcc_lo
	global_load_b32 v12, v[12:13], off
	v_add_co_u32 v4, vcc_lo, v4, 64
	v_add_co_ci_u32_e32 v5, vcc_lo, 0, v5, vcc_lo
	v_add_co_u32 v6, vcc_lo, v6, -4
	v_add_co_ci_u32_e32 v7, vcc_lo, -1, v7, vcc_lo
	s_delay_alu instid0(VALU_DEP_1)
	v_cmp_eq_u64_e32 vcc_lo, 0, v[6:7]
	s_or_b32 s3, vcc_lo, s3
	s_waitcnt vmcnt(1)
	v_perm_b32 v13, v9, v8, 0xc0c0400
	v_perm_b32 v14, v11, v10, 0x4000c0c
	;; [unrolled: 1-line block ×8, first 2 shown]
	v_or_b32_e32 v10, v14, v13
	v_or_b32_e32 v11, v16, v15
	;; [unrolled: 1-line block ×3, first 2 shown]
	s_delay_alu instid0(VALU_DEP_4)
	v_or_b32_e32 v8, v9, v8
	s_waitcnt vmcnt(0)
	v_dot4_i32_iu8 v18, v12, v10, v18 neg_lo:[1,1,0]
	v_dot4_i32_iu8 v21, v11, v12, v21 neg_lo:[1,1,0]
	;; [unrolled: 1-line block ×4, first 2 shown]
	s_and_not1_b32 exec_lo, exec_lo, s3
	s_cbranch_execnz .LBB67_37
; %bb.38:
	s_or_b32 exec_lo, exec_lo, s3
.LBB67_39:
	s_delay_alu instid0(SALU_CYCLE_1)
	s_or_b32 exec_lo, exec_lo, s2
.LBB67_40:
	s_delay_alu instid0(SALU_CYCLE_1)
	s_or_b32 exec_lo, exec_lo, s5
.LBB67_41:
	v_mbcnt_lo_u32_b32 v0, -1, 0
	s_mov_b32 s2, -1
	s_delay_alu instid0(VALU_DEP_1) | instskip(SKIP_2) | instid1(VALU_DEP_3)
	v_xor_b32_e32 v1, 8, v0
	v_xor_b32_e32 v7, 4, v0
	;; [unrolled: 1-line block ×3, first 2 shown]
	v_cmp_gt_i32_e32 vcc_lo, 32, v1
	v_cndmask_b32_e32 v1, v0, v1, vcc_lo
	s_delay_alu instid0(VALU_DEP_4) | instskip(NEXT) | instid1(VALU_DEP_2)
	v_cmp_gt_i32_e32 vcc_lo, 32, v7
	v_lshlrev_b32_e32 v1, 2, v1
	ds_bpermute_b32 v6, v1, v20
	ds_bpermute_b32 v4, v1, v18
	;; [unrolled: 1-line block ×4, first 2 shown]
	s_waitcnt lgkmcnt(0)
	v_dual_cndmask_b32 v7, v0, v7 :: v_dual_add_nc_u32 v6, v6, v20
	v_add_nc_u32_e32 v4, v4, v18
	v_add_nc_u32_e32 v5, v5, v21
	;; [unrolled: 1-line block ×3, first 2 shown]
	v_cmp_gt_i32_e32 vcc_lo, 32, v11
	v_lshlrev_b32_e32 v7, 2, v7
	ds_bpermute_b32 v8, v7, v4
	ds_bpermute_b32 v9, v7, v5
	;; [unrolled: 1-line block ×4, first 2 shown]
	s_waitcnt lgkmcnt(3)
	v_add_nc_u32_e32 v4, v8, v4
	v_cndmask_b32_e32 v11, v0, v11, vcc_lo
	s_waitcnt lgkmcnt(2)
	v_add_nc_u32_e32 v5, v9, v5
	s_waitcnt lgkmcnt(1)
	v_add_nc_u32_e32 v6, v10, v6
	;; [unrolled: 2-line block ×3, first 2 shown]
	v_lshlrev_b32_e32 v11, 2, v11
	ds_bpermute_b32 v1, v11, v4
	ds_bpermute_b32 v8, v11, v5
	;; [unrolled: 1-line block ×4, first 2 shown]
	v_xor_b32_e32 v11, 1, v0
	s_delay_alu instid0(VALU_DEP_1) | instskip(SKIP_2) | instid1(VALU_DEP_2)
	v_cmp_gt_i32_e32 vcc_lo, 32, v11
	v_cndmask_b32_e32 v0, v0, v11, vcc_lo
	v_cmp_eq_u32_e32 vcc_lo, 15, v2
	v_lshlrev_b32_e32 v11, 2, v0
	s_waitcnt lgkmcnt(3)
	v_add_nc_u32_e32 v0, v1, v4
	s_waitcnt lgkmcnt(2)
	v_add_nc_u32_e32 v1, v8, v5
	;; [unrolled: 2-line block ×4, first 2 shown]
	ds_bpermute_b32 v6, v11, v0
	ds_bpermute_b32 v7, v11, v1
	;; [unrolled: 1-line block ×4, first 2 shown]
	s_and_b32 exec_lo, exec_lo, vcc_lo
	s_cbranch_execz .LBB67_14
; %bb.42:
	s_load_b64 s[0:1], s[0:1], 0x50
	s_waitcnt lgkmcnt(0)
	v_add_nc_u32_e32 v0, v6, v0
	v_add_nc_u32_e32 v1, v7, v1
	;; [unrolled: 1-line block ×4, first 2 shown]
	v_lshlrev_b32_e32 v5, 2, v3
	v_mul_lo_u32 v0, v0, s13
	v_mul_lo_u32 v1, v1, s13
	;; [unrolled: 1-line block ×4, first 2 shown]
	s_cmp_eq_u32 s14, 0
	s_cbranch_scc1 .LBB67_44
; %bb.43:
	v_ashrrev_i32_e32 v6, 31, v5
	s_mov_b32 s2, 0
	s_delay_alu instid0(VALU_DEP_1) | instskip(NEXT) | instid1(VALU_DEP_1)
	v_lshlrev_b64 v[6:7], 2, v[5:6]
	v_add_co_u32 v13, vcc_lo, s0, v6
	s_delay_alu instid0(VALU_DEP_2)
	v_add_co_ci_u32_e32 v14, vcc_lo, s1, v7, vcc_lo
	global_load_b128 v[6:9], v[13:14], off
	s_waitcnt vmcnt(0)
	v_mad_u64_u32 v[15:16], null, v9, s14, v[4:5]
	v_mad_u64_u32 v[9:10], null, v6, s14, v[0:1]
	;; [unrolled: 1-line block ×4, first 2 shown]
	s_delay_alu instid0(VALU_DEP_4)
	v_mov_b32_e32 v12, v15
	global_store_b128 v[13:14], v[9:12], off
.LBB67_44:
	s_and_not1_b32 vcc_lo, exec_lo, s2
	s_cbranch_vccnz .LBB67_14
; %bb.45:
	v_ashrrev_i32_e32 v6, 31, v5
	s_delay_alu instid0(VALU_DEP_2) | instskip(NEXT) | instid1(VALU_DEP_2)
	v_mov_b32_e32 v3, v4
	v_lshlrev_b64 v[5:6], 2, v[5:6]
	s_delay_alu instid0(VALU_DEP_1) | instskip(NEXT) | instid1(VALU_DEP_2)
	v_add_co_u32 v5, vcc_lo, s0, v5
	v_add_co_ci_u32_e32 v6, vcc_lo, s1, v6, vcc_lo
	global_store_b128 v[5:6], v[0:3], off
	s_nop 0
	s_sendmsg sendmsg(MSG_DEALLOC_VGPRS)
	s_endpgm
	.section	.rodata,"a",@progbits
	.p2align	6, 0x0
	.amdhsa_kernel _ZN9rocsparseL18bsrxmvn_4x4_kernelILj128ELj16EiliaaiEEvT3_20rocsparse_direction_NS_24const_host_device_scalarIT1_EES1_PKS1_PKT2_SA_S7_PKT4_PKT5_S5_PT6_21rocsparse_index_base_b
		.amdhsa_group_segment_fixed_size 0
		.amdhsa_private_segment_fixed_size 0
		.amdhsa_kernarg_size 96
		.amdhsa_user_sgpr_count 15
		.amdhsa_user_sgpr_dispatch_ptr 0
		.amdhsa_user_sgpr_queue_ptr 0
		.amdhsa_user_sgpr_kernarg_segment_ptr 1
		.amdhsa_user_sgpr_dispatch_id 0
		.amdhsa_user_sgpr_private_segment_size 0
		.amdhsa_wavefront_size32 1
		.amdhsa_uses_dynamic_stack 0
		.amdhsa_enable_private_segment 0
		.amdhsa_system_sgpr_workgroup_id_x 1
		.amdhsa_system_sgpr_workgroup_id_y 0
		.amdhsa_system_sgpr_workgroup_id_z 0
		.amdhsa_system_sgpr_workgroup_info 0
		.amdhsa_system_vgpr_workitem_id 0
		.amdhsa_next_free_vgpr 67
		.amdhsa_next_free_sgpr 17
		.amdhsa_reserve_vcc 1
		.amdhsa_float_round_mode_32 0
		.amdhsa_float_round_mode_16_64 0
		.amdhsa_float_denorm_mode_32 3
		.amdhsa_float_denorm_mode_16_64 3
		.amdhsa_dx10_clamp 1
		.amdhsa_ieee_mode 1
		.amdhsa_fp16_overflow 0
		.amdhsa_workgroup_processor_mode 1
		.amdhsa_memory_ordered 1
		.amdhsa_forward_progress 0
		.amdhsa_shared_vgpr_count 0
		.amdhsa_exception_fp_ieee_invalid_op 0
		.amdhsa_exception_fp_denorm_src 0
		.amdhsa_exception_fp_ieee_div_zero 0
		.amdhsa_exception_fp_ieee_overflow 0
		.amdhsa_exception_fp_ieee_underflow 0
		.amdhsa_exception_fp_ieee_inexact 0
		.amdhsa_exception_int_div_zero 0
	.end_amdhsa_kernel
	.section	.text._ZN9rocsparseL18bsrxmvn_4x4_kernelILj128ELj16EiliaaiEEvT3_20rocsparse_direction_NS_24const_host_device_scalarIT1_EES1_PKS1_PKT2_SA_S7_PKT4_PKT5_S5_PT6_21rocsparse_index_base_b,"axG",@progbits,_ZN9rocsparseL18bsrxmvn_4x4_kernelILj128ELj16EiliaaiEEvT3_20rocsparse_direction_NS_24const_host_device_scalarIT1_EES1_PKS1_PKT2_SA_S7_PKT4_PKT5_S5_PT6_21rocsparse_index_base_b,comdat
.Lfunc_end67:
	.size	_ZN9rocsparseL18bsrxmvn_4x4_kernelILj128ELj16EiliaaiEEvT3_20rocsparse_direction_NS_24const_host_device_scalarIT1_EES1_PKS1_PKT2_SA_S7_PKT4_PKT5_S5_PT6_21rocsparse_index_base_b, .Lfunc_end67-_ZN9rocsparseL18bsrxmvn_4x4_kernelILj128ELj16EiliaaiEEvT3_20rocsparse_direction_NS_24const_host_device_scalarIT1_EES1_PKS1_PKT2_SA_S7_PKT4_PKT5_S5_PT6_21rocsparse_index_base_b
                                        ; -- End function
	.section	.AMDGPU.csdata,"",@progbits
; Kernel info:
; codeLenInByte = 4192
; NumSgprs: 19
; NumVgprs: 67
; ScratchSize: 0
; MemoryBound: 0
; FloatMode: 240
; IeeeMode: 1
; LDSByteSize: 0 bytes/workgroup (compile time only)
; SGPRBlocks: 2
; VGPRBlocks: 8
; NumSGPRsForWavesPerEU: 19
; NumVGPRsForWavesPerEU: 67
; Occupancy: 16
; WaveLimiterHint : 1
; COMPUTE_PGM_RSRC2:SCRATCH_EN: 0
; COMPUTE_PGM_RSRC2:USER_SGPR: 15
; COMPUTE_PGM_RSRC2:TRAP_HANDLER: 0
; COMPUTE_PGM_RSRC2:TGID_X_EN: 1
; COMPUTE_PGM_RSRC2:TGID_Y_EN: 0
; COMPUTE_PGM_RSRC2:TGID_Z_EN: 0
; COMPUTE_PGM_RSRC2:TIDIG_COMP_CNT: 0
	.section	.text._ZN9rocsparseL18bsrxmvn_4x4_kernelILj128ELj32EiliaaiEEvT3_20rocsparse_direction_NS_24const_host_device_scalarIT1_EES1_PKS1_PKT2_SA_S7_PKT4_PKT5_S5_PT6_21rocsparse_index_base_b,"axG",@progbits,_ZN9rocsparseL18bsrxmvn_4x4_kernelILj128ELj32EiliaaiEEvT3_20rocsparse_direction_NS_24const_host_device_scalarIT1_EES1_PKS1_PKT2_SA_S7_PKT4_PKT5_S5_PT6_21rocsparse_index_base_b,comdat
	.globl	_ZN9rocsparseL18bsrxmvn_4x4_kernelILj128ELj32EiliaaiEEvT3_20rocsparse_direction_NS_24const_host_device_scalarIT1_EES1_PKS1_PKT2_SA_S7_PKT4_PKT5_S5_PT6_21rocsparse_index_base_b ; -- Begin function _ZN9rocsparseL18bsrxmvn_4x4_kernelILj128ELj32EiliaaiEEvT3_20rocsparse_direction_NS_24const_host_device_scalarIT1_EES1_PKS1_PKT2_SA_S7_PKT4_PKT5_S5_PT6_21rocsparse_index_base_b
	.p2align	8
	.type	_ZN9rocsparseL18bsrxmvn_4x4_kernelILj128ELj32EiliaaiEEvT3_20rocsparse_direction_NS_24const_host_device_scalarIT1_EES1_PKS1_PKT2_SA_S7_PKT4_PKT5_S5_PT6_21rocsparse_index_base_b,@function
_ZN9rocsparseL18bsrxmvn_4x4_kernelILj128ELj32EiliaaiEEvT3_20rocsparse_direction_NS_24const_host_device_scalarIT1_EES1_PKS1_PKT2_SA_S7_PKT4_PKT5_S5_PT6_21rocsparse_index_base_b: ; @_ZN9rocsparseL18bsrxmvn_4x4_kernelILj128ELj32EiliaaiEEvT3_20rocsparse_direction_NS_24const_host_device_scalarIT1_EES1_PKS1_PKT2_SA_S7_PKT4_PKT5_S5_PT6_21rocsparse_index_base_b
; %bb.0:
	s_clause 0x1
	s_load_b64 s[12:13], s[0:1], 0x58
	s_load_b64 s[4:5], s[0:1], 0x8
	s_mov_b32 s7, -1
	s_waitcnt lgkmcnt(0)
	s_bitcmp1_b32 s13, 0
                                        ; implicit-def: $sgpr13
	s_cselect_b32 s2, -1, 0
	s_delay_alu instid0(SALU_CYCLE_1) | instskip(NEXT) | instid1(SALU_CYCLE_1)
	s_xor_b32 s6, s2, -1
	s_and_b32 vcc_lo, exec_lo, s6
	s_cbranch_vccnz .LBB68_4
; %bb.1:
	s_load_b64 s[2:3], s[0:1], 0x48
	s_and_not1_b32 vcc_lo, exec_lo, s7
	s_cbranch_vccz .LBB68_5
.LBB68_2:
	s_and_b32 vcc_lo, exec_lo, s6
	s_cbranch_vccz .LBB68_6
.LBB68_3:
	s_waitcnt lgkmcnt(0)
	s_load_b32 s14, s[2:3], 0x0
	s_cbranch_execz .LBB68_7
	s_branch .LBB68_8
.LBB68_4:
	s_load_b32 s13, s[4:5], 0x0
	s_load_b64 s[2:3], s[0:1], 0x48
	s_cbranch_execnz .LBB68_2
.LBB68_5:
	s_waitcnt lgkmcnt(0)
	s_mov_b32 s13, s4
	s_and_b32 vcc_lo, exec_lo, s6
	s_cbranch_vccnz .LBB68_3
.LBB68_6:
	s_waitcnt lgkmcnt(0)
                                        ; implicit-def: $sgpr14
.LBB68_7:
	s_waitcnt lgkmcnt(0)
	s_mov_b32 s14, s2
.LBB68_8:
	s_cmp_lg_u32 s13, 0
	s_mov_b32 s6, 0
	s_cselect_b32 s2, -1, 0
	s_waitcnt lgkmcnt(0)
	s_cmp_lg_u32 s14, 1
	s_cselect_b32 s3, -1, 0
	s_delay_alu instid0(SALU_CYCLE_1) | instskip(NEXT) | instid1(SALU_CYCLE_1)
	s_or_b32 s2, s2, s3
	s_and_not1_b32 vcc_lo, exec_lo, s2
	s_cbranch_vccnz .LBB68_14
; %bb.9:
	s_clause 0x1
	s_load_b64 s[4:5], s[0:1], 0x18
	s_load_b64 s[2:3], s[0:1], 0x0
	v_lshrrev_b32_e32 v1, 5, v0
	s_delay_alu instid0(VALU_DEP_1)
	v_lshl_or_b32 v3, s15, 2, v1
	s_waitcnt lgkmcnt(0)
	s_cmp_lg_u64 s[4:5], 0
	s_cbranch_scc0 .LBB68_15
; %bb.10:
	s_load_b32 s6, s[0:1], 0x10
	s_mov_b32 s7, 0
                                        ; implicit-def: $vgpr1
	s_waitcnt lgkmcnt(0)
	v_cmp_gt_i32_e32 vcc_lo, s6, v3
	s_mov_b32 s6, 0
	s_and_saveexec_b32 s8, vcc_lo
	s_delay_alu instid0(SALU_CYCLE_1)
	s_xor_b32 s8, exec_lo, s8
	s_cbranch_execz .LBB68_12
; %bb.11:
	v_ashrrev_i32_e32 v4, 31, v3
	s_mov_b32 s6, exec_lo
	s_delay_alu instid0(VALU_DEP_1) | instskip(NEXT) | instid1(VALU_DEP_1)
	v_lshlrev_b64 v[1:2], 2, v[3:4]
	v_add_co_u32 v1, vcc_lo, s4, v1
	s_delay_alu instid0(VALU_DEP_2)
	v_add_co_ci_u32_e32 v2, vcc_lo, s5, v2, vcc_lo
	global_load_b32 v1, v[1:2], off
	s_waitcnt vmcnt(0)
	v_subrev_nc_u32_e32 v1, s12, v1
.LBB68_12:
	s_or_b32 exec_lo, exec_lo, s8
	s_delay_alu instid0(SALU_CYCLE_1)
	s_and_b32 vcc_lo, exec_lo, s7
	s_cbranch_vccz .LBB68_16
.LBB68_13:
	v_cmp_gt_i32_e32 vcc_lo, s2, v3
	s_and_not1_b32 s2, s6, exec_lo
	s_and_b32 s4, vcc_lo, exec_lo
	s_delay_alu instid0(SALU_CYCLE_1) | instskip(NEXT) | instid1(SALU_CYCLE_1)
	s_or_b32 s6, s2, s4
	s_and_saveexec_b32 s2, s6
	s_cbranch_execnz .LBB68_17
.LBB68_14:
	s_nop 0
	s_sendmsg sendmsg(MSG_DEALLOC_VGPRS)
	s_endpgm
.LBB68_15:
                                        ; implicit-def: $vgpr1
	s_cbranch_execnz .LBB68_13
.LBB68_16:
	s_delay_alu instid0(VALU_DEP_1)
	v_mov_b32_e32 v3, v1
	s_and_saveexec_b32 s2, s6
	s_cbranch_execz .LBB68_14
.LBB68_17:
	s_load_b256 s[4:11], s[0:1], 0x20
	s_delay_alu instid0(VALU_DEP_1) | instskip(SKIP_1) | instid1(VALU_DEP_2)
	v_ashrrev_i32_e32 v4, 31, v3
	v_mov_b32_e32 v19, 0
	v_lshlrev_b64 v[1:2], 3, v[3:4]
	s_waitcnt lgkmcnt(0)
	s_delay_alu instid0(VALU_DEP_1) | instskip(NEXT) | instid1(VALU_DEP_2)
	v_add_co_u32 v4, vcc_lo, s4, v1
	v_add_co_ci_u32_e32 v5, vcc_lo, s5, v2, vcc_lo
	v_add_co_u32 v1, vcc_lo, s6, v1
	v_add_co_ci_u32_e32 v2, vcc_lo, s7, v2, vcc_lo
	s_delay_alu instid0(VALU_DEP_4)
	v_add_co_u32 v8, vcc_lo, v4, 8
	global_load_b64 v[6:7], v[4:5], off
	v_add_co_ci_u32_e32 v9, vcc_lo, 0, v5, vcc_lo
	s_cmp_eq_u64 s[6:7], 0
	s_load_b64 s[6:7], s[0:1], 0x40
	s_cselect_b32 vcc_lo, -1, 0
	s_cmp_eq_u32 s3, 1
	v_dual_cndmask_b32 v2, v2, v9 :: v_dual_cndmask_b32 v1, v1, v8
	global_load_b64 v[8:9], v[1:2], off
	v_and_b32_e32 v2, 31, v0
	s_waitcnt vmcnt(1)
	v_sub_co_u32 v0, vcc_lo, v6, s12
	v_subrev_co_ci_u32_e32 v1, vcc_lo, 0, v7, vcc_lo
	s_delay_alu instid0(VALU_DEP_2) | instskip(NEXT) | instid1(VALU_DEP_2)
	v_add_co_u32 v4, vcc_lo, v0, v2
	v_add_co_ci_u32_e32 v5, vcc_lo, 0, v1, vcc_lo
	s_delay_alu instid0(VALU_DEP_1) | instskip(SKIP_3) | instid1(VALU_DEP_3)
	v_lshlrev_b64 v[0:1], 4, v[4:5]
	s_waitcnt vmcnt(0)
	v_sub_co_u32 v8, vcc_lo, v8, s12
	v_subrev_co_ci_u32_e32 v9, vcc_lo, 0, v9, vcc_lo
	v_add_co_u32 v0, vcc_lo, s10, v0
	s_delay_alu instid0(VALU_DEP_2)
	v_cmp_lt_i64_e64 s2, v[4:5], v[8:9]
	v_add_co_ci_u32_e32 v1, vcc_lo, s11, v1, vcc_lo
	s_mov_b32 s10, 0
	s_cbranch_scc1 .LBB68_29
; %bb.18:
	v_dual_mov_b32 v20, 0 :: v_dual_mov_b32 v21, 0
	v_mov_b32_e32 v18, 0
	s_and_saveexec_b32 s11, s2
	s_cbranch_execz .LBB68_28
; %bb.19:
	v_or_b32_e32 v10, 32, v2
	v_not_b32_e32 v13, v6
	v_not_b32_e32 v12, v7
	v_dual_mov_b32 v18, 0 :: v_dual_mov_b32 v21, 0
	s_delay_alu instid0(VALU_DEP_4) | instskip(NEXT) | instid1(VALU_DEP_1)
	v_sub_co_u32 v10, s3, v10, s12
	v_sub_co_ci_u32_e64 v11, null, 0, 0, s3
	v_sub_co_u32 v14, s3, s12, v2
	s_delay_alu instid0(VALU_DEP_3) | instskip(NEXT) | instid1(VALU_DEP_3)
	v_add_co_u32 v10, vcc_lo, v10, v6
	v_add_co_ci_u32_e32 v11, vcc_lo, v11, v7, vcc_lo
	v_sub_co_ci_u32_e64 v15, null, 0, 0, s3
	v_dual_mov_b32 v20, 0 :: v_dual_mov_b32 v19, 0
	s_delay_alu instid0(VALU_DEP_3) | instskip(SKIP_4) | instid1(VALU_DEP_2)
	v_cmp_gt_i64_e32 vcc_lo, v[10:11], v[8:9]
	s_mov_b32 s16, 0
	v_dual_cndmask_b32 v11, v9, v11 :: v_dual_cndmask_b32 v10, v8, v10
	v_add_co_u32 v13, vcc_lo, v14, v13
	v_add_co_ci_u32_e32 v12, vcc_lo, v15, v12, vcc_lo
	v_add_co_u32 v10, vcc_lo, v13, v10
	s_delay_alu instid0(VALU_DEP_2) | instskip(SKIP_1) | instid1(VALU_DEP_2)
	v_add_co_ci_u32_e32 v11, vcc_lo, v12, v11, vcc_lo
	v_dual_mov_b32 v13, v5 :: v_dual_mov_b32 v12, v4
	v_lshrrev_b64 v[14:15], 5, v[10:11]
	v_cmp_lt_u64_e32 vcc_lo, 0x5f, v[10:11]
	v_dual_mov_b32 v11, v1 :: v_dual_mov_b32 v10, v0
	s_delay_alu instid0(VALU_DEP_3) | instskip(NEXT) | instid1(VALU_DEP_1)
	v_add_co_u32 v22, s3, v14, 1
	v_add_co_ci_u32_e64 v15, s3, 0, v15, s3
	s_and_saveexec_b32 s15, vcc_lo
	s_cbranch_execz .LBB68_23
; %bb.20:
	v_lshlrev_b64 v[10:11], 2, v[4:5]
	v_dual_mov_b32 v19, 0 :: v_dual_and_b32 v14, -4, v22
	v_dual_mov_b32 v20, 0 :: v_dual_mov_b32 v21, 0
	v_mov_b32_e32 v18, 0
	s_delay_alu instid0(VALU_DEP_4) | instskip(SKIP_2) | instid1(VALU_DEP_3)
	v_add_co_u32 v12, vcc_lo, v10, s8
	v_add_co_ci_u32_e32 v13, vcc_lo, s9, v11, vcc_lo
	v_dual_mov_b32 v11, v1 :: v_dual_mov_b32 v10, v0
	v_add_co_u32 v16, vcc_lo, 0x100, v12
	s_delay_alu instid0(VALU_DEP_3)
	v_add_co_ci_u32_e32 v17, vcc_lo, 0, v13, vcc_lo
	v_dual_mov_b32 v13, v5 :: v_dual_mov_b32 v12, v4
.LBB68_21:                              ; =>This Inner Loop Header: Depth=1
	s_clause 0x3
	global_load_b32 v39, v[16:17], off offset:-256
	global_load_b32 v40, v[16:17], off offset:-128
	global_load_b32 v41, v[16:17], off
	global_load_b32 v42, v[16:17], off offset:128
	s_clause 0x3
	global_load_b128 v[23:26], v[10:11], off
	global_load_b128 v[27:30], v[10:11], off offset:512
	global_load_b128 v[31:34], v[10:11], off offset:1024
	;; [unrolled: 1-line block ×3, first 2 shown]
	s_waitcnt vmcnt(7)
	v_subrev_nc_u32_e32 v39, s12, v39
	s_waitcnt vmcnt(6)
	v_subrev_nc_u32_e32 v40, s12, v40
	s_waitcnt vmcnt(5)
	v_subrev_nc_u32_e32 v41, s12, v41
	s_waitcnt vmcnt(4)
	v_subrev_nc_u32_e32 v42, s12, v42
	v_lshlrev_b32_e32 v44, 2, v39
	v_lshlrev_b32_e32 v39, 2, v40
	;; [unrolled: 1-line block ×3, first 2 shown]
	s_delay_alu instid0(VALU_DEP_4)
	v_lshlrev_b32_e32 v42, 2, v42
	s_waitcnt vmcnt(1)
	v_ashrrev_i32_e32 v50, 24, v31
	v_ashrrev_i32_e32 v46, 31, v44
	;; [unrolled: 1-line block ×5, first 2 shown]
	s_waitcnt lgkmcnt(0)
	v_add_co_u32 v45, s5, s6, v44
	v_add_co_u32 v39, vcc_lo, s6, v39
	v_add_co_u32 v41, s3, s6, v40
	v_add_co_ci_u32_e64 v46, s5, s7, v46, s5
	v_add_co_u32 v43, s4, s6, v42
	v_add_co_ci_u32_e32 v40, vcc_lo, s7, v47, vcc_lo
	v_add_co_ci_u32_e64 v42, vcc_lo, s7, v48, s3
	v_add_co_ci_u32_e64 v44, vcc_lo, s7, v49, s4
	s_clause 0x3
	global_load_b32 v45, v[45:46], off
	global_load_b32 v39, v[39:40], off
	;; [unrolled: 1-line block ×4, first 2 shown]
	v_lshrrev_b16 v42, 8, v23
	v_ashrrev_i32_e32 v43, 24, v23
	v_lshrrev_b16 v46, 8, v27
	v_ashrrev_i32_e32 v47, 24, v27
	v_lshrrev_b16 v49, 8, v31
	v_bfe_i32 v51, v31, 16, 8
	v_bfe_i32 v31, v31, 0, 8
	;; [unrolled: 1-line block ×6, first 2 shown]
	s_waitcnt vmcnt(4)
	v_lshrrev_b16 v52, 8, v35
	v_ashrrev_i32_e32 v53, 24, v35
	v_bfe_i32 v42, v42, 0, 8
	v_bfe_i32 v46, v46, 0, 8
	;; [unrolled: 1-line block ×3, first 2 shown]
	v_add_co_u32 v10, vcc_lo, 0x800, v10
	v_bfe_i32 v54, v35, 16, 8
	v_bfe_i32 v35, v35, 0, 8
	;; [unrolled: 1-line block ×3, first 2 shown]
	v_add_co_ci_u32_e32 v11, vcc_lo, 0, v11, vcc_lo
	v_add_co_u32 v12, vcc_lo, 0x80, v12
	v_add_co_ci_u32_e32 v13, vcc_lo, 0, v13, vcc_lo
	v_add_co_u32 v14, vcc_lo, v14, -4
	v_add_co_ci_u32_e32 v15, vcc_lo, -1, v15, vcc_lo
	v_add_co_u32 v16, vcc_lo, 0x200, v16
	v_add_co_ci_u32_e32 v17, vcc_lo, 0, v17, vcc_lo
	s_delay_alu instid0(VALU_DEP_3)
	v_cmp_eq_u64_e32 vcc_lo, 0, v[14:15]
	s_or_b32 s16, vcc_lo, s16
	s_waitcnt vmcnt(3)
	v_lshrrev_b16 v55, 8, v45
	v_ashrrev_i32_e32 v56, 24, v45
	v_dot4_i32_iu8 v21, v45, v24, v21 neg_lo:[1,1,0]
	v_dot4_i32_iu8 v20, v45, v25, v20 neg_lo:[1,1,0]
	s_waitcnt vmcnt(2)
	v_lshrrev_b16 v24, 8, v39
	v_ashrrev_i32_e32 v25, 24, v39
	s_waitcnt vmcnt(1)
	v_lshrrev_b16 v59, 8, v40
	v_ashrrev_i32_e32 v60, 24, v40
	v_bfe_i32 v62, v40, 0, 8
	v_bfe_i32 v57, v45, 16, 8
	;; [unrolled: 1-line block ×3, first 2 shown]
	v_dot4_i32_iu8 v19, v45, v26, v19 neg_lo:[1,1,0]
	v_bfe_i32 v26, v39, 16, 8
	v_bfe_i32 v45, v39, 0, 8
	;; [unrolled: 1-line block ×3, first 2 shown]
	s_waitcnt vmcnt(0)
	v_lshrrev_b16 v63, 8, v41
	v_ashrrev_i32_e32 v64, 24, v41
	v_bfe_i32 v55, v55, 0, 8
	v_mul_i32_i24_e32 v43, v56, v43
	v_bfe_i32 v24, v24, 0, 8
	v_mul_i32_i24_e32 v25, v25, v47
	v_dot4_i32_iu8 v21, v39, v28, v21 neg_lo:[1,1,0]
	v_dot4_i32_iu8 v20, v39, v29, v20 neg_lo:[1,1,0]
	v_bfe_i32 v28, v59, 0, 8
	v_mul_i32_i24_e32 v29, v62, v31
	v_mul_i32_i24_e32 v31, v60, v50
	v_bfe_i32 v65, v41, 16, 8
	v_bfe_i32 v66, v41, 0, 8
	v_mul_i32_i24_e32 v23, v58, v23
	v_mul_i32_i24_e32 v44, v57, v44
	;; [unrolled: 1-line block ×4, first 2 shown]
	v_dot4_i32_iu8 v19, v39, v30, v19 neg_lo:[1,1,0]
	v_mul_i32_i24_e32 v30, v61, v51
	v_bfe_i32 v39, v63, 0, 8
	v_mul_i32_i24_e32 v45, v64, v53
	v_mad_i32_i24 v42, v55, v42, v43
	v_mad_i32_i24 v24, v24, v46, v25
	;; [unrolled: 1-line block ×3, first 2 shown]
	v_mul_i32_i24_e32 v35, v66, v35
	v_mul_i32_i24_e32 v28, v65, v54
	v_mad_i32_i24 v31, v39, v52, v45
	v_add3_u32 v23, v23, v44, v42
	v_add3_u32 v24, v27, v26, v24
	;; [unrolled: 1-line block ×3, first 2 shown]
	v_dot4_i32_iu8 v21, v40, v32, v21 neg_lo:[1,1,0]
	v_dot4_i32_iu8 v20, v40, v33, v20 neg_lo:[1,1,0]
	;; [unrolled: 1-line block ×3, first 2 shown]
	v_add3_u32 v26, v35, v28, v31
	v_add3_u32 v23, v23, v24, v25
	v_dot4_i32_iu8 v21, v41, v36, v21 neg_lo:[1,1,0]
	v_dot4_i32_iu8 v20, v41, v37, v20 neg_lo:[1,1,0]
	;; [unrolled: 1-line block ×3, first 2 shown]
	s_delay_alu instid0(VALU_DEP_4)
	v_add3_u32 v18, v23, v26, v18
	s_and_not1_b32 exec_lo, exec_lo, s16
	s_cbranch_execnz .LBB68_21
; %bb.22:
	s_or_b32 exec_lo, exec_lo, s16
.LBB68_23:
	s_delay_alu instid0(SALU_CYCLE_1) | instskip(SKIP_2) | instid1(VALU_DEP_1)
	s_or_b32 exec_lo, exec_lo, s15
	v_dual_mov_b32 v15, 0 :: v_dual_and_b32 v14, 3, v22
	s_mov_b32 s3, exec_lo
	v_cmpx_ne_u64_e32 0, v[14:15]
	s_cbranch_execz .LBB68_27
; %bb.24:
	v_lshlrev_b64 v[12:13], 2, v[12:13]
	v_lshlrev_b32_e32 v14, 2, v14
	s_mov_b32 s4, 0
	s_delay_alu instid0(VALU_DEP_2) | instskip(NEXT) | instid1(VALU_DEP_3)
	v_add_co_u32 v12, vcc_lo, s8, v12
	v_add_co_ci_u32_e32 v13, vcc_lo, s9, v13, vcc_lo
.LBB68_25:                              ; =>This Inner Loop Header: Depth=1
	global_load_b32 v16, v[12:13], off
	s_waitcnt vmcnt(0)
	v_subrev_nc_u32_e32 v16, s12, v16
	s_delay_alu instid0(VALU_DEP_1) | instskip(NEXT) | instid1(VALU_DEP_1)
	v_lshlrev_b32_e32 v16, 2, v16
	v_ashrrev_i32_e32 v17, 31, v16
	s_waitcnt lgkmcnt(0)
	v_add_co_u32 v16, vcc_lo, s6, v16
	s_delay_alu instid0(VALU_DEP_2)
	v_add_co_ci_u32_e32 v17, vcc_lo, s7, v17, vcc_lo
	global_load_b128 v[22:25], v[10:11], off
	global_load_b32 v16, v[16:17], off
	v_add_co_u32 v10, vcc_lo, 0x200, v10
	v_add_co_ci_u32_e32 v11, vcc_lo, 0, v11, vcc_lo
	v_add_co_u32 v14, vcc_lo, v14, -4
	v_add_co_ci_u32_e32 v15, vcc_lo, -1, v15, vcc_lo
	v_add_co_u32 v12, vcc_lo, 0x80, v12
	v_add_co_ci_u32_e32 v13, vcc_lo, 0, v13, vcc_lo
	s_delay_alu instid0(VALU_DEP_3)
	v_cmp_eq_u64_e32 vcc_lo, 0, v[14:15]
	s_or_b32 s4, vcc_lo, s4
	s_waitcnt vmcnt(1)
	v_lshrrev_b16 v17, 8, v22
	v_ashrrev_i32_e32 v26, 24, v22
	v_bfe_i32 v27, v22, 0, 8
	v_bfe_i32 v22, v22, 16, 8
	s_waitcnt vmcnt(0)
	v_lshrrev_b16 v28, 8, v16
	v_bfe_i32 v29, v16, 16, 8
	v_ashrrev_i32_e32 v30, 24, v16
	v_bfe_i32 v17, v17, 0, 8
	v_bfe_i32 v31, v16, 0, 8
	;; [unrolled: 1-line block ×3, first 2 shown]
	v_mul_i32_i24_e32 v22, v29, v22
	v_mul_i32_i24_e32 v26, v30, v26
	v_dot4_i32_iu8 v21, v16, v23, v21 neg_lo:[1,1,0]
	v_dot4_i32_iu8 v20, v16, v24, v20 neg_lo:[1,1,0]
	;; [unrolled: 1-line block ×3, first 2 shown]
	v_mad_i32_i24 v22, v31, v27, v22
	v_mad_i32_i24 v17, v28, v17, v26
	s_delay_alu instid0(VALU_DEP_1)
	v_add3_u32 v18, v22, v17, v18
	s_and_not1_b32 exec_lo, exec_lo, s4
	s_cbranch_execnz .LBB68_25
; %bb.26:
	s_or_b32 exec_lo, exec_lo, s4
.LBB68_27:
	s_delay_alu instid0(SALU_CYCLE_1)
	s_or_b32 exec_lo, exec_lo, s3
.LBB68_28:
	s_delay_alu instid0(SALU_CYCLE_1) | instskip(NEXT) | instid1(SALU_CYCLE_1)
	s_or_b32 exec_lo, exec_lo, s11
	s_and_not1_b32 vcc_lo, exec_lo, s10
	s_cbranch_vccz .LBB68_30
	s_branch .LBB68_41
.LBB68_29:
                                        ; implicit-def: $vgpr19
                                        ; implicit-def: $vgpr20
                                        ; implicit-def: $vgpr21
                                        ; implicit-def: $vgpr18
.LBB68_30:
	v_dual_mov_b32 v19, 0 :: v_dual_mov_b32 v20, 0
	v_dual_mov_b32 v21, 0 :: v_dual_mov_b32 v18, 0
	s_and_saveexec_b32 s5, s2
	s_cbranch_execz .LBB68_40
; %bb.31:
	v_or_b32_e32 v10, 32, v2
	v_dual_mov_b32 v18, 0 :: v_dual_mov_b32 v21, 0
	v_dual_mov_b32 v20, 0 :: v_dual_mov_b32 v19, 0
	s_delay_alu instid0(VALU_DEP_3) | instskip(NEXT) | instid1(VALU_DEP_1)
	v_sub_co_u32 v10, s2, v10, s12
	v_sub_co_ci_u32_e64 v11, null, 0, 0, s2
	v_sub_co_u32 v12, s2, s12, v2
	s_delay_alu instid0(VALU_DEP_3) | instskip(NEXT) | instid1(VALU_DEP_3)
	v_add_co_u32 v10, vcc_lo, v10, v6
	v_add_co_ci_u32_e32 v11, vcc_lo, v11, v7, vcc_lo
	v_not_b32_e32 v6, v6
	v_not_b32_e32 v7, v7
	v_sub_co_ci_u32_e64 v13, null, 0, 0, s2
	s_delay_alu instid0(VALU_DEP_4) | instskip(SKIP_4) | instid1(VALU_DEP_2)
	v_cmp_gt_i64_e32 vcc_lo, v[10:11], v[8:9]
	s_mov_b32 s11, 0
	v_dual_cndmask_b32 v9, v9, v11 :: v_dual_cndmask_b32 v8, v8, v10
	v_add_co_u32 v6, vcc_lo, v12, v6
	v_add_co_ci_u32_e32 v7, vcc_lo, v13, v7, vcc_lo
	v_add_co_u32 v6, vcc_lo, v6, v8
	s_delay_alu instid0(VALU_DEP_2) | instskip(NEXT) | instid1(VALU_DEP_1)
	v_add_co_ci_u32_e32 v7, vcc_lo, v7, v9, vcc_lo
	v_lshrrev_b64 v[8:9], 5, v[6:7]
	v_cmp_lt_u64_e32 vcc_lo, 0x5f, v[6:7]
	s_delay_alu instid0(VALU_DEP_2) | instskip(NEXT) | instid1(VALU_DEP_1)
	v_add_co_u32 v10, s2, v8, 1
	v_add_co_ci_u32_e64 v7, s2, 0, v9, s2
	s_and_saveexec_b32 s10, vcc_lo
	s_cbranch_execz .LBB68_35
; %bb.32:
	v_lshlrev_b64 v[8:9], 2, v[4:5]
	v_dual_mov_b32 v19, 0 :: v_dual_and_b32 v6, -4, v10
	v_dual_mov_b32 v20, 0 :: v_dual_mov_b32 v21, 0
	v_mov_b32_e32 v18, 0
	s_delay_alu instid0(VALU_DEP_4) | instskip(SKIP_1) | instid1(VALU_DEP_2)
	v_add_co_u32 v8, vcc_lo, v8, s8
	v_add_co_ci_u32_e32 v9, vcc_lo, s9, v9, vcc_lo
	v_add_co_u32 v8, vcc_lo, 0x100, v8
	s_delay_alu instid0(VALU_DEP_2)
	v_add_co_ci_u32_e32 v9, vcc_lo, 0, v9, vcc_lo
.LBB68_33:                              ; =>This Inner Loop Header: Depth=1
	s_clause 0x3
	global_load_b32 v15, v[8:9], off offset:-256
	global_load_b32 v16, v[8:9], off offset:-128
	global_load_b32 v17, v[8:9], off
	global_load_b32 v34, v[8:9], off offset:128
	s_clause 0x3
	global_load_b128 v[11:14], v[0:1], off
	global_load_b128 v[22:25], v[0:1], off offset:512
	global_load_b128 v[26:29], v[0:1], off offset:1024
	;; [unrolled: 1-line block ×3, first 2 shown]
	s_waitcnt vmcnt(7)
	v_subrev_nc_u32_e32 v15, s12, v15
	s_waitcnt vmcnt(6)
	v_subrev_nc_u32_e32 v16, s12, v16
	;; [unrolled: 2-line block ×4, first 2 shown]
	v_lshlrev_b32_e32 v35, 2, v15
	v_lshlrev_b32_e32 v15, 2, v16
	;; [unrolled: 1-line block ×3, first 2 shown]
	s_delay_alu instid0(VALU_DEP_4)
	v_lshlrev_b32_e32 v17, 2, v34
	s_waitcnt vmcnt(2)
	v_perm_b32 v42, v25, v24, 0x5010c0c
	v_ashrrev_i32_e32 v38, 31, v35
	s_waitcnt lgkmcnt(0)
	v_add_co_u32 v37, s4, s6, v35
	v_ashrrev_i32_e32 v39, 31, v15
	v_add_co_u32 v15, vcc_lo, s6, v15
	v_add_co_ci_u32_e64 v38, s4, s7, v38, s4
	v_ashrrev_i32_e32 v40, 31, v16
	v_add_co_u32 v34, s2, s6, v16
	v_ashrrev_i32_e32 v41, 31, v17
	v_add_co_u32 v36, s3, s6, v17
	v_add_co_ci_u32_e32 v16, vcc_lo, s7, v39, vcc_lo
	global_load_b32 v17, v[37:38], off
	v_add_co_ci_u32_e64 v35, vcc_lo, s7, v40, s2
	global_load_b32 v15, v[15:16], off
	v_add_co_ci_u32_e64 v37, vcc_lo, s7, v41, s3
	s_clause 0x1
	global_load_b32 v16, v[34:35], off
	global_load_b32 v34, v[36:37], off
	v_perm_b32 v35, v12, v11, 0xc0c0400
	v_perm_b32 v36, v14, v13, 0x4000c0c
	;; [unrolled: 1-line block ×15, first 2 shown]
	s_waitcnt vmcnt(5)
	v_perm_b32 v24, v27, v26, 0xc0c0400
	v_perm_b32 v25, v29, v28, 0x4000c0c
	;; [unrolled: 1-line block ×8, first 2 shown]
	s_waitcnt vmcnt(4)
	v_perm_b32 v28, v31, v30, 0xc0c0400
	v_perm_b32 v29, v33, v32, 0x4000c0c
	;; [unrolled: 1-line block ×8, first 2 shown]
	v_or_b32_e32 v32, v36, v35
	v_or_b32_e32 v33, v38, v37
	;; [unrolled: 1-line block ×4, first 2 shown]
	v_add_co_u32 v0, vcc_lo, 0x800, v0
	v_or_b32_e32 v12, v14, v13
	v_or_b32_e32 v13, v42, v41
	;; [unrolled: 1-line block ×4, first 2 shown]
	v_add_co_ci_u32_e32 v1, vcc_lo, 0, v1, vcc_lo
	v_add_co_u32 v4, vcc_lo, 0x80, v4
	v_add_co_ci_u32_e32 v5, vcc_lo, 0, v5, vcc_lo
	v_add_co_u32 v6, vcc_lo, v6, -4
	v_or_b32_e32 v23, v25, v24
	v_or_b32_e32 v24, v46, v45
	;; [unrolled: 1-line block ×4, first 2 shown]
	v_add_co_ci_u32_e32 v7, vcc_lo, -1, v7, vcc_lo
	v_add_co_u32 v8, vcc_lo, 0x200, v8
	v_or_b32_e32 v27, v29, v28
	v_or_b32_e32 v28, v50, v49
	v_add_co_ci_u32_e32 v9, vcc_lo, 0, v9, vcc_lo
	v_cmp_eq_u64_e32 vcc_lo, 0, v[6:7]
	s_or_b32 s11, vcc_lo, s11
	s_waitcnt vmcnt(3)
	v_dot4_i32_iu8 v18, v17, v32, v18 neg_lo:[1,1,0]
	v_dot4_i32_iu8 v21, v33, v17, v21 neg_lo:[1,1,0]
	;; [unrolled: 1-line block ×4, first 2 shown]
	v_or_b32_e32 v17, v52, v51
	s_waitcnt vmcnt(2)
	v_dot4_i32_iu8 v12, v15, v12, v18 neg_lo:[1,1,0]
	v_dot4_i32_iu8 v13, v13, v15, v21 neg_lo:[1,1,0]
	;; [unrolled: 1-line block ×4, first 2 shown]
	v_or_b32_e32 v15, v31, v30
	s_waitcnt vmcnt(1)
	v_dot4_i32_iu8 v12, v16, v23, v12 neg_lo:[1,1,0]
	v_dot4_i32_iu8 v13, v24, v16, v13 neg_lo:[1,1,0]
	;; [unrolled: 1-line block ×4, first 2 shown]
	s_waitcnt vmcnt(0)
	v_dot4_i32_iu8 v18, v34, v27, v12 neg_lo:[1,1,0]
	v_dot4_i32_iu8 v21, v28, v34, v13 neg_lo:[1,1,0]
	;; [unrolled: 1-line block ×4, first 2 shown]
	s_and_not1_b32 exec_lo, exec_lo, s11
	s_cbranch_execnz .LBB68_33
; %bb.34:
	s_or_b32 exec_lo, exec_lo, s11
.LBB68_35:
	s_delay_alu instid0(SALU_CYCLE_1) | instskip(SKIP_2) | instid1(VALU_DEP_1)
	s_or_b32 exec_lo, exec_lo, s10
	v_dual_mov_b32 v7, 0 :: v_dual_and_b32 v6, 3, v10
	s_mov_b32 s2, exec_lo
	v_cmpx_ne_u64_e32 0, v[6:7]
	s_cbranch_execz .LBB68_39
; %bb.36:
	v_lshlrev_b64 v[4:5], 2, v[4:5]
	v_lshlrev_b32_e32 v6, 2, v6
	s_mov_b32 s3, 0
	s_delay_alu instid0(VALU_DEP_2) | instskip(NEXT) | instid1(VALU_DEP_3)
	v_add_co_u32 v4, vcc_lo, s8, v4
	v_add_co_ci_u32_e32 v5, vcc_lo, s9, v5, vcc_lo
.LBB68_37:                              ; =>This Inner Loop Header: Depth=1
	global_load_b32 v8, v[4:5], off
	s_waitcnt vmcnt(0)
	v_subrev_nc_u32_e32 v8, s12, v8
	s_delay_alu instid0(VALU_DEP_1) | instskip(SKIP_4) | instid1(VALU_DEP_2)
	v_lshlrev_b32_e32 v12, 2, v8
	global_load_b128 v[8:11], v[0:1], off
	v_ashrrev_i32_e32 v13, 31, v12
	s_waitcnt lgkmcnt(0)
	v_add_co_u32 v12, vcc_lo, s6, v12
	v_add_co_ci_u32_e32 v13, vcc_lo, s7, v13, vcc_lo
	v_add_co_u32 v0, vcc_lo, 0x200, v0
	v_add_co_ci_u32_e32 v1, vcc_lo, 0, v1, vcc_lo
	global_load_b32 v12, v[12:13], off
	v_add_co_u32 v4, vcc_lo, 0x80, v4
	v_add_co_ci_u32_e32 v5, vcc_lo, 0, v5, vcc_lo
	v_add_co_u32 v6, vcc_lo, v6, -4
	v_add_co_ci_u32_e32 v7, vcc_lo, -1, v7, vcc_lo
	s_delay_alu instid0(VALU_DEP_1)
	v_cmp_eq_u64_e32 vcc_lo, 0, v[6:7]
	s_or_b32 s3, vcc_lo, s3
	s_waitcnt vmcnt(1)
	v_perm_b32 v13, v9, v8, 0xc0c0400
	v_perm_b32 v14, v11, v10, 0x4000c0c
	v_perm_b32 v15, v9, v8, 0xc0c0501
	v_perm_b32 v16, v11, v10, 0x5010c0c
	v_perm_b32 v17, v9, v8, 0xc0c0602
	v_perm_b32 v22, v11, v10, 0x6020c0c
	v_perm_b32 v8, v9, v8, 0xc0c0703
	v_perm_b32 v9, v11, v10, 0x7030c0c
	v_or_b32_e32 v10, v14, v13
	v_or_b32_e32 v11, v16, v15
	;; [unrolled: 1-line block ×3, first 2 shown]
	s_delay_alu instid0(VALU_DEP_4)
	v_or_b32_e32 v8, v9, v8
	s_waitcnt vmcnt(0)
	v_dot4_i32_iu8 v18, v12, v10, v18 neg_lo:[1,1,0]
	v_dot4_i32_iu8 v21, v11, v12, v21 neg_lo:[1,1,0]
	;; [unrolled: 1-line block ×4, first 2 shown]
	s_and_not1_b32 exec_lo, exec_lo, s3
	s_cbranch_execnz .LBB68_37
; %bb.38:
	s_or_b32 exec_lo, exec_lo, s3
.LBB68_39:
	s_delay_alu instid0(SALU_CYCLE_1)
	s_or_b32 exec_lo, exec_lo, s2
.LBB68_40:
	s_delay_alu instid0(SALU_CYCLE_1)
	s_or_b32 exec_lo, exec_lo, s5
.LBB68_41:
	v_mbcnt_lo_u32_b32 v0, -1, 0
	s_mov_b32 s2, -1
	s_delay_alu instid0(VALU_DEP_1) | instskip(SKIP_2) | instid1(VALU_DEP_3)
	v_xor_b32_e32 v1, 16, v0
	v_xor_b32_e32 v7, 8, v0
	;; [unrolled: 1-line block ×3, first 2 shown]
	v_cmp_gt_i32_e32 vcc_lo, 32, v1
	v_cndmask_b32_e32 v1, v0, v1, vcc_lo
	s_delay_alu instid0(VALU_DEP_4) | instskip(NEXT) | instid1(VALU_DEP_2)
	v_cmp_gt_i32_e32 vcc_lo, 32, v7
	v_lshlrev_b32_e32 v1, 2, v1
	ds_bpermute_b32 v6, v1, v20
	ds_bpermute_b32 v4, v1, v18
	;; [unrolled: 1-line block ×4, first 2 shown]
	s_waitcnt lgkmcnt(0)
	v_dual_cndmask_b32 v7, v0, v7 :: v_dual_add_nc_u32 v6, v6, v20
	v_add_nc_u32_e32 v4, v4, v18
	v_add_nc_u32_e32 v5, v5, v21
	;; [unrolled: 1-line block ×3, first 2 shown]
	v_cmp_gt_i32_e32 vcc_lo, 32, v11
	v_lshlrev_b32_e32 v7, 2, v7
	ds_bpermute_b32 v8, v7, v4
	ds_bpermute_b32 v9, v7, v5
	ds_bpermute_b32 v10, v7, v6
	ds_bpermute_b32 v7, v7, v1
	s_waitcnt lgkmcnt(3)
	v_add_nc_u32_e32 v4, v8, v4
	v_cndmask_b32_e32 v11, v0, v11, vcc_lo
	s_waitcnt lgkmcnt(2)
	v_add_nc_u32_e32 v5, v9, v5
	s_waitcnt lgkmcnt(1)
	v_add_nc_u32_e32 v6, v10, v6
	;; [unrolled: 2-line block ×3, first 2 shown]
	v_lshlrev_b32_e32 v11, 2, v11
	ds_bpermute_b32 v7, v11, v4
	ds_bpermute_b32 v8, v11, v5
	;; [unrolled: 1-line block ×4, first 2 shown]
	v_xor_b32_e32 v11, 2, v0
	s_delay_alu instid0(VALU_DEP_1)
	v_cmp_gt_i32_e32 vcc_lo, 32, v11
	s_waitcnt lgkmcnt(3)
	v_dual_cndmask_b32 v11, v0, v11 :: v_dual_add_nc_u32 v4, v7, v4
	s_waitcnt lgkmcnt(2)
	v_add_nc_u32_e32 v5, v8, v5
	s_waitcnt lgkmcnt(1)
	v_add_nc_u32_e32 v6, v9, v6
	v_lshlrev_b32_e32 v11, 2, v11
	s_waitcnt lgkmcnt(0)
	v_add_nc_u32_e32 v7, v10, v1
	ds_bpermute_b32 v1, v11, v4
	ds_bpermute_b32 v8, v11, v5
	;; [unrolled: 1-line block ×4, first 2 shown]
	v_xor_b32_e32 v11, 1, v0
	s_delay_alu instid0(VALU_DEP_1) | instskip(SKIP_2) | instid1(VALU_DEP_2)
	v_cmp_gt_i32_e32 vcc_lo, 32, v11
	v_cndmask_b32_e32 v0, v0, v11, vcc_lo
	v_cmp_eq_u32_e32 vcc_lo, 31, v2
	v_lshlrev_b32_e32 v11, 2, v0
	s_waitcnt lgkmcnt(3)
	v_add_nc_u32_e32 v0, v1, v4
	s_waitcnt lgkmcnt(2)
	v_add_nc_u32_e32 v1, v8, v5
	;; [unrolled: 2-line block ×4, first 2 shown]
	ds_bpermute_b32 v6, v11, v0
	ds_bpermute_b32 v7, v11, v1
	;; [unrolled: 1-line block ×4, first 2 shown]
	s_and_b32 exec_lo, exec_lo, vcc_lo
	s_cbranch_execz .LBB68_14
; %bb.42:
	s_load_b64 s[0:1], s[0:1], 0x50
	s_waitcnt lgkmcnt(0)
	v_add_nc_u32_e32 v0, v6, v0
	v_add_nc_u32_e32 v1, v7, v1
	;; [unrolled: 1-line block ×4, first 2 shown]
	v_lshlrev_b32_e32 v5, 2, v3
	v_mul_lo_u32 v0, v0, s13
	v_mul_lo_u32 v1, v1, s13
	;; [unrolled: 1-line block ×4, first 2 shown]
	s_cmp_eq_u32 s14, 0
	s_cbranch_scc1 .LBB68_44
; %bb.43:
	v_ashrrev_i32_e32 v6, 31, v5
	s_mov_b32 s2, 0
	s_delay_alu instid0(VALU_DEP_1) | instskip(NEXT) | instid1(VALU_DEP_1)
	v_lshlrev_b64 v[6:7], 2, v[5:6]
	v_add_co_u32 v13, vcc_lo, s0, v6
	s_delay_alu instid0(VALU_DEP_2)
	v_add_co_ci_u32_e32 v14, vcc_lo, s1, v7, vcc_lo
	global_load_b128 v[6:9], v[13:14], off
	s_waitcnt vmcnt(0)
	v_mad_u64_u32 v[15:16], null, v9, s14, v[4:5]
	v_mad_u64_u32 v[9:10], null, v6, s14, v[0:1]
	;; [unrolled: 1-line block ×4, first 2 shown]
	s_delay_alu instid0(VALU_DEP_4)
	v_mov_b32_e32 v12, v15
	global_store_b128 v[13:14], v[9:12], off
.LBB68_44:
	s_and_not1_b32 vcc_lo, exec_lo, s2
	s_cbranch_vccnz .LBB68_14
; %bb.45:
	v_ashrrev_i32_e32 v6, 31, v5
	s_delay_alu instid0(VALU_DEP_2) | instskip(NEXT) | instid1(VALU_DEP_2)
	v_mov_b32_e32 v3, v4
	v_lshlrev_b64 v[5:6], 2, v[5:6]
	s_delay_alu instid0(VALU_DEP_1) | instskip(NEXT) | instid1(VALU_DEP_2)
	v_add_co_u32 v5, vcc_lo, s0, v5
	v_add_co_ci_u32_e32 v6, vcc_lo, s1, v6, vcc_lo
	global_store_b128 v[5:6], v[0:3], off
	s_nop 0
	s_sendmsg sendmsg(MSG_DEALLOC_VGPRS)
	s_endpgm
	.section	.rodata,"a",@progbits
	.p2align	6, 0x0
	.amdhsa_kernel _ZN9rocsparseL18bsrxmvn_4x4_kernelILj128ELj32EiliaaiEEvT3_20rocsparse_direction_NS_24const_host_device_scalarIT1_EES1_PKS1_PKT2_SA_S7_PKT4_PKT5_S5_PT6_21rocsparse_index_base_b
		.amdhsa_group_segment_fixed_size 0
		.amdhsa_private_segment_fixed_size 0
		.amdhsa_kernarg_size 96
		.amdhsa_user_sgpr_count 15
		.amdhsa_user_sgpr_dispatch_ptr 0
		.amdhsa_user_sgpr_queue_ptr 0
		.amdhsa_user_sgpr_kernarg_segment_ptr 1
		.amdhsa_user_sgpr_dispatch_id 0
		.amdhsa_user_sgpr_private_segment_size 0
		.amdhsa_wavefront_size32 1
		.amdhsa_uses_dynamic_stack 0
		.amdhsa_enable_private_segment 0
		.amdhsa_system_sgpr_workgroup_id_x 1
		.amdhsa_system_sgpr_workgroup_id_y 0
		.amdhsa_system_sgpr_workgroup_id_z 0
		.amdhsa_system_sgpr_workgroup_info 0
		.amdhsa_system_vgpr_workitem_id 0
		.amdhsa_next_free_vgpr 67
		.amdhsa_next_free_sgpr 17
		.amdhsa_reserve_vcc 1
		.amdhsa_float_round_mode_32 0
		.amdhsa_float_round_mode_16_64 0
		.amdhsa_float_denorm_mode_32 3
		.amdhsa_float_denorm_mode_16_64 3
		.amdhsa_dx10_clamp 1
		.amdhsa_ieee_mode 1
		.amdhsa_fp16_overflow 0
		.amdhsa_workgroup_processor_mode 1
		.amdhsa_memory_ordered 1
		.amdhsa_forward_progress 0
		.amdhsa_shared_vgpr_count 0
		.amdhsa_exception_fp_ieee_invalid_op 0
		.amdhsa_exception_fp_denorm_src 0
		.amdhsa_exception_fp_ieee_div_zero 0
		.amdhsa_exception_fp_ieee_overflow 0
		.amdhsa_exception_fp_ieee_underflow 0
		.amdhsa_exception_fp_ieee_inexact 0
		.amdhsa_exception_int_div_zero 0
	.end_amdhsa_kernel
	.section	.text._ZN9rocsparseL18bsrxmvn_4x4_kernelILj128ELj32EiliaaiEEvT3_20rocsparse_direction_NS_24const_host_device_scalarIT1_EES1_PKS1_PKT2_SA_S7_PKT4_PKT5_S5_PT6_21rocsparse_index_base_b,"axG",@progbits,_ZN9rocsparseL18bsrxmvn_4x4_kernelILj128ELj32EiliaaiEEvT3_20rocsparse_direction_NS_24const_host_device_scalarIT1_EES1_PKS1_PKT2_SA_S7_PKT4_PKT5_S5_PT6_21rocsparse_index_base_b,comdat
.Lfunc_end68:
	.size	_ZN9rocsparseL18bsrxmvn_4x4_kernelILj128ELj32EiliaaiEEvT3_20rocsparse_direction_NS_24const_host_device_scalarIT1_EES1_PKS1_PKT2_SA_S7_PKT4_PKT5_S5_PT6_21rocsparse_index_base_b, .Lfunc_end68-_ZN9rocsparseL18bsrxmvn_4x4_kernelILj128ELj32EiliaaiEEvT3_20rocsparse_direction_NS_24const_host_device_scalarIT1_EES1_PKS1_PKT2_SA_S7_PKT4_PKT5_S5_PT6_21rocsparse_index_base_b
                                        ; -- End function
	.section	.AMDGPU.csdata,"",@progbits
; Kernel info:
; codeLenInByte = 4300
; NumSgprs: 19
; NumVgprs: 67
; ScratchSize: 0
; MemoryBound: 0
; FloatMode: 240
; IeeeMode: 1
; LDSByteSize: 0 bytes/workgroup (compile time only)
; SGPRBlocks: 2
; VGPRBlocks: 8
; NumSGPRsForWavesPerEU: 19
; NumVGPRsForWavesPerEU: 67
; Occupancy: 16
; WaveLimiterHint : 1
; COMPUTE_PGM_RSRC2:SCRATCH_EN: 0
; COMPUTE_PGM_RSRC2:USER_SGPR: 15
; COMPUTE_PGM_RSRC2:TRAP_HANDLER: 0
; COMPUTE_PGM_RSRC2:TGID_X_EN: 1
; COMPUTE_PGM_RSRC2:TGID_Y_EN: 0
; COMPUTE_PGM_RSRC2:TGID_Z_EN: 0
; COMPUTE_PGM_RSRC2:TIDIG_COMP_CNT: 0
	.section	.text._ZN9rocsparseL18bsrxmvn_4x4_kernelILj128ELj64EiliaaiEEvT3_20rocsparse_direction_NS_24const_host_device_scalarIT1_EES1_PKS1_PKT2_SA_S7_PKT4_PKT5_S5_PT6_21rocsparse_index_base_b,"axG",@progbits,_ZN9rocsparseL18bsrxmvn_4x4_kernelILj128ELj64EiliaaiEEvT3_20rocsparse_direction_NS_24const_host_device_scalarIT1_EES1_PKS1_PKT2_SA_S7_PKT4_PKT5_S5_PT6_21rocsparse_index_base_b,comdat
	.globl	_ZN9rocsparseL18bsrxmvn_4x4_kernelILj128ELj64EiliaaiEEvT3_20rocsparse_direction_NS_24const_host_device_scalarIT1_EES1_PKS1_PKT2_SA_S7_PKT4_PKT5_S5_PT6_21rocsparse_index_base_b ; -- Begin function _ZN9rocsparseL18bsrxmvn_4x4_kernelILj128ELj64EiliaaiEEvT3_20rocsparse_direction_NS_24const_host_device_scalarIT1_EES1_PKS1_PKT2_SA_S7_PKT4_PKT5_S5_PT6_21rocsparse_index_base_b
	.p2align	8
	.type	_ZN9rocsparseL18bsrxmvn_4x4_kernelILj128ELj64EiliaaiEEvT3_20rocsparse_direction_NS_24const_host_device_scalarIT1_EES1_PKS1_PKT2_SA_S7_PKT4_PKT5_S5_PT6_21rocsparse_index_base_b,@function
_ZN9rocsparseL18bsrxmvn_4x4_kernelILj128ELj64EiliaaiEEvT3_20rocsparse_direction_NS_24const_host_device_scalarIT1_EES1_PKS1_PKT2_SA_S7_PKT4_PKT5_S5_PT6_21rocsparse_index_base_b: ; @_ZN9rocsparseL18bsrxmvn_4x4_kernelILj128ELj64EiliaaiEEvT3_20rocsparse_direction_NS_24const_host_device_scalarIT1_EES1_PKS1_PKT2_SA_S7_PKT4_PKT5_S5_PT6_21rocsparse_index_base_b
; %bb.0:
	s_clause 0x1
	s_load_b64 s[12:13], s[0:1], 0x58
	s_load_b64 s[4:5], s[0:1], 0x8
	s_mov_b32 s7, -1
	s_waitcnt lgkmcnt(0)
	s_bitcmp1_b32 s13, 0
                                        ; implicit-def: $sgpr13
	s_cselect_b32 s2, -1, 0
	s_delay_alu instid0(SALU_CYCLE_1) | instskip(NEXT) | instid1(SALU_CYCLE_1)
	s_xor_b32 s6, s2, -1
	s_and_b32 vcc_lo, exec_lo, s6
	s_cbranch_vccnz .LBB69_4
; %bb.1:
	s_load_b64 s[2:3], s[0:1], 0x48
	s_and_not1_b32 vcc_lo, exec_lo, s7
	s_cbranch_vccz .LBB69_5
.LBB69_2:
	s_and_b32 vcc_lo, exec_lo, s6
	s_cbranch_vccz .LBB69_6
.LBB69_3:
	s_waitcnt lgkmcnt(0)
	s_load_b32 s14, s[2:3], 0x0
	s_cbranch_execz .LBB69_7
	s_branch .LBB69_8
.LBB69_4:
	s_load_b32 s13, s[4:5], 0x0
	s_load_b64 s[2:3], s[0:1], 0x48
	s_cbranch_execnz .LBB69_2
.LBB69_5:
	s_waitcnt lgkmcnt(0)
	s_mov_b32 s13, s4
	s_and_b32 vcc_lo, exec_lo, s6
	s_cbranch_vccnz .LBB69_3
.LBB69_6:
	s_waitcnt lgkmcnt(0)
                                        ; implicit-def: $sgpr14
.LBB69_7:
	s_waitcnt lgkmcnt(0)
	s_mov_b32 s14, s2
.LBB69_8:
	s_cmp_lg_u32 s13, 0
	s_mov_b32 s6, 0
	s_cselect_b32 s2, -1, 0
	s_waitcnt lgkmcnt(0)
	s_cmp_lg_u32 s14, 1
	s_cselect_b32 s3, -1, 0
	s_delay_alu instid0(SALU_CYCLE_1) | instskip(NEXT) | instid1(SALU_CYCLE_1)
	s_or_b32 s2, s2, s3
	s_and_not1_b32 vcc_lo, exec_lo, s2
	s_cbranch_vccnz .LBB69_14
; %bb.9:
	s_clause 0x1
	s_load_b64 s[4:5], s[0:1], 0x18
	s_load_b64 s[2:3], s[0:1], 0x0
	v_lshrrev_b32_e32 v1, 6, v0
	s_delay_alu instid0(VALU_DEP_1)
	v_lshl_or_b32 v3, s15, 1, v1
	s_waitcnt lgkmcnt(0)
	s_cmp_lg_u64 s[4:5], 0
	s_cbranch_scc0 .LBB69_15
; %bb.10:
	s_load_b32 s6, s[0:1], 0x10
	s_mov_b32 s7, 0
                                        ; implicit-def: $vgpr1
	s_waitcnt lgkmcnt(0)
	v_cmp_gt_i32_e32 vcc_lo, s6, v3
	s_mov_b32 s6, 0
	s_and_saveexec_b32 s8, vcc_lo
	s_delay_alu instid0(SALU_CYCLE_1)
	s_xor_b32 s8, exec_lo, s8
	s_cbranch_execz .LBB69_12
; %bb.11:
	v_ashrrev_i32_e32 v4, 31, v3
	s_mov_b32 s6, exec_lo
	s_delay_alu instid0(VALU_DEP_1) | instskip(NEXT) | instid1(VALU_DEP_1)
	v_lshlrev_b64 v[1:2], 2, v[3:4]
	v_add_co_u32 v1, vcc_lo, s4, v1
	s_delay_alu instid0(VALU_DEP_2)
	v_add_co_ci_u32_e32 v2, vcc_lo, s5, v2, vcc_lo
	global_load_b32 v1, v[1:2], off
	s_waitcnt vmcnt(0)
	v_subrev_nc_u32_e32 v1, s12, v1
.LBB69_12:
	s_or_b32 exec_lo, exec_lo, s8
	s_delay_alu instid0(SALU_CYCLE_1)
	s_and_b32 vcc_lo, exec_lo, s7
	s_cbranch_vccz .LBB69_16
.LBB69_13:
	v_cmp_gt_i32_e32 vcc_lo, s2, v3
	s_and_not1_b32 s2, s6, exec_lo
	s_and_b32 s4, vcc_lo, exec_lo
	s_delay_alu instid0(SALU_CYCLE_1) | instskip(NEXT) | instid1(SALU_CYCLE_1)
	s_or_b32 s6, s2, s4
	s_and_saveexec_b32 s2, s6
	s_cbranch_execnz .LBB69_17
.LBB69_14:
	s_nop 0
	s_sendmsg sendmsg(MSG_DEALLOC_VGPRS)
	s_endpgm
.LBB69_15:
                                        ; implicit-def: $vgpr1
	s_cbranch_execnz .LBB69_13
.LBB69_16:
	s_delay_alu instid0(VALU_DEP_1)
	v_mov_b32_e32 v3, v1
	s_and_saveexec_b32 s2, s6
	s_cbranch_execz .LBB69_14
.LBB69_17:
	s_load_b256 s[4:11], s[0:1], 0x20
	s_delay_alu instid0(VALU_DEP_1) | instskip(SKIP_1) | instid1(VALU_DEP_2)
	v_ashrrev_i32_e32 v4, 31, v3
	v_mov_b32_e32 v19, 0
	v_lshlrev_b64 v[1:2], 3, v[3:4]
	s_waitcnt lgkmcnt(0)
	s_delay_alu instid0(VALU_DEP_1) | instskip(NEXT) | instid1(VALU_DEP_2)
	v_add_co_u32 v4, vcc_lo, s4, v1
	v_add_co_ci_u32_e32 v5, vcc_lo, s5, v2, vcc_lo
	v_add_co_u32 v1, vcc_lo, s6, v1
	v_add_co_ci_u32_e32 v2, vcc_lo, s7, v2, vcc_lo
	s_delay_alu instid0(VALU_DEP_4)
	v_add_co_u32 v8, vcc_lo, v4, 8
	global_load_b64 v[6:7], v[4:5], off
	v_add_co_ci_u32_e32 v9, vcc_lo, 0, v5, vcc_lo
	s_cmp_eq_u64 s[6:7], 0
	s_load_b64 s[6:7], s[0:1], 0x40
	s_cselect_b32 vcc_lo, -1, 0
	s_cmp_eq_u32 s3, 1
	v_dual_cndmask_b32 v2, v2, v9 :: v_dual_cndmask_b32 v1, v1, v8
	global_load_b64 v[8:9], v[1:2], off
	v_and_b32_e32 v2, 63, v0
	s_waitcnt vmcnt(1)
	v_sub_co_u32 v0, vcc_lo, v6, s12
	v_subrev_co_ci_u32_e32 v1, vcc_lo, 0, v7, vcc_lo
	s_delay_alu instid0(VALU_DEP_2) | instskip(NEXT) | instid1(VALU_DEP_2)
	v_add_co_u32 v4, vcc_lo, v0, v2
	v_add_co_ci_u32_e32 v5, vcc_lo, 0, v1, vcc_lo
	s_delay_alu instid0(VALU_DEP_1) | instskip(SKIP_3) | instid1(VALU_DEP_3)
	v_lshlrev_b64 v[0:1], 4, v[4:5]
	s_waitcnt vmcnt(0)
	v_sub_co_u32 v8, vcc_lo, v8, s12
	v_subrev_co_ci_u32_e32 v9, vcc_lo, 0, v9, vcc_lo
	v_add_co_u32 v0, vcc_lo, s10, v0
	s_delay_alu instid0(VALU_DEP_2)
	v_cmp_lt_i64_e64 s2, v[4:5], v[8:9]
	v_add_co_ci_u32_e32 v1, vcc_lo, s11, v1, vcc_lo
	s_mov_b32 s10, 0
	s_cbranch_scc1 .LBB69_29
; %bb.18:
	v_dual_mov_b32 v20, 0 :: v_dual_mov_b32 v21, 0
	v_mov_b32_e32 v18, 0
	s_and_saveexec_b32 s11, s2
	s_cbranch_execz .LBB69_28
; %bb.19:
	v_or_b32_e32 v10, 64, v2
	v_not_b32_e32 v13, v6
	v_not_b32_e32 v12, v7
	v_dual_mov_b32 v18, 0 :: v_dual_mov_b32 v21, 0
	s_delay_alu instid0(VALU_DEP_4) | instskip(NEXT) | instid1(VALU_DEP_1)
	v_sub_co_u32 v10, s3, v10, s12
	v_sub_co_ci_u32_e64 v11, null, 0, 0, s3
	v_sub_co_u32 v14, s3, s12, v2
	s_delay_alu instid0(VALU_DEP_3) | instskip(NEXT) | instid1(VALU_DEP_3)
	v_add_co_u32 v10, vcc_lo, v10, v6
	v_add_co_ci_u32_e32 v11, vcc_lo, v11, v7, vcc_lo
	v_sub_co_ci_u32_e64 v15, null, 0, 0, s3
	v_dual_mov_b32 v20, 0 :: v_dual_mov_b32 v19, 0
	s_delay_alu instid0(VALU_DEP_3) | instskip(SKIP_4) | instid1(VALU_DEP_2)
	v_cmp_gt_i64_e32 vcc_lo, v[10:11], v[8:9]
	s_mov_b32 s16, 0
	v_dual_cndmask_b32 v11, v9, v11 :: v_dual_cndmask_b32 v10, v8, v10
	v_add_co_u32 v13, vcc_lo, v14, v13
	v_add_co_ci_u32_e32 v12, vcc_lo, v15, v12, vcc_lo
	v_add_co_u32 v10, vcc_lo, v13, v10
	s_delay_alu instid0(VALU_DEP_2) | instskip(SKIP_1) | instid1(VALU_DEP_2)
	v_add_co_ci_u32_e32 v11, vcc_lo, v12, v11, vcc_lo
	v_dual_mov_b32 v13, v5 :: v_dual_mov_b32 v12, v4
	v_lshrrev_b64 v[14:15], 6, v[10:11]
	v_cmp_lt_u64_e32 vcc_lo, 0xbf, v[10:11]
	v_dual_mov_b32 v11, v1 :: v_dual_mov_b32 v10, v0
	s_delay_alu instid0(VALU_DEP_3) | instskip(NEXT) | instid1(VALU_DEP_1)
	v_add_co_u32 v22, s3, v14, 1
	v_add_co_ci_u32_e64 v15, s3, 0, v15, s3
	s_and_saveexec_b32 s15, vcc_lo
	s_cbranch_execz .LBB69_23
; %bb.20:
	v_lshlrev_b64 v[10:11], 2, v[4:5]
	v_dual_mov_b32 v19, 0 :: v_dual_and_b32 v14, -4, v22
	v_dual_mov_b32 v20, 0 :: v_dual_mov_b32 v21, 0
	v_mov_b32_e32 v18, 0
	s_delay_alu instid0(VALU_DEP_4) | instskip(SKIP_2) | instid1(VALU_DEP_3)
	v_add_co_u32 v12, vcc_lo, v10, s8
	v_add_co_ci_u32_e32 v13, vcc_lo, s9, v11, vcc_lo
	v_dual_mov_b32 v11, v1 :: v_dual_mov_b32 v10, v0
	v_add_co_u32 v16, vcc_lo, 0x200, v12
	s_delay_alu instid0(VALU_DEP_3)
	v_add_co_ci_u32_e32 v17, vcc_lo, 0, v13, vcc_lo
	v_dual_mov_b32 v13, v5 :: v_dual_mov_b32 v12, v4
.LBB69_21:                              ; =>This Inner Loop Header: Depth=1
	s_clause 0x3
	global_load_b32 v39, v[16:17], off offset:-512
	global_load_b32 v40, v[16:17], off offset:-256
	global_load_b32 v41, v[16:17], off
	global_load_b32 v42, v[16:17], off offset:256
	s_clause 0x3
	global_load_b128 v[23:26], v[10:11], off
	global_load_b128 v[27:30], v[10:11], off offset:1024
	global_load_b128 v[31:34], v[10:11], off offset:2048
	global_load_b128 v[35:38], v[10:11], off offset:3072
	s_waitcnt vmcnt(7)
	v_subrev_nc_u32_e32 v39, s12, v39
	s_waitcnt vmcnt(6)
	v_subrev_nc_u32_e32 v40, s12, v40
	;; [unrolled: 2-line block ×4, first 2 shown]
	v_lshlrev_b32_e32 v44, 2, v39
	v_lshlrev_b32_e32 v39, 2, v40
	;; [unrolled: 1-line block ×3, first 2 shown]
	s_delay_alu instid0(VALU_DEP_4)
	v_lshlrev_b32_e32 v42, 2, v42
	s_waitcnt vmcnt(1)
	v_ashrrev_i32_e32 v50, 24, v31
	v_ashrrev_i32_e32 v46, 31, v44
	;; [unrolled: 1-line block ×5, first 2 shown]
	s_waitcnt lgkmcnt(0)
	v_add_co_u32 v45, s5, s6, v44
	v_add_co_u32 v39, vcc_lo, s6, v39
	v_add_co_u32 v41, s3, s6, v40
	v_add_co_ci_u32_e64 v46, s5, s7, v46, s5
	v_add_co_u32 v43, s4, s6, v42
	v_add_co_ci_u32_e32 v40, vcc_lo, s7, v47, vcc_lo
	v_add_co_ci_u32_e64 v42, vcc_lo, s7, v48, s3
	v_add_co_ci_u32_e64 v44, vcc_lo, s7, v49, s4
	s_clause 0x3
	global_load_b32 v45, v[45:46], off
	global_load_b32 v39, v[39:40], off
	;; [unrolled: 1-line block ×4, first 2 shown]
	v_lshrrev_b16 v42, 8, v23
	v_ashrrev_i32_e32 v43, 24, v23
	v_lshrrev_b16 v46, 8, v27
	v_ashrrev_i32_e32 v47, 24, v27
	v_lshrrev_b16 v49, 8, v31
	v_bfe_i32 v51, v31, 16, 8
	v_bfe_i32 v31, v31, 0, 8
	v_bfe_i32 v44, v23, 16, 8
	v_bfe_i32 v23, v23, 0, 8
	v_bfe_i32 v48, v27, 16, 8
	v_bfe_i32 v27, v27, 0, 8
	s_waitcnt vmcnt(4)
	v_lshrrev_b16 v52, 8, v35
	v_ashrrev_i32_e32 v53, 24, v35
	v_bfe_i32 v42, v42, 0, 8
	v_bfe_i32 v46, v46, 0, 8
	;; [unrolled: 1-line block ×3, first 2 shown]
	v_add_co_u32 v10, vcc_lo, 0x1000, v10
	v_bfe_i32 v54, v35, 16, 8
	v_bfe_i32 v35, v35, 0, 8
	;; [unrolled: 1-line block ×3, first 2 shown]
	v_add_co_ci_u32_e32 v11, vcc_lo, 0, v11, vcc_lo
	v_add_co_u32 v12, vcc_lo, 0x100, v12
	v_add_co_ci_u32_e32 v13, vcc_lo, 0, v13, vcc_lo
	v_add_co_u32 v14, vcc_lo, v14, -4
	v_add_co_ci_u32_e32 v15, vcc_lo, -1, v15, vcc_lo
	v_add_co_u32 v16, vcc_lo, 0x400, v16
	v_add_co_ci_u32_e32 v17, vcc_lo, 0, v17, vcc_lo
	s_delay_alu instid0(VALU_DEP_3)
	v_cmp_eq_u64_e32 vcc_lo, 0, v[14:15]
	s_or_b32 s16, vcc_lo, s16
	s_waitcnt vmcnt(3)
	v_lshrrev_b16 v55, 8, v45
	v_ashrrev_i32_e32 v56, 24, v45
	v_dot4_i32_iu8 v21, v45, v24, v21 neg_lo:[1,1,0]
	v_dot4_i32_iu8 v20, v45, v25, v20 neg_lo:[1,1,0]
	s_waitcnt vmcnt(2)
	v_lshrrev_b16 v24, 8, v39
	v_ashrrev_i32_e32 v25, 24, v39
	s_waitcnt vmcnt(1)
	v_lshrrev_b16 v59, 8, v40
	v_ashrrev_i32_e32 v60, 24, v40
	v_bfe_i32 v62, v40, 0, 8
	v_bfe_i32 v57, v45, 16, 8
	;; [unrolled: 1-line block ×3, first 2 shown]
	v_dot4_i32_iu8 v19, v45, v26, v19 neg_lo:[1,1,0]
	v_bfe_i32 v26, v39, 16, 8
	v_bfe_i32 v45, v39, 0, 8
	;; [unrolled: 1-line block ×3, first 2 shown]
	s_waitcnt vmcnt(0)
	v_lshrrev_b16 v63, 8, v41
	v_ashrrev_i32_e32 v64, 24, v41
	v_bfe_i32 v55, v55, 0, 8
	v_mul_i32_i24_e32 v43, v56, v43
	v_bfe_i32 v24, v24, 0, 8
	v_mul_i32_i24_e32 v25, v25, v47
	v_dot4_i32_iu8 v21, v39, v28, v21 neg_lo:[1,1,0]
	v_dot4_i32_iu8 v20, v39, v29, v20 neg_lo:[1,1,0]
	v_bfe_i32 v28, v59, 0, 8
	v_mul_i32_i24_e32 v29, v62, v31
	v_mul_i32_i24_e32 v31, v60, v50
	v_bfe_i32 v65, v41, 16, 8
	v_bfe_i32 v66, v41, 0, 8
	v_mul_i32_i24_e32 v23, v58, v23
	v_mul_i32_i24_e32 v44, v57, v44
	;; [unrolled: 1-line block ×4, first 2 shown]
	v_dot4_i32_iu8 v19, v39, v30, v19 neg_lo:[1,1,0]
	v_mul_i32_i24_e32 v30, v61, v51
	v_bfe_i32 v39, v63, 0, 8
	v_mul_i32_i24_e32 v45, v64, v53
	v_mad_i32_i24 v42, v55, v42, v43
	v_mad_i32_i24 v24, v24, v46, v25
	;; [unrolled: 1-line block ×3, first 2 shown]
	v_mul_i32_i24_e32 v35, v66, v35
	v_mul_i32_i24_e32 v28, v65, v54
	v_mad_i32_i24 v31, v39, v52, v45
	v_add3_u32 v23, v23, v44, v42
	v_add3_u32 v24, v27, v26, v24
	;; [unrolled: 1-line block ×3, first 2 shown]
	v_dot4_i32_iu8 v21, v40, v32, v21 neg_lo:[1,1,0]
	v_dot4_i32_iu8 v20, v40, v33, v20 neg_lo:[1,1,0]
	;; [unrolled: 1-line block ×3, first 2 shown]
	v_add3_u32 v26, v35, v28, v31
	v_add3_u32 v23, v23, v24, v25
	v_dot4_i32_iu8 v21, v41, v36, v21 neg_lo:[1,1,0]
	v_dot4_i32_iu8 v20, v41, v37, v20 neg_lo:[1,1,0]
	;; [unrolled: 1-line block ×3, first 2 shown]
	s_delay_alu instid0(VALU_DEP_4)
	v_add3_u32 v18, v23, v26, v18
	s_and_not1_b32 exec_lo, exec_lo, s16
	s_cbranch_execnz .LBB69_21
; %bb.22:
	s_or_b32 exec_lo, exec_lo, s16
.LBB69_23:
	s_delay_alu instid0(SALU_CYCLE_1) | instskip(SKIP_2) | instid1(VALU_DEP_1)
	s_or_b32 exec_lo, exec_lo, s15
	v_dual_mov_b32 v15, 0 :: v_dual_and_b32 v14, 3, v22
	s_mov_b32 s3, exec_lo
	v_cmpx_ne_u64_e32 0, v[14:15]
	s_cbranch_execz .LBB69_27
; %bb.24:
	v_lshlrev_b64 v[12:13], 2, v[12:13]
	v_lshlrev_b32_e32 v14, 2, v14
	s_mov_b32 s4, 0
	s_delay_alu instid0(VALU_DEP_2) | instskip(NEXT) | instid1(VALU_DEP_3)
	v_add_co_u32 v12, vcc_lo, s8, v12
	v_add_co_ci_u32_e32 v13, vcc_lo, s9, v13, vcc_lo
.LBB69_25:                              ; =>This Inner Loop Header: Depth=1
	global_load_b32 v16, v[12:13], off
	s_waitcnt vmcnt(0)
	v_subrev_nc_u32_e32 v16, s12, v16
	s_delay_alu instid0(VALU_DEP_1) | instskip(NEXT) | instid1(VALU_DEP_1)
	v_lshlrev_b32_e32 v16, 2, v16
	v_ashrrev_i32_e32 v17, 31, v16
	s_waitcnt lgkmcnt(0)
	v_add_co_u32 v16, vcc_lo, s6, v16
	s_delay_alu instid0(VALU_DEP_2)
	v_add_co_ci_u32_e32 v17, vcc_lo, s7, v17, vcc_lo
	global_load_b128 v[22:25], v[10:11], off
	global_load_b32 v16, v[16:17], off
	v_add_co_u32 v10, vcc_lo, 0x400, v10
	v_add_co_ci_u32_e32 v11, vcc_lo, 0, v11, vcc_lo
	v_add_co_u32 v14, vcc_lo, v14, -4
	v_add_co_ci_u32_e32 v15, vcc_lo, -1, v15, vcc_lo
	v_add_co_u32 v12, vcc_lo, 0x100, v12
	v_add_co_ci_u32_e32 v13, vcc_lo, 0, v13, vcc_lo
	s_delay_alu instid0(VALU_DEP_3)
	v_cmp_eq_u64_e32 vcc_lo, 0, v[14:15]
	s_or_b32 s4, vcc_lo, s4
	s_waitcnt vmcnt(1)
	v_lshrrev_b16 v17, 8, v22
	v_ashrrev_i32_e32 v26, 24, v22
	v_bfe_i32 v27, v22, 0, 8
	v_bfe_i32 v22, v22, 16, 8
	s_waitcnt vmcnt(0)
	v_lshrrev_b16 v28, 8, v16
	v_bfe_i32 v29, v16, 16, 8
	v_ashrrev_i32_e32 v30, 24, v16
	v_bfe_i32 v17, v17, 0, 8
	v_bfe_i32 v31, v16, 0, 8
	;; [unrolled: 1-line block ×3, first 2 shown]
	v_mul_i32_i24_e32 v22, v29, v22
	v_mul_i32_i24_e32 v26, v30, v26
	v_dot4_i32_iu8 v21, v16, v23, v21 neg_lo:[1,1,0]
	v_dot4_i32_iu8 v20, v16, v24, v20 neg_lo:[1,1,0]
	;; [unrolled: 1-line block ×3, first 2 shown]
	v_mad_i32_i24 v22, v31, v27, v22
	v_mad_i32_i24 v17, v28, v17, v26
	s_delay_alu instid0(VALU_DEP_1)
	v_add3_u32 v18, v22, v17, v18
	s_and_not1_b32 exec_lo, exec_lo, s4
	s_cbranch_execnz .LBB69_25
; %bb.26:
	s_or_b32 exec_lo, exec_lo, s4
.LBB69_27:
	s_delay_alu instid0(SALU_CYCLE_1)
	s_or_b32 exec_lo, exec_lo, s3
.LBB69_28:
	s_delay_alu instid0(SALU_CYCLE_1) | instskip(NEXT) | instid1(SALU_CYCLE_1)
	s_or_b32 exec_lo, exec_lo, s11
	s_and_not1_b32 vcc_lo, exec_lo, s10
	s_cbranch_vccz .LBB69_30
	s_branch .LBB69_41
.LBB69_29:
                                        ; implicit-def: $vgpr19
                                        ; implicit-def: $vgpr20
                                        ; implicit-def: $vgpr21
                                        ; implicit-def: $vgpr18
.LBB69_30:
	v_dual_mov_b32 v19, 0 :: v_dual_mov_b32 v20, 0
	v_dual_mov_b32 v21, 0 :: v_dual_mov_b32 v18, 0
	s_and_saveexec_b32 s5, s2
	s_cbranch_execz .LBB69_40
; %bb.31:
	v_or_b32_e32 v10, 64, v2
	v_dual_mov_b32 v18, 0 :: v_dual_mov_b32 v21, 0
	v_dual_mov_b32 v20, 0 :: v_dual_mov_b32 v19, 0
	s_delay_alu instid0(VALU_DEP_3) | instskip(NEXT) | instid1(VALU_DEP_1)
	v_sub_co_u32 v10, s2, v10, s12
	v_sub_co_ci_u32_e64 v11, null, 0, 0, s2
	v_sub_co_u32 v12, s2, s12, v2
	s_delay_alu instid0(VALU_DEP_3) | instskip(NEXT) | instid1(VALU_DEP_3)
	v_add_co_u32 v10, vcc_lo, v10, v6
	v_add_co_ci_u32_e32 v11, vcc_lo, v11, v7, vcc_lo
	v_not_b32_e32 v6, v6
	v_not_b32_e32 v7, v7
	v_sub_co_ci_u32_e64 v13, null, 0, 0, s2
	s_delay_alu instid0(VALU_DEP_4) | instskip(SKIP_4) | instid1(VALU_DEP_2)
	v_cmp_gt_i64_e32 vcc_lo, v[10:11], v[8:9]
	s_mov_b32 s11, 0
	v_dual_cndmask_b32 v9, v9, v11 :: v_dual_cndmask_b32 v8, v8, v10
	v_add_co_u32 v6, vcc_lo, v12, v6
	v_add_co_ci_u32_e32 v7, vcc_lo, v13, v7, vcc_lo
	v_add_co_u32 v6, vcc_lo, v6, v8
	s_delay_alu instid0(VALU_DEP_2) | instskip(NEXT) | instid1(VALU_DEP_1)
	v_add_co_ci_u32_e32 v7, vcc_lo, v7, v9, vcc_lo
	v_lshrrev_b64 v[8:9], 6, v[6:7]
	v_cmp_lt_u64_e32 vcc_lo, 0xbf, v[6:7]
	s_delay_alu instid0(VALU_DEP_2) | instskip(NEXT) | instid1(VALU_DEP_1)
	v_add_co_u32 v10, s2, v8, 1
	v_add_co_ci_u32_e64 v7, s2, 0, v9, s2
	s_and_saveexec_b32 s10, vcc_lo
	s_cbranch_execz .LBB69_35
; %bb.32:
	v_lshlrev_b64 v[8:9], 2, v[4:5]
	v_dual_mov_b32 v19, 0 :: v_dual_and_b32 v6, -4, v10
	v_dual_mov_b32 v20, 0 :: v_dual_mov_b32 v21, 0
	v_mov_b32_e32 v18, 0
	s_delay_alu instid0(VALU_DEP_4) | instskip(SKIP_1) | instid1(VALU_DEP_2)
	v_add_co_u32 v8, vcc_lo, v8, s8
	v_add_co_ci_u32_e32 v9, vcc_lo, s9, v9, vcc_lo
	v_add_co_u32 v8, vcc_lo, 0x200, v8
	s_delay_alu instid0(VALU_DEP_2)
	v_add_co_ci_u32_e32 v9, vcc_lo, 0, v9, vcc_lo
.LBB69_33:                              ; =>This Inner Loop Header: Depth=1
	s_clause 0x3
	global_load_b32 v15, v[8:9], off offset:-512
	global_load_b32 v16, v[8:9], off offset:-256
	global_load_b32 v17, v[8:9], off
	global_load_b32 v34, v[8:9], off offset:256
	s_clause 0x3
	global_load_b128 v[11:14], v[0:1], off
	global_load_b128 v[22:25], v[0:1], off offset:1024
	global_load_b128 v[26:29], v[0:1], off offset:2048
	;; [unrolled: 1-line block ×3, first 2 shown]
	s_waitcnt vmcnt(7)
	v_subrev_nc_u32_e32 v15, s12, v15
	s_waitcnt vmcnt(6)
	v_subrev_nc_u32_e32 v16, s12, v16
	;; [unrolled: 2-line block ×4, first 2 shown]
	v_lshlrev_b32_e32 v35, 2, v15
	v_lshlrev_b32_e32 v15, 2, v16
	;; [unrolled: 1-line block ×3, first 2 shown]
	s_delay_alu instid0(VALU_DEP_4)
	v_lshlrev_b32_e32 v17, 2, v34
	s_waitcnt vmcnt(2)
	v_perm_b32 v42, v25, v24, 0x5010c0c
	v_ashrrev_i32_e32 v38, 31, v35
	s_waitcnt lgkmcnt(0)
	v_add_co_u32 v37, s4, s6, v35
	v_ashrrev_i32_e32 v39, 31, v15
	v_add_co_u32 v15, vcc_lo, s6, v15
	v_add_co_ci_u32_e64 v38, s4, s7, v38, s4
	v_ashrrev_i32_e32 v40, 31, v16
	v_add_co_u32 v34, s2, s6, v16
	v_ashrrev_i32_e32 v41, 31, v17
	v_add_co_u32 v36, s3, s6, v17
	v_add_co_ci_u32_e32 v16, vcc_lo, s7, v39, vcc_lo
	global_load_b32 v17, v[37:38], off
	v_add_co_ci_u32_e64 v35, vcc_lo, s7, v40, s2
	global_load_b32 v15, v[15:16], off
	v_add_co_ci_u32_e64 v37, vcc_lo, s7, v41, s3
	s_clause 0x1
	global_load_b32 v16, v[34:35], off
	global_load_b32 v34, v[36:37], off
	v_perm_b32 v35, v12, v11, 0xc0c0400
	v_perm_b32 v36, v14, v13, 0x4000c0c
	;; [unrolled: 1-line block ×15, first 2 shown]
	s_waitcnt vmcnt(5)
	v_perm_b32 v24, v27, v26, 0xc0c0400
	v_perm_b32 v25, v29, v28, 0x4000c0c
	;; [unrolled: 1-line block ×8, first 2 shown]
	s_waitcnt vmcnt(4)
	v_perm_b32 v28, v31, v30, 0xc0c0400
	v_perm_b32 v29, v33, v32, 0x4000c0c
	;; [unrolled: 1-line block ×8, first 2 shown]
	v_or_b32_e32 v32, v36, v35
	v_or_b32_e32 v33, v38, v37
	;; [unrolled: 1-line block ×4, first 2 shown]
	v_add_co_u32 v0, vcc_lo, 0x1000, v0
	v_or_b32_e32 v12, v14, v13
	v_or_b32_e32 v13, v42, v41
	;; [unrolled: 1-line block ×4, first 2 shown]
	v_add_co_ci_u32_e32 v1, vcc_lo, 0, v1, vcc_lo
	v_add_co_u32 v4, vcc_lo, 0x100, v4
	v_add_co_ci_u32_e32 v5, vcc_lo, 0, v5, vcc_lo
	v_add_co_u32 v6, vcc_lo, v6, -4
	v_or_b32_e32 v23, v25, v24
	v_or_b32_e32 v24, v46, v45
	;; [unrolled: 1-line block ×4, first 2 shown]
	v_add_co_ci_u32_e32 v7, vcc_lo, -1, v7, vcc_lo
	v_add_co_u32 v8, vcc_lo, 0x400, v8
	v_or_b32_e32 v27, v29, v28
	v_or_b32_e32 v28, v50, v49
	v_add_co_ci_u32_e32 v9, vcc_lo, 0, v9, vcc_lo
	v_cmp_eq_u64_e32 vcc_lo, 0, v[6:7]
	s_or_b32 s11, vcc_lo, s11
	s_waitcnt vmcnt(3)
	v_dot4_i32_iu8 v18, v17, v32, v18 neg_lo:[1,1,0]
	v_dot4_i32_iu8 v21, v33, v17, v21 neg_lo:[1,1,0]
	;; [unrolled: 1-line block ×4, first 2 shown]
	v_or_b32_e32 v17, v52, v51
	s_waitcnt vmcnt(2)
	v_dot4_i32_iu8 v12, v15, v12, v18 neg_lo:[1,1,0]
	v_dot4_i32_iu8 v13, v13, v15, v21 neg_lo:[1,1,0]
	;; [unrolled: 1-line block ×4, first 2 shown]
	v_or_b32_e32 v15, v31, v30
	s_waitcnt vmcnt(1)
	v_dot4_i32_iu8 v12, v16, v23, v12 neg_lo:[1,1,0]
	v_dot4_i32_iu8 v13, v24, v16, v13 neg_lo:[1,1,0]
	;; [unrolled: 1-line block ×4, first 2 shown]
	s_waitcnt vmcnt(0)
	v_dot4_i32_iu8 v18, v34, v27, v12 neg_lo:[1,1,0]
	v_dot4_i32_iu8 v21, v28, v34, v13 neg_lo:[1,1,0]
	;; [unrolled: 1-line block ×4, first 2 shown]
	s_and_not1_b32 exec_lo, exec_lo, s11
	s_cbranch_execnz .LBB69_33
; %bb.34:
	s_or_b32 exec_lo, exec_lo, s11
.LBB69_35:
	s_delay_alu instid0(SALU_CYCLE_1) | instskip(SKIP_2) | instid1(VALU_DEP_1)
	s_or_b32 exec_lo, exec_lo, s10
	v_dual_mov_b32 v7, 0 :: v_dual_and_b32 v6, 3, v10
	s_mov_b32 s2, exec_lo
	v_cmpx_ne_u64_e32 0, v[6:7]
	s_cbranch_execz .LBB69_39
; %bb.36:
	v_lshlrev_b64 v[4:5], 2, v[4:5]
	v_lshlrev_b32_e32 v6, 2, v6
	s_mov_b32 s3, 0
	s_delay_alu instid0(VALU_DEP_2) | instskip(NEXT) | instid1(VALU_DEP_3)
	v_add_co_u32 v4, vcc_lo, s8, v4
	v_add_co_ci_u32_e32 v5, vcc_lo, s9, v5, vcc_lo
.LBB69_37:                              ; =>This Inner Loop Header: Depth=1
	global_load_b32 v8, v[4:5], off
	s_waitcnt vmcnt(0)
	v_subrev_nc_u32_e32 v8, s12, v8
	s_delay_alu instid0(VALU_DEP_1) | instskip(SKIP_4) | instid1(VALU_DEP_2)
	v_lshlrev_b32_e32 v12, 2, v8
	global_load_b128 v[8:11], v[0:1], off
	v_ashrrev_i32_e32 v13, 31, v12
	s_waitcnt lgkmcnt(0)
	v_add_co_u32 v12, vcc_lo, s6, v12
	v_add_co_ci_u32_e32 v13, vcc_lo, s7, v13, vcc_lo
	v_add_co_u32 v0, vcc_lo, 0x400, v0
	v_add_co_ci_u32_e32 v1, vcc_lo, 0, v1, vcc_lo
	global_load_b32 v12, v[12:13], off
	v_add_co_u32 v4, vcc_lo, 0x100, v4
	v_add_co_ci_u32_e32 v5, vcc_lo, 0, v5, vcc_lo
	v_add_co_u32 v6, vcc_lo, v6, -4
	v_add_co_ci_u32_e32 v7, vcc_lo, -1, v7, vcc_lo
	s_delay_alu instid0(VALU_DEP_1)
	v_cmp_eq_u64_e32 vcc_lo, 0, v[6:7]
	s_or_b32 s3, vcc_lo, s3
	s_waitcnt vmcnt(1)
	v_perm_b32 v13, v9, v8, 0xc0c0400
	v_perm_b32 v14, v11, v10, 0x4000c0c
	;; [unrolled: 1-line block ×8, first 2 shown]
	v_or_b32_e32 v10, v14, v13
	v_or_b32_e32 v11, v16, v15
	;; [unrolled: 1-line block ×3, first 2 shown]
	s_delay_alu instid0(VALU_DEP_4)
	v_or_b32_e32 v8, v9, v8
	s_waitcnt vmcnt(0)
	v_dot4_i32_iu8 v18, v12, v10, v18 neg_lo:[1,1,0]
	v_dot4_i32_iu8 v21, v11, v12, v21 neg_lo:[1,1,0]
	;; [unrolled: 1-line block ×4, first 2 shown]
	s_and_not1_b32 exec_lo, exec_lo, s3
	s_cbranch_execnz .LBB69_37
; %bb.38:
	s_or_b32 exec_lo, exec_lo, s3
.LBB69_39:
	s_delay_alu instid0(SALU_CYCLE_1)
	s_or_b32 exec_lo, exec_lo, s2
.LBB69_40:
	s_delay_alu instid0(SALU_CYCLE_1)
	s_or_b32 exec_lo, exec_lo, s5
.LBB69_41:
	v_mbcnt_lo_u32_b32 v0, -1, 0
	s_mov_b32 s2, -1
	s_delay_alu instid0(VALU_DEP_1) | instskip(SKIP_2) | instid1(VALU_DEP_3)
	v_or_b32_e32 v1, 32, v0
	v_xor_b32_e32 v7, 16, v0
	v_xor_b32_e32 v11, 8, v0
	v_cmp_gt_i32_e32 vcc_lo, 32, v1
	v_cndmask_b32_e32 v1, v0, v1, vcc_lo
	s_delay_alu instid0(VALU_DEP_4) | instskip(NEXT) | instid1(VALU_DEP_2)
	v_cmp_gt_i32_e32 vcc_lo, 32, v7
	v_lshlrev_b32_e32 v1, 2, v1
	ds_bpermute_b32 v6, v1, v20
	ds_bpermute_b32 v4, v1, v18
	;; [unrolled: 1-line block ×4, first 2 shown]
	s_waitcnt lgkmcnt(0)
	v_dual_cndmask_b32 v7, v0, v7 :: v_dual_add_nc_u32 v6, v6, v20
	v_add_nc_u32_e32 v4, v4, v18
	v_add_nc_u32_e32 v5, v5, v21
	;; [unrolled: 1-line block ×3, first 2 shown]
	v_cmp_gt_i32_e32 vcc_lo, 32, v11
	v_lshlrev_b32_e32 v7, 2, v7
	ds_bpermute_b32 v8, v7, v4
	ds_bpermute_b32 v9, v7, v5
	;; [unrolled: 1-line block ×4, first 2 shown]
	s_waitcnt lgkmcnt(3)
	v_add_nc_u32_e32 v4, v8, v4
	v_cndmask_b32_e32 v11, v0, v11, vcc_lo
	s_waitcnt lgkmcnt(2)
	v_add_nc_u32_e32 v5, v9, v5
	s_waitcnt lgkmcnt(1)
	v_add_nc_u32_e32 v6, v10, v6
	;; [unrolled: 2-line block ×3, first 2 shown]
	v_lshlrev_b32_e32 v11, 2, v11
	ds_bpermute_b32 v7, v11, v4
	ds_bpermute_b32 v8, v11, v5
	;; [unrolled: 1-line block ×4, first 2 shown]
	v_xor_b32_e32 v11, 4, v0
	s_delay_alu instid0(VALU_DEP_1)
	v_cmp_gt_i32_e32 vcc_lo, 32, v11
	s_waitcnt lgkmcnt(3)
	v_dual_cndmask_b32 v11, v0, v11 :: v_dual_add_nc_u32 v4, v7, v4
	s_waitcnt lgkmcnt(2)
	v_add_nc_u32_e32 v5, v8, v5
	s_waitcnt lgkmcnt(1)
	v_add_nc_u32_e32 v6, v9, v6
	v_lshlrev_b32_e32 v11, 2, v11
	s_waitcnt lgkmcnt(0)
	v_add_nc_u32_e32 v1, v10, v1
	ds_bpermute_b32 v7, v11, v4
	ds_bpermute_b32 v8, v11, v5
	;; [unrolled: 1-line block ×4, first 2 shown]
	v_xor_b32_e32 v11, 2, v0
	s_delay_alu instid0(VALU_DEP_1) | instskip(SKIP_2) | instid1(VALU_DEP_1)
	v_cmp_gt_i32_e32 vcc_lo, 32, v11
	s_waitcnt lgkmcnt(3)
	v_dual_cndmask_b32 v11, v0, v11 :: v_dual_add_nc_u32 v4, v7, v4
	v_lshlrev_b32_e32 v11, 2, v11
	s_waitcnt lgkmcnt(2)
	v_add_nc_u32_e32 v5, v8, v5
	s_waitcnt lgkmcnt(1)
	v_add_nc_u32_e32 v6, v9, v6
	;; [unrolled: 2-line block ×3, first 2 shown]
	ds_bpermute_b32 v1, v11, v4
	ds_bpermute_b32 v8, v11, v5
	;; [unrolled: 1-line block ×4, first 2 shown]
	v_xor_b32_e32 v11, 1, v0
	s_delay_alu instid0(VALU_DEP_1) | instskip(SKIP_2) | instid1(VALU_DEP_2)
	v_cmp_gt_i32_e32 vcc_lo, 32, v11
	v_cndmask_b32_e32 v0, v0, v11, vcc_lo
	v_cmp_eq_u32_e32 vcc_lo, 63, v2
	v_lshlrev_b32_e32 v11, 2, v0
	s_waitcnt lgkmcnt(3)
	v_add_nc_u32_e32 v0, v1, v4
	s_waitcnt lgkmcnt(2)
	v_add_nc_u32_e32 v1, v8, v5
	;; [unrolled: 2-line block ×4, first 2 shown]
	ds_bpermute_b32 v6, v11, v0
	ds_bpermute_b32 v7, v11, v1
	;; [unrolled: 1-line block ×4, first 2 shown]
	s_and_b32 exec_lo, exec_lo, vcc_lo
	s_cbranch_execz .LBB69_14
; %bb.42:
	s_load_b64 s[0:1], s[0:1], 0x50
	s_waitcnt lgkmcnt(0)
	v_add_nc_u32_e32 v0, v6, v0
	v_add_nc_u32_e32 v1, v7, v1
	;; [unrolled: 1-line block ×4, first 2 shown]
	v_lshlrev_b32_e32 v5, 2, v3
	v_mul_lo_u32 v0, v0, s13
	v_mul_lo_u32 v1, v1, s13
	v_mul_lo_u32 v2, v2, s13
	v_mul_lo_u32 v4, v4, s13
	s_cmp_eq_u32 s14, 0
	s_cbranch_scc1 .LBB69_44
; %bb.43:
	v_ashrrev_i32_e32 v6, 31, v5
	s_mov_b32 s2, 0
	s_delay_alu instid0(VALU_DEP_1) | instskip(NEXT) | instid1(VALU_DEP_1)
	v_lshlrev_b64 v[6:7], 2, v[5:6]
	v_add_co_u32 v13, vcc_lo, s0, v6
	s_delay_alu instid0(VALU_DEP_2)
	v_add_co_ci_u32_e32 v14, vcc_lo, s1, v7, vcc_lo
	global_load_b128 v[6:9], v[13:14], off
	s_waitcnt vmcnt(0)
	v_mad_u64_u32 v[15:16], null, v9, s14, v[4:5]
	v_mad_u64_u32 v[9:10], null, v6, s14, v[0:1]
	;; [unrolled: 1-line block ×4, first 2 shown]
	s_delay_alu instid0(VALU_DEP_4)
	v_mov_b32_e32 v12, v15
	global_store_b128 v[13:14], v[9:12], off
.LBB69_44:
	s_and_not1_b32 vcc_lo, exec_lo, s2
	s_cbranch_vccnz .LBB69_14
; %bb.45:
	v_ashrrev_i32_e32 v6, 31, v5
	s_delay_alu instid0(VALU_DEP_2) | instskip(NEXT) | instid1(VALU_DEP_2)
	v_mov_b32_e32 v3, v4
	v_lshlrev_b64 v[5:6], 2, v[5:6]
	s_delay_alu instid0(VALU_DEP_1) | instskip(NEXT) | instid1(VALU_DEP_2)
	v_add_co_u32 v5, vcc_lo, s0, v5
	v_add_co_ci_u32_e32 v6, vcc_lo, s1, v6, vcc_lo
	global_store_b128 v[5:6], v[0:3], off
	s_nop 0
	s_sendmsg sendmsg(MSG_DEALLOC_VGPRS)
	s_endpgm
	.section	.rodata,"a",@progbits
	.p2align	6, 0x0
	.amdhsa_kernel _ZN9rocsparseL18bsrxmvn_4x4_kernelILj128ELj64EiliaaiEEvT3_20rocsparse_direction_NS_24const_host_device_scalarIT1_EES1_PKS1_PKT2_SA_S7_PKT4_PKT5_S5_PT6_21rocsparse_index_base_b
		.amdhsa_group_segment_fixed_size 0
		.amdhsa_private_segment_fixed_size 0
		.amdhsa_kernarg_size 96
		.amdhsa_user_sgpr_count 15
		.amdhsa_user_sgpr_dispatch_ptr 0
		.amdhsa_user_sgpr_queue_ptr 0
		.amdhsa_user_sgpr_kernarg_segment_ptr 1
		.amdhsa_user_sgpr_dispatch_id 0
		.amdhsa_user_sgpr_private_segment_size 0
		.amdhsa_wavefront_size32 1
		.amdhsa_uses_dynamic_stack 0
		.amdhsa_enable_private_segment 0
		.amdhsa_system_sgpr_workgroup_id_x 1
		.amdhsa_system_sgpr_workgroup_id_y 0
		.amdhsa_system_sgpr_workgroup_id_z 0
		.amdhsa_system_sgpr_workgroup_info 0
		.amdhsa_system_vgpr_workitem_id 0
		.amdhsa_next_free_vgpr 67
		.amdhsa_next_free_sgpr 17
		.amdhsa_reserve_vcc 1
		.amdhsa_float_round_mode_32 0
		.amdhsa_float_round_mode_16_64 0
		.amdhsa_float_denorm_mode_32 3
		.amdhsa_float_denorm_mode_16_64 3
		.amdhsa_dx10_clamp 1
		.amdhsa_ieee_mode 1
		.amdhsa_fp16_overflow 0
		.amdhsa_workgroup_processor_mode 1
		.amdhsa_memory_ordered 1
		.amdhsa_forward_progress 0
		.amdhsa_shared_vgpr_count 0
		.amdhsa_exception_fp_ieee_invalid_op 0
		.amdhsa_exception_fp_denorm_src 0
		.amdhsa_exception_fp_ieee_div_zero 0
		.amdhsa_exception_fp_ieee_overflow 0
		.amdhsa_exception_fp_ieee_underflow 0
		.amdhsa_exception_fp_ieee_inexact 0
		.amdhsa_exception_int_div_zero 0
	.end_amdhsa_kernel
	.section	.text._ZN9rocsparseL18bsrxmvn_4x4_kernelILj128ELj64EiliaaiEEvT3_20rocsparse_direction_NS_24const_host_device_scalarIT1_EES1_PKS1_PKT2_SA_S7_PKT4_PKT5_S5_PT6_21rocsparse_index_base_b,"axG",@progbits,_ZN9rocsparseL18bsrxmvn_4x4_kernelILj128ELj64EiliaaiEEvT3_20rocsparse_direction_NS_24const_host_device_scalarIT1_EES1_PKS1_PKT2_SA_S7_PKT4_PKT5_S5_PT6_21rocsparse_index_base_b,comdat
.Lfunc_end69:
	.size	_ZN9rocsparseL18bsrxmvn_4x4_kernelILj128ELj64EiliaaiEEvT3_20rocsparse_direction_NS_24const_host_device_scalarIT1_EES1_PKS1_PKT2_SA_S7_PKT4_PKT5_S5_PT6_21rocsparse_index_base_b, .Lfunc_end69-_ZN9rocsparseL18bsrxmvn_4x4_kernelILj128ELj64EiliaaiEEvT3_20rocsparse_direction_NS_24const_host_device_scalarIT1_EES1_PKS1_PKT2_SA_S7_PKT4_PKT5_S5_PT6_21rocsparse_index_base_b
                                        ; -- End function
	.section	.AMDGPU.csdata,"",@progbits
; Kernel info:
; codeLenInByte = 4384
; NumSgprs: 19
; NumVgprs: 67
; ScratchSize: 0
; MemoryBound: 0
; FloatMode: 240
; IeeeMode: 1
; LDSByteSize: 0 bytes/workgroup (compile time only)
; SGPRBlocks: 2
; VGPRBlocks: 8
; NumSGPRsForWavesPerEU: 19
; NumVGPRsForWavesPerEU: 67
; Occupancy: 16
; WaveLimiterHint : 1
; COMPUTE_PGM_RSRC2:SCRATCH_EN: 0
; COMPUTE_PGM_RSRC2:USER_SGPR: 15
; COMPUTE_PGM_RSRC2:TRAP_HANDLER: 0
; COMPUTE_PGM_RSRC2:TGID_X_EN: 1
; COMPUTE_PGM_RSRC2:TGID_Y_EN: 0
; COMPUTE_PGM_RSRC2:TGID_Z_EN: 0
; COMPUTE_PGM_RSRC2:TIDIG_COMP_CNT: 0
	.section	.text._ZN9rocsparseL18bsrxmvn_4x4_kernelILj128ELj4EillaaiEEvT3_20rocsparse_direction_NS_24const_host_device_scalarIT1_EES1_PKS1_PKT2_SA_S7_PKT4_PKT5_S5_PT6_21rocsparse_index_base_b,"axG",@progbits,_ZN9rocsparseL18bsrxmvn_4x4_kernelILj128ELj4EillaaiEEvT3_20rocsparse_direction_NS_24const_host_device_scalarIT1_EES1_PKS1_PKT2_SA_S7_PKT4_PKT5_S5_PT6_21rocsparse_index_base_b,comdat
	.globl	_ZN9rocsparseL18bsrxmvn_4x4_kernelILj128ELj4EillaaiEEvT3_20rocsparse_direction_NS_24const_host_device_scalarIT1_EES1_PKS1_PKT2_SA_S7_PKT4_PKT5_S5_PT6_21rocsparse_index_base_b ; -- Begin function _ZN9rocsparseL18bsrxmvn_4x4_kernelILj128ELj4EillaaiEEvT3_20rocsparse_direction_NS_24const_host_device_scalarIT1_EES1_PKS1_PKT2_SA_S7_PKT4_PKT5_S5_PT6_21rocsparse_index_base_b
	.p2align	8
	.type	_ZN9rocsparseL18bsrxmvn_4x4_kernelILj128ELj4EillaaiEEvT3_20rocsparse_direction_NS_24const_host_device_scalarIT1_EES1_PKS1_PKT2_SA_S7_PKT4_PKT5_S5_PT6_21rocsparse_index_base_b,@function
_ZN9rocsparseL18bsrxmvn_4x4_kernelILj128ELj4EillaaiEEvT3_20rocsparse_direction_NS_24const_host_device_scalarIT1_EES1_PKS1_PKT2_SA_S7_PKT4_PKT5_S5_PT6_21rocsparse_index_base_b: ; @_ZN9rocsparseL18bsrxmvn_4x4_kernelILj128ELj4EillaaiEEvT3_20rocsparse_direction_NS_24const_host_device_scalarIT1_EES1_PKS1_PKT2_SA_S7_PKT4_PKT5_S5_PT6_21rocsparse_index_base_b
; %bb.0:
	s_clause 0x1
	s_load_b64 s[12:13], s[0:1], 0x60
	s_load_b128 s[4:7], s[0:1], 0x10
	s_mov_b32 s9, -1
	s_waitcnt lgkmcnt(0)
	s_bitcmp1_b32 s13, 0
                                        ; implicit-def: $sgpr13
	s_cselect_b32 s2, -1, 0
	s_delay_alu instid0(SALU_CYCLE_1) | instskip(NEXT) | instid1(SALU_CYCLE_1)
	s_xor_b32 s8, s2, -1
	s_and_b32 vcc_lo, exec_lo, s8
	s_cbranch_vccnz .LBB70_4
; %bb.1:
	s_load_b64 s[2:3], s[0:1], 0x50
	s_and_not1_b32 vcc_lo, exec_lo, s9
	s_cbranch_vccz .LBB70_5
.LBB70_2:
	s_and_b32 vcc_lo, exec_lo, s8
	s_cbranch_vccz .LBB70_6
.LBB70_3:
	s_waitcnt lgkmcnt(0)
	s_load_b32 s16, s[2:3], 0x0
	s_cbranch_execz .LBB70_7
	s_branch .LBB70_8
.LBB70_4:
	s_load_b32 s13, s[4:5], 0x0
	s_load_b64 s[2:3], s[0:1], 0x50
	s_cbranch_execnz .LBB70_2
.LBB70_5:
	s_waitcnt lgkmcnt(0)
	s_mov_b32 s13, s4
	s_and_b32 vcc_lo, exec_lo, s8
	s_cbranch_vccnz .LBB70_3
.LBB70_6:
	s_waitcnt lgkmcnt(0)
                                        ; implicit-def: $sgpr16
.LBB70_7:
	s_waitcnt lgkmcnt(0)
	s_mov_b32 s16, s2
.LBB70_8:
	s_cmp_lg_u32 s13, 0
	s_mov_b32 s4, 0
	s_cselect_b32 s2, -1, 0
	s_waitcnt lgkmcnt(0)
	s_cmp_lg_u32 s16, 1
	s_cselect_b32 s3, -1, 0
	s_delay_alu instid0(SALU_CYCLE_1) | instskip(NEXT) | instid1(SALU_CYCLE_1)
	s_or_b32 s2, s2, s3
	s_and_not1_b32 vcc_lo, exec_lo, s2
	s_cbranch_vccnz .LBB70_14
; %bb.9:
	s_load_b64 s[2:3], s[0:1], 0x20
	v_lshrrev_b32_e32 v1, 2, v0
	v_mov_b32_e32 v2, 0
	s_delay_alu instid0(VALU_DEP_2)
	v_lshl_or_b32 v1, s15, 5, v1
	s_waitcnt lgkmcnt(0)
	s_cmp_lg_u64 s[2:3], 0
	s_cbranch_scc0 .LBB70_15
; %bb.10:
	s_delay_alu instid0(VALU_DEP_1) | instskip(SKIP_2) | instid1(SALU_CYCLE_1)
	v_cmp_gt_i64_e32 vcc_lo, s[6:7], v[1:2]
	s_mov_b32 s5, 0
                                        ; implicit-def: $vgpr3_vgpr4
	s_and_saveexec_b32 s6, vcc_lo
	s_xor_b32 s6, exec_lo, s6
                                        ; implicit-def: $sgpr14_sgpr15
	s_cbranch_execz .LBB70_12
; %bb.11:
	v_lshlrev_b64 v[3:4], 3, v[1:2]
	s_mov_b32 s4, exec_lo
	s_mov_b32 s15, 0
	s_delay_alu instid0(VALU_DEP_1) | instskip(NEXT) | instid1(VALU_DEP_2)
	v_add_co_u32 v3, vcc_lo, s2, v3
	v_add_co_ci_u32_e32 v4, vcc_lo, s3, v4, vcc_lo
	global_load_b64 v[3:4], v[3:4], off
	s_waitcnt vmcnt(0)
	v_sub_co_u32 v3, vcc_lo, v3, s12
	v_subrev_co_ci_u32_e32 v4, vcc_lo, 0, v4, vcc_lo
.LBB70_12:
	s_or_b32 exec_lo, exec_lo, s6
	s_delay_alu instid0(SALU_CYCLE_1)
	s_and_b32 vcc_lo, exec_lo, s5
	s_cbranch_vccnz .LBB70_16
.LBB70_13:
	s_and_saveexec_b32 s2, s4
	s_cbranch_execnz .LBB70_19
.LBB70_14:
	s_nop 0
	s_sendmsg sendmsg(MSG_DEALLOC_VGPRS)
	s_endpgm
.LBB70_15:
                                        ; implicit-def: $vgpr3_vgpr4
                                        ; implicit-def: $sgpr14_sgpr15
	s_cbranch_execz .LBB70_13
.LBB70_16:
	s_load_b64 s[2:3], s[0:1], 0x0
                                        ; implicit-def: $vgpr3_vgpr4
	s_waitcnt lgkmcnt(0)
	v_cmp_gt_i64_e32 vcc_lo, s[2:3], v[1:2]
	s_and_saveexec_b32 s2, vcc_lo
                                        ; implicit-def: $sgpr14_sgpr15
; %bb.17:
	v_dual_mov_b32 v4, v2 :: v_dual_mov_b32 v3, v1
	s_mov_b32 s15, 0
	s_or_b32 s4, s4, exec_lo
; %bb.18:
	s_or_b32 exec_lo, exec_lo, s2
	s_and_saveexec_b32 s2, s4
	s_cbranch_execz .LBB70_14
.LBB70_19:
	s_load_b256 s[4:11], s[0:1], 0x28
	v_lshlrev_b64 v[1:2], 3, v[3:4]
	s_load_b32 s3, s[0:1], 0x8
	v_mov_b32_e32 v20, 0
	s_waitcnt lgkmcnt(0)
	s_delay_alu instid0(VALU_DEP_2) | instskip(NEXT) | instid1(VALU_DEP_3)
	v_add_co_u32 v5, vcc_lo, s4, v1
	v_add_co_ci_u32_e32 v6, vcc_lo, s5, v2, vcc_lo
	v_add_co_u32 v1, vcc_lo, s6, v1
	v_add_co_ci_u32_e32 v2, vcc_lo, s7, v2, vcc_lo
	s_delay_alu instid0(VALU_DEP_4)
	v_add_co_u32 v9, vcc_lo, v5, 8
	global_load_b64 v[7:8], v[5:6], off
	v_add_co_ci_u32_e32 v10, vcc_lo, 0, v6, vcc_lo
	s_cmp_eq_u64 s[6:7], 0
	s_load_b64 s[4:5], s[0:1], 0x48
	s_cselect_b32 vcc_lo, -1, 0
	s_cmp_eq_u32 s3, 1
	v_dual_cndmask_b32 v2, v2, v10 :: v_dual_cndmask_b32 v1, v1, v9
	global_load_b64 v[9:10], v[1:2], off
	v_and_b32_e32 v2, 3, v0
	s_waitcnt vmcnt(1)
	v_sub_co_u32 v0, vcc_lo, v7, s12
	v_subrev_co_ci_u32_e32 v1, vcc_lo, s15, v8, vcc_lo
	s_delay_alu instid0(VALU_DEP_2) | instskip(NEXT) | instid1(VALU_DEP_2)
	v_add_co_u32 v5, vcc_lo, v0, v2
	v_add_co_ci_u32_e32 v6, vcc_lo, 0, v1, vcc_lo
	s_delay_alu instid0(VALU_DEP_1) | instskip(SKIP_3) | instid1(VALU_DEP_3)
	v_lshlrev_b64 v[0:1], 4, v[5:6]
	s_waitcnt vmcnt(0)
	v_sub_co_u32 v9, vcc_lo, v9, s12
	v_subrev_co_ci_u32_e32 v10, vcc_lo, s15, v10, vcc_lo
	v_add_co_u32 v0, vcc_lo, s10, v0
	s_delay_alu instid0(VALU_DEP_2)
	v_cmp_lt_i64_e64 s2, v[5:6], v[9:10]
	v_add_co_ci_u32_e32 v1, vcc_lo, s11, v1, vcc_lo
	s_cbranch_scc1 .LBB70_31
; %bb.20:
	v_dual_mov_b32 v21, 0 :: v_dual_mov_b32 v22, 0
	v_mov_b32_e32 v19, 0
	s_mov_b32 s6, 0
	s_and_saveexec_b32 s7, s2
	s_cbranch_execz .LBB70_30
; %bb.21:
	v_or_b32_e32 v11, 4, v2
	v_not_b32_e32 v14, v7
	v_not_b32_e32 v13, v8
	v_dual_mov_b32 v19, 0 :: v_dual_mov_b32 v22, 0
	s_delay_alu instid0(VALU_DEP_4) | instskip(NEXT) | instid1(VALU_DEP_1)
	v_sub_co_u32 v11, s3, v11, s12
	v_sub_co_ci_u32_e64 v12, null, 0, s15, s3
	v_sub_co_u32 v15, s3, s12, v2
	s_delay_alu instid0(VALU_DEP_3) | instskip(NEXT) | instid1(VALU_DEP_3)
	v_add_co_u32 v11, vcc_lo, v11, v7
	v_add_co_ci_u32_e32 v12, vcc_lo, v12, v8, vcc_lo
	v_sub_co_ci_u32_e64 v16, null, s15, 0, s3
	v_dual_mov_b32 v21, 0 :: v_dual_mov_b32 v20, 0
	s_delay_alu instid0(VALU_DEP_3) | instskip(SKIP_4) | instid1(VALU_DEP_2)
	v_cmp_gt_i64_e32 vcc_lo, v[11:12], v[9:10]
	s_mov_b32 s10, 0
	v_dual_cndmask_b32 v12, v10, v12 :: v_dual_cndmask_b32 v11, v9, v11
	v_add_co_u32 v14, vcc_lo, v15, v14
	v_add_co_ci_u32_e32 v13, vcc_lo, v16, v13, vcc_lo
	v_add_co_u32 v11, vcc_lo, v14, v11
	s_delay_alu instid0(VALU_DEP_2) | instskip(SKIP_1) | instid1(VALU_DEP_2)
	v_add_co_ci_u32_e32 v12, vcc_lo, v13, v12, vcc_lo
	v_dual_mov_b32 v14, v6 :: v_dual_mov_b32 v13, v5
	v_lshrrev_b64 v[15:16], 2, v[11:12]
	v_cmp_lt_u64_e32 vcc_lo, 11, v[11:12]
	v_dual_mov_b32 v12, v1 :: v_dual_mov_b32 v11, v0
	s_delay_alu instid0(VALU_DEP_3) | instskip(NEXT) | instid1(VALU_DEP_1)
	v_add_co_u32 v23, s3, v15, 1
	v_add_co_ci_u32_e64 v16, s3, 0, v16, s3
	s_and_saveexec_b32 s3, vcc_lo
	s_cbranch_execz .LBB70_25
; %bb.22:
	v_lshlrev_b64 v[11:12], 3, v[5:6]
	v_dual_mov_b32 v20, 0 :: v_dual_and_b32 v15, -4, v23
	v_dual_mov_b32 v21, 0 :: v_dual_mov_b32 v22, 0
	v_mov_b32_e32 v19, 0
	s_delay_alu instid0(VALU_DEP_4) | instskip(SKIP_2) | instid1(VALU_DEP_3)
	v_add_co_u32 v13, vcc_lo, v11, s8
	v_add_co_ci_u32_e32 v14, vcc_lo, s9, v12, vcc_lo
	v_dual_mov_b32 v12, v1 :: v_dual_mov_b32 v11, v0
	v_add_co_u32 v17, vcc_lo, v13, 64
	s_delay_alu instid0(VALU_DEP_3)
	v_add_co_ci_u32_e32 v18, vcc_lo, 0, v14, vcc_lo
	v_dual_mov_b32 v14, v6 :: v_dual_mov_b32 v13, v5
.LBB70_23:                              ; =>This Inner Loop Header: Depth=1
	s_clause 0x3
	global_load_b64 v[40:41], v[17:18], off offset:-64
	global_load_b64 v[42:43], v[17:18], off offset:-32
	global_load_b64 v[44:45], v[17:18], off
	global_load_b64 v[46:47], v[17:18], off offset:32
	s_clause 0x3
	global_load_b128 v[24:27], v[11:12], off
	global_load_b128 v[28:31], v[11:12], off offset:64
	global_load_b128 v[32:35], v[11:12], off offset:128
	;; [unrolled: 1-line block ×3, first 2 shown]
	s_waitcnt vmcnt(7)
	v_sub_co_u32 v40, vcc_lo, v40, s12
	v_subrev_co_ci_u32_e32 v41, vcc_lo, s15, v41, vcc_lo
	s_waitcnt vmcnt(6)
	v_sub_co_u32 v42, vcc_lo, v42, s12
	v_subrev_co_ci_u32_e32 v43, vcc_lo, s15, v43, vcc_lo
	s_waitcnt vmcnt(5)
	v_sub_co_u32 v44, vcc_lo, v44, s12
	v_lshlrev_b64 v[40:41], 2, v[40:41]
	v_subrev_co_ci_u32_e32 v45, vcc_lo, s15, v45, vcc_lo
	s_waitcnt vmcnt(4)
	v_sub_co_u32 v46, vcc_lo, v46, s12
	v_lshlrev_b64 v[42:43], 2, v[42:43]
	v_subrev_co_ci_u32_e32 v47, vcc_lo, s15, v47, vcc_lo
	v_lshlrev_b64 v[44:45], 2, v[44:45]
	s_waitcnt lgkmcnt(0)
	v_add_co_u32 v40, vcc_lo, s4, v40
	v_add_co_ci_u32_e32 v41, vcc_lo, s5, v41, vcc_lo
	v_lshlrev_b64 v[46:47], 2, v[46:47]
	v_add_co_u32 v42, vcc_lo, s4, v42
	v_add_co_ci_u32_e32 v43, vcc_lo, s5, v43, vcc_lo
	v_add_co_u32 v44, vcc_lo, s4, v44
	v_add_co_ci_u32_e32 v45, vcc_lo, s5, v45, vcc_lo
	;; [unrolled: 2-line block ×3, first 2 shown]
	s_clause 0x3
	global_load_b32 v40, v[40:41], off
	global_load_b32 v41, v[42:43], off
	;; [unrolled: 1-line block ×4, first 2 shown]
	s_waitcnt vmcnt(7)
	v_lshrrev_b16 v44, 8, v24
	v_ashrrev_i32_e32 v45, 24, v24
	s_waitcnt vmcnt(6)
	v_lshrrev_b16 v47, 8, v28
	v_ashrrev_i32_e32 v48, 24, v28
	;; [unrolled: 3-line block ×3, first 2 shown]
	v_bfe_i32 v52, v32, 16, 8
	v_bfe_i32 v32, v32, 0, 8
	;; [unrolled: 1-line block ×6, first 2 shown]
	s_waitcnt vmcnt(4)
	v_lshrrev_b16 v53, 8, v36
	v_ashrrev_i32_e32 v54, 24, v36
	v_bfe_i32 v44, v44, 0, 8
	v_bfe_i32 v47, v47, 0, 8
	;; [unrolled: 1-line block ×3, first 2 shown]
	v_add_co_u32 v11, vcc_lo, 0x100, v11
	v_bfe_i32 v55, v36, 16, 8
	v_bfe_i32 v36, v36, 0, 8
	;; [unrolled: 1-line block ×3, first 2 shown]
	v_add_co_ci_u32_e32 v12, vcc_lo, 0, v12, vcc_lo
	v_add_co_u32 v13, vcc_lo, v13, 16
	v_add_co_ci_u32_e32 v14, vcc_lo, 0, v14, vcc_lo
	v_add_co_u32 v15, vcc_lo, v15, -4
	v_add_co_ci_u32_e32 v16, vcc_lo, -1, v16, vcc_lo
	v_add_co_u32 v17, vcc_lo, 0x80, v17
	v_add_co_ci_u32_e32 v18, vcc_lo, 0, v18, vcc_lo
	s_delay_alu instid0(VALU_DEP_3)
	v_cmp_eq_u64_e32 vcc_lo, 0, v[15:16]
	s_or_b32 s10, vcc_lo, s10
	s_waitcnt vmcnt(3)
	v_lshrrev_b16 v56, 8, v40
	v_ashrrev_i32_e32 v57, 24, v40
	v_dot4_i32_iu8 v22, v40, v25, v22 neg_lo:[1,1,0]
	v_dot4_i32_iu8 v21, v40, v26, v21 neg_lo:[1,1,0]
	s_waitcnt vmcnt(2)
	v_lshrrev_b16 v25, 8, v41
	v_ashrrev_i32_e32 v26, 24, v41
	s_waitcnt vmcnt(1)
	v_lshrrev_b16 v60, 8, v42
	v_ashrrev_i32_e32 v61, 24, v42
	v_bfe_i32 v63, v42, 0, 8
	v_bfe_i32 v58, v40, 16, 8
	;; [unrolled: 1-line block ×3, first 2 shown]
	v_dot4_i32_iu8 v20, v40, v27, v20 neg_lo:[1,1,0]
	v_bfe_i32 v27, v41, 16, 8
	v_bfe_i32 v40, v41, 0, 8
	;; [unrolled: 1-line block ×3, first 2 shown]
	s_waitcnt vmcnt(0)
	v_lshrrev_b16 v64, 8, v43
	v_ashrrev_i32_e32 v65, 24, v43
	v_bfe_i32 v56, v56, 0, 8
	v_mul_i32_i24_e32 v45, v57, v45
	v_bfe_i32 v25, v25, 0, 8
	v_mul_i32_i24_e32 v26, v26, v48
	v_dot4_i32_iu8 v22, v41, v29, v22 neg_lo:[1,1,0]
	v_dot4_i32_iu8 v21, v41, v30, v21 neg_lo:[1,1,0]
	v_bfe_i32 v29, v60, 0, 8
	v_mul_i32_i24_e32 v30, v63, v32
	v_mul_i32_i24_e32 v32, v61, v51
	v_bfe_i32 v66, v43, 16, 8
	v_bfe_i32 v67, v43, 0, 8
	v_mul_i32_i24_e32 v24, v59, v24
	v_mul_i32_i24_e32 v46, v58, v46
	;; [unrolled: 1-line block ×4, first 2 shown]
	v_dot4_i32_iu8 v20, v41, v31, v20 neg_lo:[1,1,0]
	v_mul_i32_i24_e32 v31, v62, v52
	v_bfe_i32 v40, v64, 0, 8
	v_mul_i32_i24_e32 v41, v65, v54
	v_mad_i32_i24 v44, v56, v44, v45
	v_mad_i32_i24 v25, v25, v47, v26
	v_mad_i32_i24 v26, v29, v50, v32
	v_mul_i32_i24_e32 v36, v67, v36
	v_mul_i32_i24_e32 v29, v66, v55
	v_mad_i32_i24 v32, v40, v53, v41
	v_add3_u32 v24, v24, v46, v44
	v_add3_u32 v25, v28, v27, v25
	;; [unrolled: 1-line block ×3, first 2 shown]
	v_dot4_i32_iu8 v22, v42, v33, v22 neg_lo:[1,1,0]
	v_dot4_i32_iu8 v21, v42, v34, v21 neg_lo:[1,1,0]
	;; [unrolled: 1-line block ×3, first 2 shown]
	v_add3_u32 v27, v36, v29, v32
	v_add3_u32 v24, v24, v25, v26
	v_dot4_i32_iu8 v22, v43, v37, v22 neg_lo:[1,1,0]
	v_dot4_i32_iu8 v21, v43, v38, v21 neg_lo:[1,1,0]
	;; [unrolled: 1-line block ×3, first 2 shown]
	s_delay_alu instid0(VALU_DEP_4)
	v_add3_u32 v19, v24, v27, v19
	s_and_not1_b32 exec_lo, exec_lo, s10
	s_cbranch_execnz .LBB70_23
; %bb.24:
	s_or_b32 exec_lo, exec_lo, s10
.LBB70_25:
	s_delay_alu instid0(SALU_CYCLE_1) | instskip(SKIP_2) | instid1(VALU_DEP_1)
	s_or_b32 exec_lo, exec_lo, s3
	v_dual_mov_b32 v16, 0 :: v_dual_and_b32 v15, 3, v23
	s_mov_b32 s3, exec_lo
	v_cmpx_ne_u64_e32 0, v[15:16]
	s_cbranch_execz .LBB70_29
; %bb.26:
	v_lshlrev_b64 v[13:14], 3, v[13:14]
	v_lshlrev_b32_e32 v15, 1, v15
	s_mov_b32 s10, 0
	s_delay_alu instid0(VALU_DEP_2) | instskip(NEXT) | instid1(VALU_DEP_3)
	v_add_co_u32 v13, vcc_lo, s8, v13
	v_add_co_ci_u32_e32 v14, vcc_lo, s9, v14, vcc_lo
.LBB70_27:                              ; =>This Inner Loop Header: Depth=1
	global_load_b64 v[17:18], v[13:14], off
	s_waitcnt vmcnt(0)
	v_sub_co_u32 v17, vcc_lo, v17, s12
	v_subrev_co_ci_u32_e32 v18, vcc_lo, s15, v18, vcc_lo
	s_delay_alu instid0(VALU_DEP_1) | instskip(SKIP_1) | instid1(VALU_DEP_1)
	v_lshlrev_b64 v[17:18], 2, v[17:18]
	s_waitcnt lgkmcnt(0)
	v_add_co_u32 v17, vcc_lo, s4, v17
	s_delay_alu instid0(VALU_DEP_2)
	v_add_co_ci_u32_e32 v18, vcc_lo, s5, v18, vcc_lo
	global_load_b128 v[23:26], v[11:12], off
	global_load_b32 v17, v[17:18], off
	v_add_co_u32 v11, vcc_lo, v11, 64
	v_add_co_ci_u32_e32 v12, vcc_lo, 0, v12, vcc_lo
	v_add_co_u32 v15, vcc_lo, v15, -2
	v_add_co_ci_u32_e32 v16, vcc_lo, -1, v16, vcc_lo
	v_add_co_u32 v13, vcc_lo, v13, 32
	v_add_co_ci_u32_e32 v14, vcc_lo, 0, v14, vcc_lo
	s_delay_alu instid0(VALU_DEP_3)
	v_cmp_eq_u64_e32 vcc_lo, 0, v[15:16]
	s_or_b32 s10, vcc_lo, s10
	s_waitcnt vmcnt(1)
	v_lshrrev_b16 v18, 8, v23
	v_ashrrev_i32_e32 v27, 24, v23
	v_bfe_i32 v28, v23, 0, 8
	v_bfe_i32 v23, v23, 16, 8
	s_waitcnt vmcnt(0)
	v_lshrrev_b16 v29, 8, v17
	v_bfe_i32 v30, v17, 16, 8
	v_ashrrev_i32_e32 v31, 24, v17
	v_bfe_i32 v18, v18, 0, 8
	v_bfe_i32 v32, v17, 0, 8
	v_bfe_i32 v29, v29, 0, 8
	v_mul_i32_i24_e32 v23, v30, v23
	v_mul_i32_i24_e32 v27, v31, v27
	v_dot4_i32_iu8 v22, v17, v24, v22 neg_lo:[1,1,0]
	v_dot4_i32_iu8 v21, v17, v25, v21 neg_lo:[1,1,0]
	;; [unrolled: 1-line block ×3, first 2 shown]
	v_mad_i32_i24 v23, v32, v28, v23
	v_mad_i32_i24 v18, v29, v18, v27
	s_delay_alu instid0(VALU_DEP_1)
	v_add3_u32 v19, v23, v18, v19
	s_and_not1_b32 exec_lo, exec_lo, s10
	s_cbranch_execnz .LBB70_27
; %bb.28:
	s_or_b32 exec_lo, exec_lo, s10
.LBB70_29:
	s_delay_alu instid0(SALU_CYCLE_1)
	s_or_b32 exec_lo, exec_lo, s3
.LBB70_30:
	s_delay_alu instid0(SALU_CYCLE_1) | instskip(NEXT) | instid1(SALU_CYCLE_1)
	s_or_b32 exec_lo, exec_lo, s7
	s_and_not1_b32 vcc_lo, exec_lo, s6
	s_cbranch_vccz .LBB70_32
	s_branch .LBB70_43
.LBB70_31:
                                        ; implicit-def: $vgpr20
                                        ; implicit-def: $vgpr21
                                        ; implicit-def: $vgpr22
                                        ; implicit-def: $vgpr19
.LBB70_32:
	v_dual_mov_b32 v20, 0 :: v_dual_mov_b32 v21, 0
	v_dual_mov_b32 v22, 0 :: v_dual_mov_b32 v19, 0
	s_delay_alu instid0(VALU_DEP_4)
	s_and_saveexec_b32 s3, s2
	s_cbranch_execz .LBB70_42
; %bb.33:
	v_or_b32_e32 v11, 4, v2
	v_dual_mov_b32 v19, 0 :: v_dual_mov_b32 v22, 0
	v_dual_mov_b32 v21, 0 :: v_dual_mov_b32 v20, 0
	s_delay_alu instid0(VALU_DEP_3) | instskip(NEXT) | instid1(VALU_DEP_1)
	v_sub_co_u32 v11, s2, v11, s12
	v_sub_co_ci_u32_e64 v12, null, 0, s15, s2
	v_sub_co_u32 v13, s2, s12, v2
	s_delay_alu instid0(VALU_DEP_3) | instskip(NEXT) | instid1(VALU_DEP_3)
	v_add_co_u32 v11, vcc_lo, v11, v7
	v_add_co_ci_u32_e32 v12, vcc_lo, v12, v8, vcc_lo
	v_not_b32_e32 v7, v7
	v_not_b32_e32 v8, v8
	v_sub_co_ci_u32_e64 v14, null, s15, 0, s2
	s_delay_alu instid0(VALU_DEP_4) | instskip(SKIP_4) | instid1(VALU_DEP_2)
	v_cmp_gt_i64_e32 vcc_lo, v[11:12], v[9:10]
	s_mov_b32 s6, 0
	v_dual_cndmask_b32 v10, v10, v12 :: v_dual_cndmask_b32 v9, v9, v11
	v_add_co_u32 v7, vcc_lo, v13, v7
	v_add_co_ci_u32_e32 v8, vcc_lo, v14, v8, vcc_lo
	v_add_co_u32 v7, vcc_lo, v7, v9
	s_delay_alu instid0(VALU_DEP_2) | instskip(NEXT) | instid1(VALU_DEP_1)
	v_add_co_ci_u32_e32 v8, vcc_lo, v8, v10, vcc_lo
	v_lshrrev_b64 v[9:10], 2, v[7:8]
	v_cmp_lt_u64_e32 vcc_lo, 11, v[7:8]
	s_delay_alu instid0(VALU_DEP_2) | instskip(NEXT) | instid1(VALU_DEP_1)
	v_add_co_u32 v11, s2, v9, 1
	v_add_co_ci_u32_e64 v8, s2, 0, v10, s2
	s_and_saveexec_b32 s2, vcc_lo
	s_cbranch_execz .LBB70_37
; %bb.34:
	v_lshlrev_b64 v[9:10], 3, v[5:6]
	v_dual_mov_b32 v20, 0 :: v_dual_and_b32 v7, -4, v11
	v_dual_mov_b32 v21, 0 :: v_dual_mov_b32 v22, 0
	v_mov_b32_e32 v19, 0
	s_delay_alu instid0(VALU_DEP_4) | instskip(SKIP_1) | instid1(VALU_DEP_2)
	v_add_co_u32 v9, vcc_lo, v9, s8
	v_add_co_ci_u32_e32 v10, vcc_lo, s9, v10, vcc_lo
	v_add_co_u32 v9, vcc_lo, v9, 64
	s_delay_alu instid0(VALU_DEP_2)
	v_add_co_ci_u32_e32 v10, vcc_lo, 0, v10, vcc_lo
.LBB70_35:                              ; =>This Inner Loop Header: Depth=1
	s_clause 0x3
	global_load_b64 v[16:17], v[9:10], off offset:-64
	global_load_b64 v[35:36], v[9:10], off offset:-32
	global_load_b64 v[37:38], v[9:10], off
	global_load_b64 v[39:40], v[9:10], off offset:32
	s_clause 0x3
	global_load_b128 v[12:15], v[0:1], off
	global_load_b128 v[23:26], v[0:1], off offset:64
	global_load_b128 v[27:30], v[0:1], off offset:128
	;; [unrolled: 1-line block ×3, first 2 shown]
	s_waitcnt vmcnt(7)
	v_sub_co_u32 v16, vcc_lo, v16, s12
	v_subrev_co_ci_u32_e32 v17, vcc_lo, s15, v17, vcc_lo
	s_waitcnt vmcnt(6)
	v_sub_co_u32 v35, vcc_lo, v35, s12
	v_subrev_co_ci_u32_e32 v36, vcc_lo, s15, v36, vcc_lo
	s_waitcnt vmcnt(5)
	v_sub_co_u32 v37, vcc_lo, v37, s12
	v_lshlrev_b64 v[16:17], 2, v[16:17]
	v_subrev_co_ci_u32_e32 v38, vcc_lo, s15, v38, vcc_lo
	s_waitcnt vmcnt(4)
	v_sub_co_u32 v39, vcc_lo, v39, s12
	v_subrev_co_ci_u32_e32 v40, vcc_lo, s15, v40, vcc_lo
	v_lshlrev_b64 v[35:36], 2, v[35:36]
	s_waitcnt lgkmcnt(0)
	v_add_co_u32 v16, vcc_lo, s4, v16
	v_add_co_ci_u32_e32 v17, vcc_lo, s5, v17, vcc_lo
	v_lshlrev_b64 v[37:38], 2, v[37:38]
	s_delay_alu instid0(VALU_DEP_4)
	v_add_co_u32 v35, vcc_lo, s4, v35
	v_lshlrev_b64 v[39:40], 2, v[39:40]
	v_add_co_ci_u32_e32 v36, vcc_lo, s5, v36, vcc_lo
	global_load_b32 v18, v[16:17], off
	v_add_co_u32 v37, vcc_lo, s4, v37
	global_load_b32 v35, v[35:36], off
	v_add_co_ci_u32_e32 v38, vcc_lo, s5, v38, vcc_lo
	v_add_co_u32 v16, vcc_lo, s4, v39
	v_add_co_ci_u32_e32 v17, vcc_lo, s5, v40, vcc_lo
	s_clause 0x1
	global_load_b32 v36, v[37:38], off
	global_load_b32 v16, v[16:17], off
	s_waitcnt vmcnt(7)
	v_perm_b32 v17, v13, v12, 0xc0c0400
	v_perm_b32 v37, v15, v14, 0x4000c0c
	v_perm_b32 v38, v13, v12, 0xc0c0501
	v_perm_b32 v39, v15, v14, 0x5010c0c
	v_perm_b32 v40, v13, v12, 0xc0c0602
	v_perm_b32 v41, v15, v14, 0x6020c0c
	v_perm_b32 v12, v13, v12, 0xc0c0703
	v_perm_b32 v13, v15, v14, 0x7030c0c
	s_waitcnt vmcnt(6)
	v_perm_b32 v14, v24, v23, 0xc0c0400
	v_perm_b32 v15, v26, v25, 0x4000c0c
	v_perm_b32 v42, v24, v23, 0xc0c0501
	v_perm_b32 v43, v26, v25, 0x5010c0c
	v_perm_b32 v44, v24, v23, 0xc0c0602
	v_perm_b32 v45, v26, v25, 0x6020c0c
	v_perm_b32 v23, v24, v23, 0xc0c0703
	v_perm_b32 v24, v26, v25, 0x7030c0c
	;; [unrolled: 9-line block ×4, first 2 shown]
	v_or_b32_e32 v17, v37, v17
	v_or_b32_e32 v33, v39, v38
	;; [unrolled: 1-line block ×4, first 2 shown]
	v_add_co_u32 v0, vcc_lo, 0x100, v0
	v_or_b32_e32 v13, v15, v14
	v_or_b32_e32 v14, v43, v42
	;; [unrolled: 1-line block ×4, first 2 shown]
	v_add_co_ci_u32_e32 v1, vcc_lo, 0, v1, vcc_lo
	v_add_co_u32 v5, vcc_lo, v5, 16
	v_add_co_ci_u32_e32 v6, vcc_lo, 0, v6, vcc_lo
	v_add_co_u32 v7, vcc_lo, v7, -4
	v_or_b32_e32 v24, v26, v25
	v_or_b32_e32 v25, v47, v46
	;; [unrolled: 1-line block ×4, first 2 shown]
	v_add_co_ci_u32_e32 v8, vcc_lo, -1, v8, vcc_lo
	v_add_co_u32 v9, vcc_lo, 0x80, v9
	v_or_b32_e32 v28, v30, v29
	v_or_b32_e32 v29, v51, v50
	v_add_co_ci_u32_e32 v10, vcc_lo, 0, v10, vcc_lo
	v_cmp_eq_u64_e32 vcc_lo, 0, v[7:8]
	s_or_b32 s6, vcc_lo, s6
	s_waitcnt vmcnt(3)
	v_dot4_i32_iu8 v17, v18, v17, v19 neg_lo:[1,1,0]
	v_dot4_i32_iu8 v19, v33, v18, v22 neg_lo:[1,1,0]
	;; [unrolled: 1-line block ×4, first 2 shown]
	v_or_b32_e32 v18, v53, v52
	s_waitcnt vmcnt(2)
	v_dot4_i32_iu8 v13, v35, v13, v17 neg_lo:[1,1,0]
	v_dot4_i32_iu8 v14, v14, v35, v19 neg_lo:[1,1,0]
	;; [unrolled: 1-line block ×4, first 2 shown]
	v_or_b32_e32 v17, v32, v31
	s_waitcnt vmcnt(1)
	v_dot4_i32_iu8 v13, v36, v24, v13 neg_lo:[1,1,0]
	v_dot4_i32_iu8 v14, v25, v36, v14 neg_lo:[1,1,0]
	;; [unrolled: 1-line block ×4, first 2 shown]
	s_waitcnt vmcnt(0)
	v_dot4_i32_iu8 v19, v16, v28, v13 neg_lo:[1,1,0]
	v_dot4_i32_iu8 v22, v29, v16, v14 neg_lo:[1,1,0]
	;; [unrolled: 1-line block ×4, first 2 shown]
	s_and_not1_b32 exec_lo, exec_lo, s6
	s_cbranch_execnz .LBB70_35
; %bb.36:
	s_or_b32 exec_lo, exec_lo, s6
.LBB70_37:
	s_delay_alu instid0(SALU_CYCLE_1) | instskip(SKIP_2) | instid1(VALU_DEP_1)
	s_or_b32 exec_lo, exec_lo, s2
	v_dual_mov_b32 v8, 0 :: v_dual_and_b32 v7, 3, v11
	s_mov_b32 s2, exec_lo
	v_cmpx_ne_u64_e32 0, v[7:8]
	s_cbranch_execz .LBB70_41
; %bb.38:
	v_lshlrev_b64 v[5:6], 3, v[5:6]
	v_lshlrev_b32_e32 v7, 1, v7
	s_mov_b32 s6, 0
	s_delay_alu instid0(VALU_DEP_2) | instskip(NEXT) | instid1(VALU_DEP_3)
	v_add_co_u32 v5, vcc_lo, s8, v5
	v_add_co_ci_u32_e32 v6, vcc_lo, s9, v6, vcc_lo
.LBB70_39:                              ; =>This Inner Loop Header: Depth=1
	global_load_b64 v[13:14], v[5:6], off
	global_load_b128 v[9:12], v[0:1], off
	s_waitcnt vmcnt(1)
	v_sub_co_u32 v13, vcc_lo, v13, s12
	v_subrev_co_ci_u32_e32 v14, vcc_lo, s15, v14, vcc_lo
	s_waitcnt vmcnt(0)
	v_perm_b32 v15, v12, v11, 0x4000c0c
	v_perm_b32 v16, v10, v9, 0xc0c0501
	;; [unrolled: 1-line block ×3, first 2 shown]
	v_lshlrev_b64 v[13:14], 2, v[13:14]
	v_perm_b32 v18, v10, v9, 0xc0c0602
	v_perm_b32 v23, v12, v11, 0x6020c0c
	s_waitcnt lgkmcnt(0)
	s_delay_alu instid0(VALU_DEP_3) | instskip(NEXT) | instid1(VALU_DEP_4)
	v_add_co_u32 v13, vcc_lo, s4, v13
	v_add_co_ci_u32_e32 v14, vcc_lo, s5, v14, vcc_lo
	v_add_co_u32 v0, vcc_lo, v0, 64
	v_add_co_ci_u32_e32 v1, vcc_lo, 0, v1, vcc_lo
	global_load_b32 v13, v[13:14], off
	v_add_co_u32 v5, vcc_lo, v5, 32
	v_add_co_ci_u32_e32 v6, vcc_lo, 0, v6, vcc_lo
	v_add_co_u32 v7, vcc_lo, v7, -2
	v_perm_b32 v14, v10, v9, 0xc0c0400
	v_perm_b32 v9, v10, v9, 0xc0c0703
	;; [unrolled: 1-line block ×3, first 2 shown]
	v_add_co_ci_u32_e32 v8, vcc_lo, -1, v8, vcc_lo
	s_delay_alu instid0(VALU_DEP_4)
	v_or_b32_e32 v11, v15, v14
	v_or_b32_e32 v12, v17, v16
	;; [unrolled: 1-line block ×4, first 2 shown]
	v_cmp_eq_u64_e32 vcc_lo, 0, v[7:8]
	s_or_b32 s6, vcc_lo, s6
	s_waitcnt vmcnt(0)
	v_dot4_i32_iu8 v19, v13, v11, v19 neg_lo:[1,1,0]
	v_dot4_i32_iu8 v22, v12, v13, v22 neg_lo:[1,1,0]
	;; [unrolled: 1-line block ×4, first 2 shown]
	s_and_not1_b32 exec_lo, exec_lo, s6
	s_cbranch_execnz .LBB70_39
; %bb.40:
	s_or_b32 exec_lo, exec_lo, s6
.LBB70_41:
	s_delay_alu instid0(SALU_CYCLE_1)
	s_or_b32 exec_lo, exec_lo, s2
.LBB70_42:
	s_delay_alu instid0(SALU_CYCLE_1)
	s_or_b32 exec_lo, exec_lo, s3
.LBB70_43:
	v_mbcnt_lo_u32_b32 v0, -1, 0
	s_mov_b32 s2, -1
	s_delay_alu instid0(VALU_DEP_1) | instskip(NEXT) | instid1(VALU_DEP_1)
	v_xor_b32_e32 v1, 2, v0
	v_cmp_gt_i32_e32 vcc_lo, 32, v1
	v_cndmask_b32_e32 v1, v0, v1, vcc_lo
	s_delay_alu instid0(VALU_DEP_1)
	v_lshlrev_b32_e32 v1, 2, v1
	ds_bpermute_b32 v5, v1, v19
	ds_bpermute_b32 v6, v1, v22
	;; [unrolled: 1-line block ×4, first 2 shown]
	v_xor_b32_e32 v1, 1, v0
	s_delay_alu instid0(VALU_DEP_1) | instskip(SKIP_4) | instid1(VALU_DEP_3)
	v_cmp_gt_i32_e32 vcc_lo, 32, v1
	v_cndmask_b32_e32 v0, v0, v1, vcc_lo
	v_cmp_eq_u32_e32 vcc_lo, 3, v2
	s_waitcnt lgkmcnt(0)
	v_add_nc_u32_e32 v1, v6, v22
	v_lshlrev_b32_e32 v10, 2, v0
	v_add_nc_u32_e32 v0, v5, v19
	v_add_nc_u32_e32 v5, v7, v21
	v_add_nc_u32_e32 v6, v8, v20
	ds_bpermute_b32 v8, v10, v1
	ds_bpermute_b32 v7, v10, v0
	;; [unrolled: 1-line block ×4, first 2 shown]
	s_and_b32 exec_lo, exec_lo, vcc_lo
	s_cbranch_execz .LBB70_14
; %bb.44:
	s_load_b64 s[0:1], s[0:1], 0x58
	s_waitcnt lgkmcnt(0)
	v_add_nc_u32_e32 v0, v7, v0
	v_add_nc_u32_e32 v1, v8, v1
	;; [unrolled: 1-line block ×4, first 2 shown]
	v_lshlrev_b64 v[3:4], 4, v[3:4]
	v_mul_lo_u32 v0, v0, s13
	v_mul_lo_u32 v1, v1, s13
	;; [unrolled: 1-line block ×4, first 2 shown]
	s_cmp_eq_u32 s16, 0
	s_cbranch_scc1 .LBB70_46
; %bb.45:
	v_add_co_u32 v13, vcc_lo, s0, v3
	v_add_co_ci_u32_e32 v14, vcc_lo, s1, v4, vcc_lo
	s_mov_b32 s2, 0
	global_load_b128 v[6:9], v[13:14], off
	s_waitcnt vmcnt(0)
	v_mad_u64_u32 v[15:16], null, v9, s16, v[5:6]
	v_mad_u64_u32 v[9:10], null, v6, s16, v[0:1]
	;; [unrolled: 1-line block ×4, first 2 shown]
	s_delay_alu instid0(VALU_DEP_4)
	v_mov_b32_e32 v12, v15
	global_store_b128 v[13:14], v[9:12], off
.LBB70_46:
	s_and_not1_b32 vcc_lo, exec_lo, s2
	s_cbranch_vccnz .LBB70_14
; %bb.47:
	v_add_co_u32 v6, vcc_lo, s0, v3
	v_add_co_ci_u32_e32 v7, vcc_lo, s1, v4, vcc_lo
	s_delay_alu instid0(VALU_DEP_3)
	v_mov_b32_e32 v3, v5
	global_store_b128 v[6:7], v[0:3], off
	s_nop 0
	s_sendmsg sendmsg(MSG_DEALLOC_VGPRS)
	s_endpgm
	.section	.rodata,"a",@progbits
	.p2align	6, 0x0
	.amdhsa_kernel _ZN9rocsparseL18bsrxmvn_4x4_kernelILj128ELj4EillaaiEEvT3_20rocsparse_direction_NS_24const_host_device_scalarIT1_EES1_PKS1_PKT2_SA_S7_PKT4_PKT5_S5_PT6_21rocsparse_index_base_b
		.amdhsa_group_segment_fixed_size 0
		.amdhsa_private_segment_fixed_size 0
		.amdhsa_kernarg_size 104
		.amdhsa_user_sgpr_count 15
		.amdhsa_user_sgpr_dispatch_ptr 0
		.amdhsa_user_sgpr_queue_ptr 0
		.amdhsa_user_sgpr_kernarg_segment_ptr 1
		.amdhsa_user_sgpr_dispatch_id 0
		.amdhsa_user_sgpr_private_segment_size 0
		.amdhsa_wavefront_size32 1
		.amdhsa_uses_dynamic_stack 0
		.amdhsa_enable_private_segment 0
		.amdhsa_system_sgpr_workgroup_id_x 1
		.amdhsa_system_sgpr_workgroup_id_y 0
		.amdhsa_system_sgpr_workgroup_id_z 0
		.amdhsa_system_sgpr_workgroup_info 0
		.amdhsa_system_vgpr_workitem_id 0
		.amdhsa_next_free_vgpr 68
		.amdhsa_next_free_sgpr 17
		.amdhsa_reserve_vcc 1
		.amdhsa_float_round_mode_32 0
		.amdhsa_float_round_mode_16_64 0
		.amdhsa_float_denorm_mode_32 3
		.amdhsa_float_denorm_mode_16_64 3
		.amdhsa_dx10_clamp 1
		.amdhsa_ieee_mode 1
		.amdhsa_fp16_overflow 0
		.amdhsa_workgroup_processor_mode 1
		.amdhsa_memory_ordered 1
		.amdhsa_forward_progress 0
		.amdhsa_shared_vgpr_count 0
		.amdhsa_exception_fp_ieee_invalid_op 0
		.amdhsa_exception_fp_denorm_src 0
		.amdhsa_exception_fp_ieee_div_zero 0
		.amdhsa_exception_fp_ieee_overflow 0
		.amdhsa_exception_fp_ieee_underflow 0
		.amdhsa_exception_fp_ieee_inexact 0
		.amdhsa_exception_int_div_zero 0
	.end_amdhsa_kernel
	.section	.text._ZN9rocsparseL18bsrxmvn_4x4_kernelILj128ELj4EillaaiEEvT3_20rocsparse_direction_NS_24const_host_device_scalarIT1_EES1_PKS1_PKT2_SA_S7_PKT4_PKT5_S5_PT6_21rocsparse_index_base_b,"axG",@progbits,_ZN9rocsparseL18bsrxmvn_4x4_kernelILj128ELj4EillaaiEEvT3_20rocsparse_direction_NS_24const_host_device_scalarIT1_EES1_PKS1_PKT2_SA_S7_PKT4_PKT5_S5_PT6_21rocsparse_index_base_b,comdat
.Lfunc_end70:
	.size	_ZN9rocsparseL18bsrxmvn_4x4_kernelILj128ELj4EillaaiEEvT3_20rocsparse_direction_NS_24const_host_device_scalarIT1_EES1_PKS1_PKT2_SA_S7_PKT4_PKT5_S5_PT6_21rocsparse_index_base_b, .Lfunc_end70-_ZN9rocsparseL18bsrxmvn_4x4_kernelILj128ELj4EillaaiEEvT3_20rocsparse_direction_NS_24const_host_device_scalarIT1_EES1_PKS1_PKT2_SA_S7_PKT4_PKT5_S5_PT6_21rocsparse_index_base_b
                                        ; -- End function
	.section	.AMDGPU.csdata,"",@progbits
; Kernel info:
; codeLenInByte = 4040
; NumSgprs: 19
; NumVgprs: 68
; ScratchSize: 0
; MemoryBound: 0
; FloatMode: 240
; IeeeMode: 1
; LDSByteSize: 0 bytes/workgroup (compile time only)
; SGPRBlocks: 2
; VGPRBlocks: 8
; NumSGPRsForWavesPerEU: 19
; NumVGPRsForWavesPerEU: 68
; Occupancy: 16
; WaveLimiterHint : 1
; COMPUTE_PGM_RSRC2:SCRATCH_EN: 0
; COMPUTE_PGM_RSRC2:USER_SGPR: 15
; COMPUTE_PGM_RSRC2:TRAP_HANDLER: 0
; COMPUTE_PGM_RSRC2:TGID_X_EN: 1
; COMPUTE_PGM_RSRC2:TGID_Y_EN: 0
; COMPUTE_PGM_RSRC2:TGID_Z_EN: 0
; COMPUTE_PGM_RSRC2:TIDIG_COMP_CNT: 0
	.section	.text._ZN9rocsparseL18bsrxmvn_4x4_kernelILj128ELj8EillaaiEEvT3_20rocsparse_direction_NS_24const_host_device_scalarIT1_EES1_PKS1_PKT2_SA_S7_PKT4_PKT5_S5_PT6_21rocsparse_index_base_b,"axG",@progbits,_ZN9rocsparseL18bsrxmvn_4x4_kernelILj128ELj8EillaaiEEvT3_20rocsparse_direction_NS_24const_host_device_scalarIT1_EES1_PKS1_PKT2_SA_S7_PKT4_PKT5_S5_PT6_21rocsparse_index_base_b,comdat
	.globl	_ZN9rocsparseL18bsrxmvn_4x4_kernelILj128ELj8EillaaiEEvT3_20rocsparse_direction_NS_24const_host_device_scalarIT1_EES1_PKS1_PKT2_SA_S7_PKT4_PKT5_S5_PT6_21rocsparse_index_base_b ; -- Begin function _ZN9rocsparseL18bsrxmvn_4x4_kernelILj128ELj8EillaaiEEvT3_20rocsparse_direction_NS_24const_host_device_scalarIT1_EES1_PKS1_PKT2_SA_S7_PKT4_PKT5_S5_PT6_21rocsparse_index_base_b
	.p2align	8
	.type	_ZN9rocsparseL18bsrxmvn_4x4_kernelILj128ELj8EillaaiEEvT3_20rocsparse_direction_NS_24const_host_device_scalarIT1_EES1_PKS1_PKT2_SA_S7_PKT4_PKT5_S5_PT6_21rocsparse_index_base_b,@function
_ZN9rocsparseL18bsrxmvn_4x4_kernelILj128ELj8EillaaiEEvT3_20rocsparse_direction_NS_24const_host_device_scalarIT1_EES1_PKS1_PKT2_SA_S7_PKT4_PKT5_S5_PT6_21rocsparse_index_base_b: ; @_ZN9rocsparseL18bsrxmvn_4x4_kernelILj128ELj8EillaaiEEvT3_20rocsparse_direction_NS_24const_host_device_scalarIT1_EES1_PKS1_PKT2_SA_S7_PKT4_PKT5_S5_PT6_21rocsparse_index_base_b
; %bb.0:
	s_clause 0x1
	s_load_b64 s[12:13], s[0:1], 0x60
	s_load_b128 s[4:7], s[0:1], 0x10
	s_mov_b32 s9, -1
	s_waitcnt lgkmcnt(0)
	s_bitcmp1_b32 s13, 0
                                        ; implicit-def: $sgpr13
	s_cselect_b32 s2, -1, 0
	s_delay_alu instid0(SALU_CYCLE_1) | instskip(NEXT) | instid1(SALU_CYCLE_1)
	s_xor_b32 s8, s2, -1
	s_and_b32 vcc_lo, exec_lo, s8
	s_cbranch_vccnz .LBB71_4
; %bb.1:
	s_load_b64 s[2:3], s[0:1], 0x50
	s_and_not1_b32 vcc_lo, exec_lo, s9
	s_cbranch_vccz .LBB71_5
.LBB71_2:
	s_and_b32 vcc_lo, exec_lo, s8
	s_cbranch_vccz .LBB71_6
.LBB71_3:
	s_waitcnt lgkmcnt(0)
	s_load_b32 s16, s[2:3], 0x0
	s_cbranch_execz .LBB71_7
	s_branch .LBB71_8
.LBB71_4:
	s_load_b32 s13, s[4:5], 0x0
	s_load_b64 s[2:3], s[0:1], 0x50
	s_cbranch_execnz .LBB71_2
.LBB71_5:
	s_waitcnt lgkmcnt(0)
	s_mov_b32 s13, s4
	s_and_b32 vcc_lo, exec_lo, s8
	s_cbranch_vccnz .LBB71_3
.LBB71_6:
	s_waitcnt lgkmcnt(0)
                                        ; implicit-def: $sgpr16
.LBB71_7:
	s_waitcnt lgkmcnt(0)
	s_mov_b32 s16, s2
.LBB71_8:
	s_cmp_lg_u32 s13, 0
	s_mov_b32 s4, 0
	s_cselect_b32 s2, -1, 0
	s_waitcnt lgkmcnt(0)
	s_cmp_lg_u32 s16, 1
	s_cselect_b32 s3, -1, 0
	s_delay_alu instid0(SALU_CYCLE_1) | instskip(NEXT) | instid1(SALU_CYCLE_1)
	s_or_b32 s2, s2, s3
	s_and_not1_b32 vcc_lo, exec_lo, s2
	s_cbranch_vccnz .LBB71_14
; %bb.9:
	s_load_b64 s[2:3], s[0:1], 0x20
	v_lshrrev_b32_e32 v1, 3, v0
	v_mov_b32_e32 v2, 0
	s_delay_alu instid0(VALU_DEP_2)
	v_lshl_or_b32 v1, s15, 4, v1
	s_waitcnt lgkmcnt(0)
	s_cmp_lg_u64 s[2:3], 0
	s_cbranch_scc0 .LBB71_15
; %bb.10:
	s_delay_alu instid0(VALU_DEP_1) | instskip(SKIP_2) | instid1(SALU_CYCLE_1)
	v_cmp_gt_i64_e32 vcc_lo, s[6:7], v[1:2]
	s_mov_b32 s5, 0
                                        ; implicit-def: $vgpr3_vgpr4
	s_and_saveexec_b32 s6, vcc_lo
	s_xor_b32 s6, exec_lo, s6
                                        ; implicit-def: $sgpr14_sgpr15
	s_cbranch_execz .LBB71_12
; %bb.11:
	v_lshlrev_b64 v[3:4], 3, v[1:2]
	s_mov_b32 s4, exec_lo
	s_mov_b32 s15, 0
	s_delay_alu instid0(VALU_DEP_1) | instskip(NEXT) | instid1(VALU_DEP_2)
	v_add_co_u32 v3, vcc_lo, s2, v3
	v_add_co_ci_u32_e32 v4, vcc_lo, s3, v4, vcc_lo
	global_load_b64 v[3:4], v[3:4], off
	s_waitcnt vmcnt(0)
	v_sub_co_u32 v3, vcc_lo, v3, s12
	v_subrev_co_ci_u32_e32 v4, vcc_lo, 0, v4, vcc_lo
.LBB71_12:
	s_or_b32 exec_lo, exec_lo, s6
	s_delay_alu instid0(SALU_CYCLE_1)
	s_and_b32 vcc_lo, exec_lo, s5
	s_cbranch_vccnz .LBB71_16
.LBB71_13:
	s_and_saveexec_b32 s2, s4
	s_cbranch_execnz .LBB71_19
.LBB71_14:
	s_nop 0
	s_sendmsg sendmsg(MSG_DEALLOC_VGPRS)
	s_endpgm
.LBB71_15:
                                        ; implicit-def: $vgpr3_vgpr4
                                        ; implicit-def: $sgpr14_sgpr15
	s_cbranch_execz .LBB71_13
.LBB71_16:
	s_load_b64 s[2:3], s[0:1], 0x0
                                        ; implicit-def: $vgpr3_vgpr4
	s_waitcnt lgkmcnt(0)
	v_cmp_gt_i64_e32 vcc_lo, s[2:3], v[1:2]
	s_and_saveexec_b32 s2, vcc_lo
                                        ; implicit-def: $sgpr14_sgpr15
; %bb.17:
	v_dual_mov_b32 v4, v2 :: v_dual_mov_b32 v3, v1
	s_mov_b32 s15, 0
	s_or_b32 s4, s4, exec_lo
; %bb.18:
	s_or_b32 exec_lo, exec_lo, s2
	s_and_saveexec_b32 s2, s4
	s_cbranch_execz .LBB71_14
.LBB71_19:
	s_load_b256 s[4:11], s[0:1], 0x28
	v_lshlrev_b64 v[1:2], 3, v[3:4]
	s_load_b32 s3, s[0:1], 0x8
	v_mov_b32_e32 v20, 0
	s_waitcnt lgkmcnt(0)
	s_delay_alu instid0(VALU_DEP_2) | instskip(NEXT) | instid1(VALU_DEP_3)
	v_add_co_u32 v5, vcc_lo, s4, v1
	v_add_co_ci_u32_e32 v6, vcc_lo, s5, v2, vcc_lo
	v_add_co_u32 v1, vcc_lo, s6, v1
	v_add_co_ci_u32_e32 v2, vcc_lo, s7, v2, vcc_lo
	s_delay_alu instid0(VALU_DEP_4)
	v_add_co_u32 v9, vcc_lo, v5, 8
	global_load_b64 v[7:8], v[5:6], off
	v_add_co_ci_u32_e32 v10, vcc_lo, 0, v6, vcc_lo
	s_cmp_eq_u64 s[6:7], 0
	s_load_b64 s[4:5], s[0:1], 0x48
	s_cselect_b32 vcc_lo, -1, 0
	s_cmp_eq_u32 s3, 1
	v_dual_cndmask_b32 v2, v2, v10 :: v_dual_cndmask_b32 v1, v1, v9
	global_load_b64 v[9:10], v[1:2], off
	v_and_b32_e32 v2, 7, v0
	s_waitcnt vmcnt(1)
	v_sub_co_u32 v0, vcc_lo, v7, s12
	v_subrev_co_ci_u32_e32 v1, vcc_lo, s15, v8, vcc_lo
	s_delay_alu instid0(VALU_DEP_2) | instskip(NEXT) | instid1(VALU_DEP_2)
	v_add_co_u32 v5, vcc_lo, v0, v2
	v_add_co_ci_u32_e32 v6, vcc_lo, 0, v1, vcc_lo
	s_delay_alu instid0(VALU_DEP_1) | instskip(SKIP_3) | instid1(VALU_DEP_3)
	v_lshlrev_b64 v[0:1], 4, v[5:6]
	s_waitcnt vmcnt(0)
	v_sub_co_u32 v9, vcc_lo, v9, s12
	v_subrev_co_ci_u32_e32 v10, vcc_lo, s15, v10, vcc_lo
	v_add_co_u32 v0, vcc_lo, s10, v0
	s_delay_alu instid0(VALU_DEP_2)
	v_cmp_lt_i64_e64 s2, v[5:6], v[9:10]
	v_add_co_ci_u32_e32 v1, vcc_lo, s11, v1, vcc_lo
	s_cbranch_scc1 .LBB71_31
; %bb.20:
	v_dual_mov_b32 v21, 0 :: v_dual_mov_b32 v22, 0
	v_mov_b32_e32 v19, 0
	s_mov_b32 s6, 0
	s_and_saveexec_b32 s7, s2
	s_cbranch_execz .LBB71_30
; %bb.21:
	v_or_b32_e32 v11, 8, v2
	v_not_b32_e32 v14, v7
	v_not_b32_e32 v13, v8
	v_dual_mov_b32 v19, 0 :: v_dual_mov_b32 v22, 0
	s_delay_alu instid0(VALU_DEP_4) | instskip(NEXT) | instid1(VALU_DEP_1)
	v_sub_co_u32 v11, s3, v11, s12
	v_sub_co_ci_u32_e64 v12, null, 0, s15, s3
	v_sub_co_u32 v15, s3, s12, v2
	s_delay_alu instid0(VALU_DEP_3) | instskip(NEXT) | instid1(VALU_DEP_3)
	v_add_co_u32 v11, vcc_lo, v11, v7
	v_add_co_ci_u32_e32 v12, vcc_lo, v12, v8, vcc_lo
	v_sub_co_ci_u32_e64 v16, null, s15, 0, s3
	v_dual_mov_b32 v21, 0 :: v_dual_mov_b32 v20, 0
	s_delay_alu instid0(VALU_DEP_3) | instskip(SKIP_4) | instid1(VALU_DEP_2)
	v_cmp_gt_i64_e32 vcc_lo, v[11:12], v[9:10]
	s_mov_b32 s10, 0
	v_dual_cndmask_b32 v12, v10, v12 :: v_dual_cndmask_b32 v11, v9, v11
	v_add_co_u32 v14, vcc_lo, v15, v14
	v_add_co_ci_u32_e32 v13, vcc_lo, v16, v13, vcc_lo
	v_add_co_u32 v11, vcc_lo, v14, v11
	s_delay_alu instid0(VALU_DEP_2) | instskip(SKIP_1) | instid1(VALU_DEP_2)
	v_add_co_ci_u32_e32 v12, vcc_lo, v13, v12, vcc_lo
	v_dual_mov_b32 v14, v6 :: v_dual_mov_b32 v13, v5
	v_lshrrev_b64 v[15:16], 3, v[11:12]
	v_cmp_lt_u64_e32 vcc_lo, 23, v[11:12]
	v_dual_mov_b32 v12, v1 :: v_dual_mov_b32 v11, v0
	s_delay_alu instid0(VALU_DEP_3) | instskip(NEXT) | instid1(VALU_DEP_1)
	v_add_co_u32 v23, s3, v15, 1
	v_add_co_ci_u32_e64 v16, s3, 0, v16, s3
	s_and_saveexec_b32 s3, vcc_lo
	s_cbranch_execz .LBB71_25
; %bb.22:
	v_lshlrev_b64 v[11:12], 3, v[5:6]
	v_dual_mov_b32 v20, 0 :: v_dual_and_b32 v15, -4, v23
	v_dual_mov_b32 v21, 0 :: v_dual_mov_b32 v22, 0
	v_mov_b32_e32 v19, 0
	s_delay_alu instid0(VALU_DEP_4) | instskip(SKIP_2) | instid1(VALU_DEP_3)
	v_add_co_u32 v13, vcc_lo, v11, s8
	v_add_co_ci_u32_e32 v14, vcc_lo, s9, v12, vcc_lo
	v_dual_mov_b32 v12, v1 :: v_dual_mov_b32 v11, v0
	v_add_co_u32 v17, vcc_lo, 0x80, v13
	s_delay_alu instid0(VALU_DEP_3)
	v_add_co_ci_u32_e32 v18, vcc_lo, 0, v14, vcc_lo
	v_dual_mov_b32 v14, v6 :: v_dual_mov_b32 v13, v5
.LBB71_23:                              ; =>This Inner Loop Header: Depth=1
	s_clause 0x3
	global_load_b64 v[40:41], v[17:18], off offset:-128
	global_load_b64 v[42:43], v[17:18], off offset:-64
	global_load_b64 v[44:45], v[17:18], off
	global_load_b64 v[46:47], v[17:18], off offset:64
	s_clause 0x3
	global_load_b128 v[24:27], v[11:12], off
	global_load_b128 v[28:31], v[11:12], off offset:128
	global_load_b128 v[32:35], v[11:12], off offset:256
	;; [unrolled: 1-line block ×3, first 2 shown]
	s_waitcnt vmcnt(7)
	v_sub_co_u32 v40, vcc_lo, v40, s12
	v_subrev_co_ci_u32_e32 v41, vcc_lo, s15, v41, vcc_lo
	s_waitcnt vmcnt(6)
	v_sub_co_u32 v42, vcc_lo, v42, s12
	v_subrev_co_ci_u32_e32 v43, vcc_lo, s15, v43, vcc_lo
	s_waitcnt vmcnt(5)
	v_sub_co_u32 v44, vcc_lo, v44, s12
	v_lshlrev_b64 v[40:41], 2, v[40:41]
	v_subrev_co_ci_u32_e32 v45, vcc_lo, s15, v45, vcc_lo
	s_waitcnt vmcnt(4)
	v_sub_co_u32 v46, vcc_lo, v46, s12
	v_lshlrev_b64 v[42:43], 2, v[42:43]
	v_subrev_co_ci_u32_e32 v47, vcc_lo, s15, v47, vcc_lo
	v_lshlrev_b64 v[44:45], 2, v[44:45]
	s_waitcnt lgkmcnt(0)
	v_add_co_u32 v40, vcc_lo, s4, v40
	v_add_co_ci_u32_e32 v41, vcc_lo, s5, v41, vcc_lo
	v_lshlrev_b64 v[46:47], 2, v[46:47]
	v_add_co_u32 v42, vcc_lo, s4, v42
	v_add_co_ci_u32_e32 v43, vcc_lo, s5, v43, vcc_lo
	v_add_co_u32 v44, vcc_lo, s4, v44
	v_add_co_ci_u32_e32 v45, vcc_lo, s5, v45, vcc_lo
	;; [unrolled: 2-line block ×3, first 2 shown]
	s_clause 0x3
	global_load_b32 v40, v[40:41], off
	global_load_b32 v41, v[42:43], off
	;; [unrolled: 1-line block ×4, first 2 shown]
	s_waitcnt vmcnt(7)
	v_lshrrev_b16 v44, 8, v24
	v_ashrrev_i32_e32 v45, 24, v24
	s_waitcnt vmcnt(6)
	v_lshrrev_b16 v47, 8, v28
	v_ashrrev_i32_e32 v48, 24, v28
	;; [unrolled: 3-line block ×3, first 2 shown]
	v_bfe_i32 v52, v32, 16, 8
	v_bfe_i32 v32, v32, 0, 8
	v_bfe_i32 v46, v24, 16, 8
	v_bfe_i32 v24, v24, 0, 8
	v_bfe_i32 v49, v28, 16, 8
	v_bfe_i32 v28, v28, 0, 8
	s_waitcnt vmcnt(4)
	v_lshrrev_b16 v53, 8, v36
	v_ashrrev_i32_e32 v54, 24, v36
	v_bfe_i32 v44, v44, 0, 8
	v_bfe_i32 v47, v47, 0, 8
	;; [unrolled: 1-line block ×3, first 2 shown]
	v_add_co_u32 v11, vcc_lo, 0x200, v11
	v_bfe_i32 v55, v36, 16, 8
	v_bfe_i32 v36, v36, 0, 8
	;; [unrolled: 1-line block ×3, first 2 shown]
	v_add_co_ci_u32_e32 v12, vcc_lo, 0, v12, vcc_lo
	v_add_co_u32 v13, vcc_lo, v13, 32
	v_add_co_ci_u32_e32 v14, vcc_lo, 0, v14, vcc_lo
	v_add_co_u32 v15, vcc_lo, v15, -4
	v_add_co_ci_u32_e32 v16, vcc_lo, -1, v16, vcc_lo
	v_add_co_u32 v17, vcc_lo, 0x100, v17
	v_add_co_ci_u32_e32 v18, vcc_lo, 0, v18, vcc_lo
	s_delay_alu instid0(VALU_DEP_3)
	v_cmp_eq_u64_e32 vcc_lo, 0, v[15:16]
	s_or_b32 s10, vcc_lo, s10
	s_waitcnt vmcnt(3)
	v_lshrrev_b16 v56, 8, v40
	v_ashrrev_i32_e32 v57, 24, v40
	v_dot4_i32_iu8 v22, v40, v25, v22 neg_lo:[1,1,0]
	v_dot4_i32_iu8 v21, v40, v26, v21 neg_lo:[1,1,0]
	s_waitcnt vmcnt(2)
	v_lshrrev_b16 v25, 8, v41
	v_ashrrev_i32_e32 v26, 24, v41
	s_waitcnt vmcnt(1)
	v_lshrrev_b16 v60, 8, v42
	v_ashrrev_i32_e32 v61, 24, v42
	v_bfe_i32 v63, v42, 0, 8
	v_bfe_i32 v58, v40, 16, 8
	v_bfe_i32 v59, v40, 0, 8
	v_dot4_i32_iu8 v20, v40, v27, v20 neg_lo:[1,1,0]
	v_bfe_i32 v27, v41, 16, 8
	v_bfe_i32 v40, v41, 0, 8
	;; [unrolled: 1-line block ×3, first 2 shown]
	s_waitcnt vmcnt(0)
	v_lshrrev_b16 v64, 8, v43
	v_ashrrev_i32_e32 v65, 24, v43
	v_bfe_i32 v56, v56, 0, 8
	v_mul_i32_i24_e32 v45, v57, v45
	v_bfe_i32 v25, v25, 0, 8
	v_mul_i32_i24_e32 v26, v26, v48
	v_dot4_i32_iu8 v22, v41, v29, v22 neg_lo:[1,1,0]
	v_dot4_i32_iu8 v21, v41, v30, v21 neg_lo:[1,1,0]
	v_bfe_i32 v29, v60, 0, 8
	v_mul_i32_i24_e32 v30, v63, v32
	v_mul_i32_i24_e32 v32, v61, v51
	v_bfe_i32 v66, v43, 16, 8
	v_bfe_i32 v67, v43, 0, 8
	v_mul_i32_i24_e32 v24, v59, v24
	v_mul_i32_i24_e32 v46, v58, v46
	;; [unrolled: 1-line block ×4, first 2 shown]
	v_dot4_i32_iu8 v20, v41, v31, v20 neg_lo:[1,1,0]
	v_mul_i32_i24_e32 v31, v62, v52
	v_bfe_i32 v40, v64, 0, 8
	v_mul_i32_i24_e32 v41, v65, v54
	v_mad_i32_i24 v44, v56, v44, v45
	v_mad_i32_i24 v25, v25, v47, v26
	;; [unrolled: 1-line block ×3, first 2 shown]
	v_mul_i32_i24_e32 v36, v67, v36
	v_mul_i32_i24_e32 v29, v66, v55
	v_mad_i32_i24 v32, v40, v53, v41
	v_add3_u32 v24, v24, v46, v44
	v_add3_u32 v25, v28, v27, v25
	;; [unrolled: 1-line block ×3, first 2 shown]
	v_dot4_i32_iu8 v22, v42, v33, v22 neg_lo:[1,1,0]
	v_dot4_i32_iu8 v21, v42, v34, v21 neg_lo:[1,1,0]
	;; [unrolled: 1-line block ×3, first 2 shown]
	v_add3_u32 v27, v36, v29, v32
	v_add3_u32 v24, v24, v25, v26
	v_dot4_i32_iu8 v22, v43, v37, v22 neg_lo:[1,1,0]
	v_dot4_i32_iu8 v21, v43, v38, v21 neg_lo:[1,1,0]
	;; [unrolled: 1-line block ×3, first 2 shown]
	s_delay_alu instid0(VALU_DEP_4)
	v_add3_u32 v19, v24, v27, v19
	s_and_not1_b32 exec_lo, exec_lo, s10
	s_cbranch_execnz .LBB71_23
; %bb.24:
	s_or_b32 exec_lo, exec_lo, s10
.LBB71_25:
	s_delay_alu instid0(SALU_CYCLE_1) | instskip(SKIP_2) | instid1(VALU_DEP_1)
	s_or_b32 exec_lo, exec_lo, s3
	v_dual_mov_b32 v16, 0 :: v_dual_and_b32 v15, 3, v23
	s_mov_b32 s3, exec_lo
	v_cmpx_ne_u64_e32 0, v[15:16]
	s_cbranch_execz .LBB71_29
; %bb.26:
	v_lshlrev_b64 v[13:14], 3, v[13:14]
	v_lshlrev_b32_e32 v15, 1, v15
	s_mov_b32 s10, 0
	s_delay_alu instid0(VALU_DEP_2) | instskip(NEXT) | instid1(VALU_DEP_3)
	v_add_co_u32 v13, vcc_lo, s8, v13
	v_add_co_ci_u32_e32 v14, vcc_lo, s9, v14, vcc_lo
.LBB71_27:                              ; =>This Inner Loop Header: Depth=1
	global_load_b64 v[17:18], v[13:14], off
	s_waitcnt vmcnt(0)
	v_sub_co_u32 v17, vcc_lo, v17, s12
	v_subrev_co_ci_u32_e32 v18, vcc_lo, s15, v18, vcc_lo
	s_delay_alu instid0(VALU_DEP_1) | instskip(SKIP_1) | instid1(VALU_DEP_1)
	v_lshlrev_b64 v[17:18], 2, v[17:18]
	s_waitcnt lgkmcnt(0)
	v_add_co_u32 v17, vcc_lo, s4, v17
	s_delay_alu instid0(VALU_DEP_2)
	v_add_co_ci_u32_e32 v18, vcc_lo, s5, v18, vcc_lo
	global_load_b128 v[23:26], v[11:12], off
	global_load_b32 v17, v[17:18], off
	v_add_co_u32 v11, vcc_lo, 0x80, v11
	v_add_co_ci_u32_e32 v12, vcc_lo, 0, v12, vcc_lo
	v_add_co_u32 v15, vcc_lo, v15, -2
	v_add_co_ci_u32_e32 v16, vcc_lo, -1, v16, vcc_lo
	v_add_co_u32 v13, vcc_lo, v13, 64
	v_add_co_ci_u32_e32 v14, vcc_lo, 0, v14, vcc_lo
	s_delay_alu instid0(VALU_DEP_3)
	v_cmp_eq_u64_e32 vcc_lo, 0, v[15:16]
	s_or_b32 s10, vcc_lo, s10
	s_waitcnt vmcnt(1)
	v_lshrrev_b16 v18, 8, v23
	v_ashrrev_i32_e32 v27, 24, v23
	v_bfe_i32 v28, v23, 0, 8
	v_bfe_i32 v23, v23, 16, 8
	s_waitcnt vmcnt(0)
	v_lshrrev_b16 v29, 8, v17
	v_bfe_i32 v30, v17, 16, 8
	v_ashrrev_i32_e32 v31, 24, v17
	v_bfe_i32 v18, v18, 0, 8
	v_bfe_i32 v32, v17, 0, 8
	;; [unrolled: 1-line block ×3, first 2 shown]
	v_mul_i32_i24_e32 v23, v30, v23
	v_mul_i32_i24_e32 v27, v31, v27
	v_dot4_i32_iu8 v22, v17, v24, v22 neg_lo:[1,1,0]
	v_dot4_i32_iu8 v21, v17, v25, v21 neg_lo:[1,1,0]
	;; [unrolled: 1-line block ×3, first 2 shown]
	v_mad_i32_i24 v23, v32, v28, v23
	v_mad_i32_i24 v18, v29, v18, v27
	s_delay_alu instid0(VALU_DEP_1)
	v_add3_u32 v19, v23, v18, v19
	s_and_not1_b32 exec_lo, exec_lo, s10
	s_cbranch_execnz .LBB71_27
; %bb.28:
	s_or_b32 exec_lo, exec_lo, s10
.LBB71_29:
	s_delay_alu instid0(SALU_CYCLE_1)
	s_or_b32 exec_lo, exec_lo, s3
.LBB71_30:
	s_delay_alu instid0(SALU_CYCLE_1) | instskip(NEXT) | instid1(SALU_CYCLE_1)
	s_or_b32 exec_lo, exec_lo, s7
	s_and_not1_b32 vcc_lo, exec_lo, s6
	s_cbranch_vccz .LBB71_32
	s_branch .LBB71_43
.LBB71_31:
                                        ; implicit-def: $vgpr20
                                        ; implicit-def: $vgpr21
                                        ; implicit-def: $vgpr22
                                        ; implicit-def: $vgpr19
.LBB71_32:
	v_dual_mov_b32 v20, 0 :: v_dual_mov_b32 v21, 0
	v_dual_mov_b32 v22, 0 :: v_dual_mov_b32 v19, 0
	s_delay_alu instid0(VALU_DEP_4)
	s_and_saveexec_b32 s3, s2
	s_cbranch_execz .LBB71_42
; %bb.33:
	v_or_b32_e32 v11, 8, v2
	v_dual_mov_b32 v19, 0 :: v_dual_mov_b32 v22, 0
	v_dual_mov_b32 v21, 0 :: v_dual_mov_b32 v20, 0
	s_delay_alu instid0(VALU_DEP_3) | instskip(NEXT) | instid1(VALU_DEP_1)
	v_sub_co_u32 v11, s2, v11, s12
	v_sub_co_ci_u32_e64 v12, null, 0, s15, s2
	v_sub_co_u32 v13, s2, s12, v2
	s_delay_alu instid0(VALU_DEP_3) | instskip(NEXT) | instid1(VALU_DEP_3)
	v_add_co_u32 v11, vcc_lo, v11, v7
	v_add_co_ci_u32_e32 v12, vcc_lo, v12, v8, vcc_lo
	v_not_b32_e32 v7, v7
	v_not_b32_e32 v8, v8
	v_sub_co_ci_u32_e64 v14, null, s15, 0, s2
	s_delay_alu instid0(VALU_DEP_4) | instskip(SKIP_4) | instid1(VALU_DEP_2)
	v_cmp_gt_i64_e32 vcc_lo, v[11:12], v[9:10]
	s_mov_b32 s6, 0
	v_dual_cndmask_b32 v10, v10, v12 :: v_dual_cndmask_b32 v9, v9, v11
	v_add_co_u32 v7, vcc_lo, v13, v7
	v_add_co_ci_u32_e32 v8, vcc_lo, v14, v8, vcc_lo
	v_add_co_u32 v7, vcc_lo, v7, v9
	s_delay_alu instid0(VALU_DEP_2) | instskip(NEXT) | instid1(VALU_DEP_1)
	v_add_co_ci_u32_e32 v8, vcc_lo, v8, v10, vcc_lo
	v_lshrrev_b64 v[9:10], 3, v[7:8]
	v_cmp_lt_u64_e32 vcc_lo, 23, v[7:8]
	s_delay_alu instid0(VALU_DEP_2) | instskip(NEXT) | instid1(VALU_DEP_1)
	v_add_co_u32 v11, s2, v9, 1
	v_add_co_ci_u32_e64 v8, s2, 0, v10, s2
	s_and_saveexec_b32 s2, vcc_lo
	s_cbranch_execz .LBB71_37
; %bb.34:
	v_lshlrev_b64 v[9:10], 3, v[5:6]
	v_dual_mov_b32 v20, 0 :: v_dual_and_b32 v7, -4, v11
	v_dual_mov_b32 v21, 0 :: v_dual_mov_b32 v22, 0
	v_mov_b32_e32 v19, 0
	s_delay_alu instid0(VALU_DEP_4) | instskip(SKIP_1) | instid1(VALU_DEP_2)
	v_add_co_u32 v9, vcc_lo, v9, s8
	v_add_co_ci_u32_e32 v10, vcc_lo, s9, v10, vcc_lo
	v_add_co_u32 v9, vcc_lo, 0x80, v9
	s_delay_alu instid0(VALU_DEP_2)
	v_add_co_ci_u32_e32 v10, vcc_lo, 0, v10, vcc_lo
.LBB71_35:                              ; =>This Inner Loop Header: Depth=1
	s_clause 0x3
	global_load_b64 v[16:17], v[9:10], off offset:-128
	global_load_b64 v[35:36], v[9:10], off offset:-64
	global_load_b64 v[37:38], v[9:10], off
	global_load_b64 v[39:40], v[9:10], off offset:64
	s_clause 0x3
	global_load_b128 v[12:15], v[0:1], off
	global_load_b128 v[23:26], v[0:1], off offset:128
	global_load_b128 v[27:30], v[0:1], off offset:256
	;; [unrolled: 1-line block ×3, first 2 shown]
	s_waitcnt vmcnt(7)
	v_sub_co_u32 v16, vcc_lo, v16, s12
	v_subrev_co_ci_u32_e32 v17, vcc_lo, s15, v17, vcc_lo
	s_waitcnt vmcnt(6)
	v_sub_co_u32 v35, vcc_lo, v35, s12
	v_subrev_co_ci_u32_e32 v36, vcc_lo, s15, v36, vcc_lo
	s_waitcnt vmcnt(5)
	v_sub_co_u32 v37, vcc_lo, v37, s12
	v_lshlrev_b64 v[16:17], 2, v[16:17]
	v_subrev_co_ci_u32_e32 v38, vcc_lo, s15, v38, vcc_lo
	s_waitcnt vmcnt(4)
	v_sub_co_u32 v39, vcc_lo, v39, s12
	v_subrev_co_ci_u32_e32 v40, vcc_lo, s15, v40, vcc_lo
	v_lshlrev_b64 v[35:36], 2, v[35:36]
	s_waitcnt lgkmcnt(0)
	v_add_co_u32 v16, vcc_lo, s4, v16
	v_add_co_ci_u32_e32 v17, vcc_lo, s5, v17, vcc_lo
	v_lshlrev_b64 v[37:38], 2, v[37:38]
	s_delay_alu instid0(VALU_DEP_4)
	v_add_co_u32 v35, vcc_lo, s4, v35
	v_lshlrev_b64 v[39:40], 2, v[39:40]
	v_add_co_ci_u32_e32 v36, vcc_lo, s5, v36, vcc_lo
	global_load_b32 v18, v[16:17], off
	v_add_co_u32 v37, vcc_lo, s4, v37
	global_load_b32 v35, v[35:36], off
	v_add_co_ci_u32_e32 v38, vcc_lo, s5, v38, vcc_lo
	v_add_co_u32 v16, vcc_lo, s4, v39
	v_add_co_ci_u32_e32 v17, vcc_lo, s5, v40, vcc_lo
	s_clause 0x1
	global_load_b32 v36, v[37:38], off
	global_load_b32 v16, v[16:17], off
	s_waitcnt vmcnt(7)
	v_perm_b32 v17, v13, v12, 0xc0c0400
	v_perm_b32 v37, v15, v14, 0x4000c0c
	v_perm_b32 v38, v13, v12, 0xc0c0501
	v_perm_b32 v39, v15, v14, 0x5010c0c
	v_perm_b32 v40, v13, v12, 0xc0c0602
	v_perm_b32 v41, v15, v14, 0x6020c0c
	v_perm_b32 v12, v13, v12, 0xc0c0703
	v_perm_b32 v13, v15, v14, 0x7030c0c
	s_waitcnt vmcnt(6)
	v_perm_b32 v14, v24, v23, 0xc0c0400
	v_perm_b32 v15, v26, v25, 0x4000c0c
	v_perm_b32 v42, v24, v23, 0xc0c0501
	v_perm_b32 v43, v26, v25, 0x5010c0c
	v_perm_b32 v44, v24, v23, 0xc0c0602
	v_perm_b32 v45, v26, v25, 0x6020c0c
	v_perm_b32 v23, v24, v23, 0xc0c0703
	v_perm_b32 v24, v26, v25, 0x7030c0c
	;; [unrolled: 9-line block ×4, first 2 shown]
	v_or_b32_e32 v17, v37, v17
	v_or_b32_e32 v33, v39, v38
	;; [unrolled: 1-line block ×4, first 2 shown]
	v_add_co_u32 v0, vcc_lo, 0x200, v0
	v_or_b32_e32 v13, v15, v14
	v_or_b32_e32 v14, v43, v42
	;; [unrolled: 1-line block ×4, first 2 shown]
	v_add_co_ci_u32_e32 v1, vcc_lo, 0, v1, vcc_lo
	v_add_co_u32 v5, vcc_lo, v5, 32
	v_add_co_ci_u32_e32 v6, vcc_lo, 0, v6, vcc_lo
	v_add_co_u32 v7, vcc_lo, v7, -4
	v_or_b32_e32 v24, v26, v25
	v_or_b32_e32 v25, v47, v46
	;; [unrolled: 1-line block ×4, first 2 shown]
	v_add_co_ci_u32_e32 v8, vcc_lo, -1, v8, vcc_lo
	v_add_co_u32 v9, vcc_lo, 0x100, v9
	v_or_b32_e32 v28, v30, v29
	v_or_b32_e32 v29, v51, v50
	v_add_co_ci_u32_e32 v10, vcc_lo, 0, v10, vcc_lo
	v_cmp_eq_u64_e32 vcc_lo, 0, v[7:8]
	s_or_b32 s6, vcc_lo, s6
	s_waitcnt vmcnt(3)
	v_dot4_i32_iu8 v17, v18, v17, v19 neg_lo:[1,1,0]
	v_dot4_i32_iu8 v19, v33, v18, v22 neg_lo:[1,1,0]
	;; [unrolled: 1-line block ×4, first 2 shown]
	v_or_b32_e32 v18, v53, v52
	s_waitcnt vmcnt(2)
	v_dot4_i32_iu8 v13, v35, v13, v17 neg_lo:[1,1,0]
	v_dot4_i32_iu8 v14, v14, v35, v19 neg_lo:[1,1,0]
	;; [unrolled: 1-line block ×4, first 2 shown]
	v_or_b32_e32 v17, v32, v31
	s_waitcnt vmcnt(1)
	v_dot4_i32_iu8 v13, v36, v24, v13 neg_lo:[1,1,0]
	v_dot4_i32_iu8 v14, v25, v36, v14 neg_lo:[1,1,0]
	;; [unrolled: 1-line block ×4, first 2 shown]
	s_waitcnt vmcnt(0)
	v_dot4_i32_iu8 v19, v16, v28, v13 neg_lo:[1,1,0]
	v_dot4_i32_iu8 v22, v29, v16, v14 neg_lo:[1,1,0]
	;; [unrolled: 1-line block ×4, first 2 shown]
	s_and_not1_b32 exec_lo, exec_lo, s6
	s_cbranch_execnz .LBB71_35
; %bb.36:
	s_or_b32 exec_lo, exec_lo, s6
.LBB71_37:
	s_delay_alu instid0(SALU_CYCLE_1) | instskip(SKIP_2) | instid1(VALU_DEP_1)
	s_or_b32 exec_lo, exec_lo, s2
	v_dual_mov_b32 v8, 0 :: v_dual_and_b32 v7, 3, v11
	s_mov_b32 s2, exec_lo
	v_cmpx_ne_u64_e32 0, v[7:8]
	s_cbranch_execz .LBB71_41
; %bb.38:
	v_lshlrev_b64 v[5:6], 3, v[5:6]
	v_lshlrev_b32_e32 v7, 1, v7
	s_mov_b32 s6, 0
	s_delay_alu instid0(VALU_DEP_2) | instskip(NEXT) | instid1(VALU_DEP_3)
	v_add_co_u32 v5, vcc_lo, s8, v5
	v_add_co_ci_u32_e32 v6, vcc_lo, s9, v6, vcc_lo
.LBB71_39:                              ; =>This Inner Loop Header: Depth=1
	global_load_b64 v[13:14], v[5:6], off
	global_load_b128 v[9:12], v[0:1], off
	s_waitcnt vmcnt(1)
	v_sub_co_u32 v13, vcc_lo, v13, s12
	v_subrev_co_ci_u32_e32 v14, vcc_lo, s15, v14, vcc_lo
	s_waitcnt vmcnt(0)
	v_perm_b32 v15, v12, v11, 0x4000c0c
	v_perm_b32 v16, v10, v9, 0xc0c0501
	;; [unrolled: 1-line block ×3, first 2 shown]
	v_lshlrev_b64 v[13:14], 2, v[13:14]
	v_perm_b32 v18, v10, v9, 0xc0c0602
	v_perm_b32 v23, v12, v11, 0x6020c0c
	s_waitcnt lgkmcnt(0)
	s_delay_alu instid0(VALU_DEP_3) | instskip(NEXT) | instid1(VALU_DEP_4)
	v_add_co_u32 v13, vcc_lo, s4, v13
	v_add_co_ci_u32_e32 v14, vcc_lo, s5, v14, vcc_lo
	v_add_co_u32 v0, vcc_lo, 0x80, v0
	v_add_co_ci_u32_e32 v1, vcc_lo, 0, v1, vcc_lo
	global_load_b32 v13, v[13:14], off
	v_add_co_u32 v5, vcc_lo, v5, 64
	v_add_co_ci_u32_e32 v6, vcc_lo, 0, v6, vcc_lo
	v_add_co_u32 v7, vcc_lo, v7, -2
	v_perm_b32 v14, v10, v9, 0xc0c0400
	v_perm_b32 v9, v10, v9, 0xc0c0703
	;; [unrolled: 1-line block ×3, first 2 shown]
	v_add_co_ci_u32_e32 v8, vcc_lo, -1, v8, vcc_lo
	s_delay_alu instid0(VALU_DEP_4)
	v_or_b32_e32 v11, v15, v14
	v_or_b32_e32 v12, v17, v16
	;; [unrolled: 1-line block ×4, first 2 shown]
	v_cmp_eq_u64_e32 vcc_lo, 0, v[7:8]
	s_or_b32 s6, vcc_lo, s6
	s_waitcnt vmcnt(0)
	v_dot4_i32_iu8 v19, v13, v11, v19 neg_lo:[1,1,0]
	v_dot4_i32_iu8 v22, v12, v13, v22 neg_lo:[1,1,0]
	;; [unrolled: 1-line block ×4, first 2 shown]
	s_and_not1_b32 exec_lo, exec_lo, s6
	s_cbranch_execnz .LBB71_39
; %bb.40:
	s_or_b32 exec_lo, exec_lo, s6
.LBB71_41:
	s_delay_alu instid0(SALU_CYCLE_1)
	s_or_b32 exec_lo, exec_lo, s2
.LBB71_42:
	s_delay_alu instid0(SALU_CYCLE_1)
	s_or_b32 exec_lo, exec_lo, s3
.LBB71_43:
	v_mbcnt_lo_u32_b32 v0, -1, 0
	s_mov_b32 s2, -1
	s_delay_alu instid0(VALU_DEP_1) | instskip(SKIP_2) | instid1(VALU_DEP_3)
	v_xor_b32_e32 v1, 4, v0
	v_xor_b32_e32 v8, 2, v0
	;; [unrolled: 1-line block ×3, first 2 shown]
	v_cmp_gt_i32_e32 vcc_lo, 32, v1
	v_cndmask_b32_e32 v1, v0, v1, vcc_lo
	s_delay_alu instid0(VALU_DEP_4) | instskip(SKIP_2) | instid1(VALU_DEP_2)
	v_cmp_gt_i32_e32 vcc_lo, 32, v8
	v_cndmask_b32_e32 v8, v0, v8, vcc_lo
	v_cmp_gt_i32_e32 vcc_lo, 32, v12
	v_lshlrev_b32_e32 v8, 2, v8
	v_dual_cndmask_b32 v0, v0, v12 :: v_dual_lshlrev_b32 v1, 2, v1
	v_cmp_eq_u32_e32 vcc_lo, 7, v2
	ds_bpermute_b32 v5, v1, v19
	ds_bpermute_b32 v6, v1, v22
	;; [unrolled: 1-line block ×4, first 2 shown]
	v_lshlrev_b32_e32 v12, 2, v0
	s_waitcnt lgkmcnt(0)
	v_add_nc_u32_e32 v5, v5, v19
	v_add_nc_u32_e32 v6, v6, v22
	;; [unrolled: 1-line block ×4, first 2 shown]
	ds_bpermute_b32 v1, v8, v5
	ds_bpermute_b32 v10, v8, v6
	;; [unrolled: 1-line block ×4, first 2 shown]
	s_waitcnt lgkmcnt(3)
	v_add_nc_u32_e32 v0, v1, v5
	s_waitcnt lgkmcnt(2)
	v_add_nc_u32_e32 v1, v10, v6
	s_waitcnt lgkmcnt(1)
	v_add_nc_u32_e32 v5, v11, v7
	s_waitcnt lgkmcnt(0)
	v_add_nc_u32_e32 v6, v8, v9
	ds_bpermute_b32 v7, v12, v0
	ds_bpermute_b32 v8, v12, v1
	;; [unrolled: 1-line block ×4, first 2 shown]
	s_and_b32 exec_lo, exec_lo, vcc_lo
	s_cbranch_execz .LBB71_14
; %bb.44:
	s_load_b64 s[0:1], s[0:1], 0x58
	s_waitcnt lgkmcnt(0)
	v_add_nc_u32_e32 v0, v7, v0
	v_add_nc_u32_e32 v1, v8, v1
	;; [unrolled: 1-line block ×4, first 2 shown]
	v_lshlrev_b64 v[3:4], 4, v[3:4]
	v_mul_lo_u32 v0, v0, s13
	v_mul_lo_u32 v1, v1, s13
	;; [unrolled: 1-line block ×4, first 2 shown]
	s_cmp_eq_u32 s16, 0
	s_cbranch_scc1 .LBB71_46
; %bb.45:
	v_add_co_u32 v13, vcc_lo, s0, v3
	v_add_co_ci_u32_e32 v14, vcc_lo, s1, v4, vcc_lo
	s_mov_b32 s2, 0
	global_load_b128 v[6:9], v[13:14], off
	s_waitcnt vmcnt(0)
	v_mad_u64_u32 v[15:16], null, v9, s16, v[5:6]
	v_mad_u64_u32 v[9:10], null, v6, s16, v[0:1]
	;; [unrolled: 1-line block ×4, first 2 shown]
	s_delay_alu instid0(VALU_DEP_4)
	v_mov_b32_e32 v12, v15
	global_store_b128 v[13:14], v[9:12], off
.LBB71_46:
	s_and_not1_b32 vcc_lo, exec_lo, s2
	s_cbranch_vccnz .LBB71_14
; %bb.47:
	v_add_co_u32 v6, vcc_lo, s0, v3
	v_add_co_ci_u32_e32 v7, vcc_lo, s1, v4, vcc_lo
	s_delay_alu instid0(VALU_DEP_3)
	v_mov_b32_e32 v3, v5
	global_store_b128 v[6:7], v[0:3], off
	s_nop 0
	s_sendmsg sendmsg(MSG_DEALLOC_VGPRS)
	s_endpgm
	.section	.rodata,"a",@progbits
	.p2align	6, 0x0
	.amdhsa_kernel _ZN9rocsparseL18bsrxmvn_4x4_kernelILj128ELj8EillaaiEEvT3_20rocsparse_direction_NS_24const_host_device_scalarIT1_EES1_PKS1_PKT2_SA_S7_PKT4_PKT5_S5_PT6_21rocsparse_index_base_b
		.amdhsa_group_segment_fixed_size 0
		.amdhsa_private_segment_fixed_size 0
		.amdhsa_kernarg_size 104
		.amdhsa_user_sgpr_count 15
		.amdhsa_user_sgpr_dispatch_ptr 0
		.amdhsa_user_sgpr_queue_ptr 0
		.amdhsa_user_sgpr_kernarg_segment_ptr 1
		.amdhsa_user_sgpr_dispatch_id 0
		.amdhsa_user_sgpr_private_segment_size 0
		.amdhsa_wavefront_size32 1
		.amdhsa_uses_dynamic_stack 0
		.amdhsa_enable_private_segment 0
		.amdhsa_system_sgpr_workgroup_id_x 1
		.amdhsa_system_sgpr_workgroup_id_y 0
		.amdhsa_system_sgpr_workgroup_id_z 0
		.amdhsa_system_sgpr_workgroup_info 0
		.amdhsa_system_vgpr_workitem_id 0
		.amdhsa_next_free_vgpr 68
		.amdhsa_next_free_sgpr 17
		.amdhsa_reserve_vcc 1
		.amdhsa_float_round_mode_32 0
		.amdhsa_float_round_mode_16_64 0
		.amdhsa_float_denorm_mode_32 3
		.amdhsa_float_denorm_mode_16_64 3
		.amdhsa_dx10_clamp 1
		.amdhsa_ieee_mode 1
		.amdhsa_fp16_overflow 0
		.amdhsa_workgroup_processor_mode 1
		.amdhsa_memory_ordered 1
		.amdhsa_forward_progress 0
		.amdhsa_shared_vgpr_count 0
		.amdhsa_exception_fp_ieee_invalid_op 0
		.amdhsa_exception_fp_denorm_src 0
		.amdhsa_exception_fp_ieee_div_zero 0
		.amdhsa_exception_fp_ieee_overflow 0
		.amdhsa_exception_fp_ieee_underflow 0
		.amdhsa_exception_fp_ieee_inexact 0
		.amdhsa_exception_int_div_zero 0
	.end_amdhsa_kernel
	.section	.text._ZN9rocsparseL18bsrxmvn_4x4_kernelILj128ELj8EillaaiEEvT3_20rocsparse_direction_NS_24const_host_device_scalarIT1_EES1_PKS1_PKT2_SA_S7_PKT4_PKT5_S5_PT6_21rocsparse_index_base_b,"axG",@progbits,_ZN9rocsparseL18bsrxmvn_4x4_kernelILj128ELj8EillaaiEEvT3_20rocsparse_direction_NS_24const_host_device_scalarIT1_EES1_PKS1_PKT2_SA_S7_PKT4_PKT5_S5_PT6_21rocsparse_index_base_b,comdat
.Lfunc_end71:
	.size	_ZN9rocsparseL18bsrxmvn_4x4_kernelILj128ELj8EillaaiEEvT3_20rocsparse_direction_NS_24const_host_device_scalarIT1_EES1_PKS1_PKT2_SA_S7_PKT4_PKT5_S5_PT6_21rocsparse_index_base_b, .Lfunc_end71-_ZN9rocsparseL18bsrxmvn_4x4_kernelILj128ELj8EillaaiEEvT3_20rocsparse_direction_NS_24const_host_device_scalarIT1_EES1_PKS1_PKT2_SA_S7_PKT4_PKT5_S5_PT6_21rocsparse_index_base_b
                                        ; -- End function
	.section	.AMDGPU.csdata,"",@progbits
; Kernel info:
; codeLenInByte = 4132
; NumSgprs: 19
; NumVgprs: 68
; ScratchSize: 0
; MemoryBound: 0
; FloatMode: 240
; IeeeMode: 1
; LDSByteSize: 0 bytes/workgroup (compile time only)
; SGPRBlocks: 2
; VGPRBlocks: 8
; NumSGPRsForWavesPerEU: 19
; NumVGPRsForWavesPerEU: 68
; Occupancy: 16
; WaveLimiterHint : 1
; COMPUTE_PGM_RSRC2:SCRATCH_EN: 0
; COMPUTE_PGM_RSRC2:USER_SGPR: 15
; COMPUTE_PGM_RSRC2:TRAP_HANDLER: 0
; COMPUTE_PGM_RSRC2:TGID_X_EN: 1
; COMPUTE_PGM_RSRC2:TGID_Y_EN: 0
; COMPUTE_PGM_RSRC2:TGID_Z_EN: 0
; COMPUTE_PGM_RSRC2:TIDIG_COMP_CNT: 0
	.section	.text._ZN9rocsparseL18bsrxmvn_4x4_kernelILj128ELj16EillaaiEEvT3_20rocsparse_direction_NS_24const_host_device_scalarIT1_EES1_PKS1_PKT2_SA_S7_PKT4_PKT5_S5_PT6_21rocsparse_index_base_b,"axG",@progbits,_ZN9rocsparseL18bsrxmvn_4x4_kernelILj128ELj16EillaaiEEvT3_20rocsparse_direction_NS_24const_host_device_scalarIT1_EES1_PKS1_PKT2_SA_S7_PKT4_PKT5_S5_PT6_21rocsparse_index_base_b,comdat
	.globl	_ZN9rocsparseL18bsrxmvn_4x4_kernelILj128ELj16EillaaiEEvT3_20rocsparse_direction_NS_24const_host_device_scalarIT1_EES1_PKS1_PKT2_SA_S7_PKT4_PKT5_S5_PT6_21rocsparse_index_base_b ; -- Begin function _ZN9rocsparseL18bsrxmvn_4x4_kernelILj128ELj16EillaaiEEvT3_20rocsparse_direction_NS_24const_host_device_scalarIT1_EES1_PKS1_PKT2_SA_S7_PKT4_PKT5_S5_PT6_21rocsparse_index_base_b
	.p2align	8
	.type	_ZN9rocsparseL18bsrxmvn_4x4_kernelILj128ELj16EillaaiEEvT3_20rocsparse_direction_NS_24const_host_device_scalarIT1_EES1_PKS1_PKT2_SA_S7_PKT4_PKT5_S5_PT6_21rocsparse_index_base_b,@function
_ZN9rocsparseL18bsrxmvn_4x4_kernelILj128ELj16EillaaiEEvT3_20rocsparse_direction_NS_24const_host_device_scalarIT1_EES1_PKS1_PKT2_SA_S7_PKT4_PKT5_S5_PT6_21rocsparse_index_base_b: ; @_ZN9rocsparseL18bsrxmvn_4x4_kernelILj128ELj16EillaaiEEvT3_20rocsparse_direction_NS_24const_host_device_scalarIT1_EES1_PKS1_PKT2_SA_S7_PKT4_PKT5_S5_PT6_21rocsparse_index_base_b
; %bb.0:
	s_clause 0x1
	s_load_b64 s[12:13], s[0:1], 0x60
	s_load_b128 s[4:7], s[0:1], 0x10
	s_mov_b32 s9, -1
	s_waitcnt lgkmcnt(0)
	s_bitcmp1_b32 s13, 0
                                        ; implicit-def: $sgpr13
	s_cselect_b32 s2, -1, 0
	s_delay_alu instid0(SALU_CYCLE_1) | instskip(NEXT) | instid1(SALU_CYCLE_1)
	s_xor_b32 s8, s2, -1
	s_and_b32 vcc_lo, exec_lo, s8
	s_cbranch_vccnz .LBB72_4
; %bb.1:
	s_load_b64 s[2:3], s[0:1], 0x50
	s_and_not1_b32 vcc_lo, exec_lo, s9
	s_cbranch_vccz .LBB72_5
.LBB72_2:
	s_and_b32 vcc_lo, exec_lo, s8
	s_cbranch_vccz .LBB72_6
.LBB72_3:
	s_waitcnt lgkmcnt(0)
	s_load_b32 s16, s[2:3], 0x0
	s_cbranch_execz .LBB72_7
	s_branch .LBB72_8
.LBB72_4:
	s_load_b32 s13, s[4:5], 0x0
	s_load_b64 s[2:3], s[0:1], 0x50
	s_cbranch_execnz .LBB72_2
.LBB72_5:
	s_waitcnt lgkmcnt(0)
	s_mov_b32 s13, s4
	s_and_b32 vcc_lo, exec_lo, s8
	s_cbranch_vccnz .LBB72_3
.LBB72_6:
	s_waitcnt lgkmcnt(0)
                                        ; implicit-def: $sgpr16
.LBB72_7:
	s_waitcnt lgkmcnt(0)
	s_mov_b32 s16, s2
.LBB72_8:
	s_cmp_lg_u32 s13, 0
	s_mov_b32 s4, 0
	s_cselect_b32 s2, -1, 0
	s_waitcnt lgkmcnt(0)
	s_cmp_lg_u32 s16, 1
	s_cselect_b32 s3, -1, 0
	s_delay_alu instid0(SALU_CYCLE_1) | instskip(NEXT) | instid1(SALU_CYCLE_1)
	s_or_b32 s2, s2, s3
	s_and_not1_b32 vcc_lo, exec_lo, s2
	s_cbranch_vccnz .LBB72_14
; %bb.9:
	s_load_b64 s[2:3], s[0:1], 0x20
	v_lshrrev_b32_e32 v1, 4, v0
	v_mov_b32_e32 v2, 0
	s_delay_alu instid0(VALU_DEP_2)
	v_lshl_or_b32 v1, s15, 3, v1
	s_waitcnt lgkmcnt(0)
	s_cmp_lg_u64 s[2:3], 0
	s_cbranch_scc0 .LBB72_15
; %bb.10:
	s_delay_alu instid0(VALU_DEP_1) | instskip(SKIP_2) | instid1(SALU_CYCLE_1)
	v_cmp_gt_i64_e32 vcc_lo, s[6:7], v[1:2]
	s_mov_b32 s5, 0
                                        ; implicit-def: $vgpr3_vgpr4
	s_and_saveexec_b32 s6, vcc_lo
	s_xor_b32 s6, exec_lo, s6
                                        ; implicit-def: $sgpr14_sgpr15
	s_cbranch_execz .LBB72_12
; %bb.11:
	v_lshlrev_b64 v[3:4], 3, v[1:2]
	s_mov_b32 s4, exec_lo
	s_mov_b32 s15, 0
	s_delay_alu instid0(VALU_DEP_1) | instskip(NEXT) | instid1(VALU_DEP_2)
	v_add_co_u32 v3, vcc_lo, s2, v3
	v_add_co_ci_u32_e32 v4, vcc_lo, s3, v4, vcc_lo
	global_load_b64 v[3:4], v[3:4], off
	s_waitcnt vmcnt(0)
	v_sub_co_u32 v3, vcc_lo, v3, s12
	v_subrev_co_ci_u32_e32 v4, vcc_lo, 0, v4, vcc_lo
.LBB72_12:
	s_or_b32 exec_lo, exec_lo, s6
	s_delay_alu instid0(SALU_CYCLE_1)
	s_and_b32 vcc_lo, exec_lo, s5
	s_cbranch_vccnz .LBB72_16
.LBB72_13:
	s_and_saveexec_b32 s2, s4
	s_cbranch_execnz .LBB72_19
.LBB72_14:
	s_nop 0
	s_sendmsg sendmsg(MSG_DEALLOC_VGPRS)
	s_endpgm
.LBB72_15:
                                        ; implicit-def: $vgpr3_vgpr4
                                        ; implicit-def: $sgpr14_sgpr15
	s_cbranch_execz .LBB72_13
.LBB72_16:
	s_load_b64 s[2:3], s[0:1], 0x0
                                        ; implicit-def: $vgpr3_vgpr4
	s_waitcnt lgkmcnt(0)
	v_cmp_gt_i64_e32 vcc_lo, s[2:3], v[1:2]
	s_and_saveexec_b32 s2, vcc_lo
                                        ; implicit-def: $sgpr14_sgpr15
; %bb.17:
	v_dual_mov_b32 v4, v2 :: v_dual_mov_b32 v3, v1
	s_mov_b32 s15, 0
	s_or_b32 s4, s4, exec_lo
; %bb.18:
	s_or_b32 exec_lo, exec_lo, s2
	s_and_saveexec_b32 s2, s4
	s_cbranch_execz .LBB72_14
.LBB72_19:
	s_load_b256 s[4:11], s[0:1], 0x28
	v_lshlrev_b64 v[1:2], 3, v[3:4]
	s_load_b32 s3, s[0:1], 0x8
	v_mov_b32_e32 v20, 0
	s_waitcnt lgkmcnt(0)
	s_delay_alu instid0(VALU_DEP_2) | instskip(NEXT) | instid1(VALU_DEP_3)
	v_add_co_u32 v5, vcc_lo, s4, v1
	v_add_co_ci_u32_e32 v6, vcc_lo, s5, v2, vcc_lo
	v_add_co_u32 v1, vcc_lo, s6, v1
	v_add_co_ci_u32_e32 v2, vcc_lo, s7, v2, vcc_lo
	s_delay_alu instid0(VALU_DEP_4)
	v_add_co_u32 v9, vcc_lo, v5, 8
	global_load_b64 v[7:8], v[5:6], off
	v_add_co_ci_u32_e32 v10, vcc_lo, 0, v6, vcc_lo
	s_cmp_eq_u64 s[6:7], 0
	s_load_b64 s[4:5], s[0:1], 0x48
	s_cselect_b32 vcc_lo, -1, 0
	s_cmp_eq_u32 s3, 1
	v_dual_cndmask_b32 v2, v2, v10 :: v_dual_cndmask_b32 v1, v1, v9
	global_load_b64 v[9:10], v[1:2], off
	v_and_b32_e32 v2, 15, v0
	s_waitcnt vmcnt(1)
	v_sub_co_u32 v0, vcc_lo, v7, s12
	v_subrev_co_ci_u32_e32 v1, vcc_lo, s15, v8, vcc_lo
	s_delay_alu instid0(VALU_DEP_2) | instskip(NEXT) | instid1(VALU_DEP_2)
	v_add_co_u32 v5, vcc_lo, v0, v2
	v_add_co_ci_u32_e32 v6, vcc_lo, 0, v1, vcc_lo
	s_delay_alu instid0(VALU_DEP_1) | instskip(SKIP_3) | instid1(VALU_DEP_3)
	v_lshlrev_b64 v[0:1], 4, v[5:6]
	s_waitcnt vmcnt(0)
	v_sub_co_u32 v9, vcc_lo, v9, s12
	v_subrev_co_ci_u32_e32 v10, vcc_lo, s15, v10, vcc_lo
	v_add_co_u32 v0, vcc_lo, s10, v0
	s_delay_alu instid0(VALU_DEP_2)
	v_cmp_lt_i64_e64 s2, v[5:6], v[9:10]
	v_add_co_ci_u32_e32 v1, vcc_lo, s11, v1, vcc_lo
	s_cbranch_scc1 .LBB72_31
; %bb.20:
	v_dual_mov_b32 v21, 0 :: v_dual_mov_b32 v22, 0
	v_mov_b32_e32 v19, 0
	s_mov_b32 s6, 0
	s_and_saveexec_b32 s7, s2
	s_cbranch_execz .LBB72_30
; %bb.21:
	v_or_b32_e32 v11, 16, v2
	v_not_b32_e32 v14, v7
	v_not_b32_e32 v13, v8
	v_dual_mov_b32 v19, 0 :: v_dual_mov_b32 v22, 0
	s_delay_alu instid0(VALU_DEP_4) | instskip(NEXT) | instid1(VALU_DEP_1)
	v_sub_co_u32 v11, s3, v11, s12
	v_sub_co_ci_u32_e64 v12, null, 0, s15, s3
	v_sub_co_u32 v15, s3, s12, v2
	s_delay_alu instid0(VALU_DEP_3) | instskip(NEXT) | instid1(VALU_DEP_3)
	v_add_co_u32 v11, vcc_lo, v11, v7
	v_add_co_ci_u32_e32 v12, vcc_lo, v12, v8, vcc_lo
	v_sub_co_ci_u32_e64 v16, null, s15, 0, s3
	v_dual_mov_b32 v21, 0 :: v_dual_mov_b32 v20, 0
	s_delay_alu instid0(VALU_DEP_3) | instskip(SKIP_4) | instid1(VALU_DEP_2)
	v_cmp_gt_i64_e32 vcc_lo, v[11:12], v[9:10]
	s_mov_b32 s10, 0
	v_dual_cndmask_b32 v12, v10, v12 :: v_dual_cndmask_b32 v11, v9, v11
	v_add_co_u32 v14, vcc_lo, v15, v14
	v_add_co_ci_u32_e32 v13, vcc_lo, v16, v13, vcc_lo
	v_add_co_u32 v11, vcc_lo, v14, v11
	s_delay_alu instid0(VALU_DEP_2) | instskip(SKIP_1) | instid1(VALU_DEP_2)
	v_add_co_ci_u32_e32 v12, vcc_lo, v13, v12, vcc_lo
	v_dual_mov_b32 v14, v6 :: v_dual_mov_b32 v13, v5
	v_lshrrev_b64 v[15:16], 4, v[11:12]
	v_cmp_lt_u64_e32 vcc_lo, 47, v[11:12]
	v_dual_mov_b32 v12, v1 :: v_dual_mov_b32 v11, v0
	s_delay_alu instid0(VALU_DEP_3) | instskip(NEXT) | instid1(VALU_DEP_1)
	v_add_co_u32 v23, s3, v15, 1
	v_add_co_ci_u32_e64 v16, s3, 0, v16, s3
	s_and_saveexec_b32 s3, vcc_lo
	s_cbranch_execz .LBB72_25
; %bb.22:
	v_lshlrev_b64 v[11:12], 3, v[5:6]
	v_dual_mov_b32 v20, 0 :: v_dual_and_b32 v15, -4, v23
	v_dual_mov_b32 v21, 0 :: v_dual_mov_b32 v22, 0
	v_mov_b32_e32 v19, 0
	s_delay_alu instid0(VALU_DEP_4) | instskip(SKIP_2) | instid1(VALU_DEP_3)
	v_add_co_u32 v13, vcc_lo, v11, s8
	v_add_co_ci_u32_e32 v14, vcc_lo, s9, v12, vcc_lo
	v_dual_mov_b32 v12, v1 :: v_dual_mov_b32 v11, v0
	v_add_co_u32 v17, vcc_lo, 0x100, v13
	s_delay_alu instid0(VALU_DEP_3)
	v_add_co_ci_u32_e32 v18, vcc_lo, 0, v14, vcc_lo
	v_dual_mov_b32 v14, v6 :: v_dual_mov_b32 v13, v5
.LBB72_23:                              ; =>This Inner Loop Header: Depth=1
	s_clause 0x3
	global_load_b64 v[40:41], v[17:18], off offset:-256
	global_load_b64 v[42:43], v[17:18], off offset:-128
	global_load_b64 v[44:45], v[17:18], off
	global_load_b64 v[46:47], v[17:18], off offset:128
	s_clause 0x3
	global_load_b128 v[24:27], v[11:12], off
	global_load_b128 v[28:31], v[11:12], off offset:256
	global_load_b128 v[32:35], v[11:12], off offset:512
	;; [unrolled: 1-line block ×3, first 2 shown]
	s_waitcnt vmcnt(7)
	v_sub_co_u32 v40, vcc_lo, v40, s12
	v_subrev_co_ci_u32_e32 v41, vcc_lo, s15, v41, vcc_lo
	s_waitcnt vmcnt(6)
	v_sub_co_u32 v42, vcc_lo, v42, s12
	v_subrev_co_ci_u32_e32 v43, vcc_lo, s15, v43, vcc_lo
	s_waitcnt vmcnt(5)
	v_sub_co_u32 v44, vcc_lo, v44, s12
	v_lshlrev_b64 v[40:41], 2, v[40:41]
	v_subrev_co_ci_u32_e32 v45, vcc_lo, s15, v45, vcc_lo
	s_waitcnt vmcnt(4)
	v_sub_co_u32 v46, vcc_lo, v46, s12
	v_lshlrev_b64 v[42:43], 2, v[42:43]
	v_subrev_co_ci_u32_e32 v47, vcc_lo, s15, v47, vcc_lo
	v_lshlrev_b64 v[44:45], 2, v[44:45]
	s_waitcnt lgkmcnt(0)
	v_add_co_u32 v40, vcc_lo, s4, v40
	v_add_co_ci_u32_e32 v41, vcc_lo, s5, v41, vcc_lo
	v_lshlrev_b64 v[46:47], 2, v[46:47]
	v_add_co_u32 v42, vcc_lo, s4, v42
	v_add_co_ci_u32_e32 v43, vcc_lo, s5, v43, vcc_lo
	v_add_co_u32 v44, vcc_lo, s4, v44
	v_add_co_ci_u32_e32 v45, vcc_lo, s5, v45, vcc_lo
	;; [unrolled: 2-line block ×3, first 2 shown]
	s_clause 0x3
	global_load_b32 v40, v[40:41], off
	global_load_b32 v41, v[42:43], off
	;; [unrolled: 1-line block ×4, first 2 shown]
	s_waitcnt vmcnt(7)
	v_lshrrev_b16 v44, 8, v24
	v_ashrrev_i32_e32 v45, 24, v24
	s_waitcnt vmcnt(6)
	v_lshrrev_b16 v47, 8, v28
	v_ashrrev_i32_e32 v48, 24, v28
	;; [unrolled: 3-line block ×3, first 2 shown]
	v_bfe_i32 v52, v32, 16, 8
	v_bfe_i32 v32, v32, 0, 8
	;; [unrolled: 1-line block ×6, first 2 shown]
	s_waitcnt vmcnt(4)
	v_lshrrev_b16 v53, 8, v36
	v_ashrrev_i32_e32 v54, 24, v36
	v_bfe_i32 v44, v44, 0, 8
	v_bfe_i32 v47, v47, 0, 8
	;; [unrolled: 1-line block ×3, first 2 shown]
	v_add_co_u32 v11, vcc_lo, 0x400, v11
	v_bfe_i32 v55, v36, 16, 8
	v_bfe_i32 v36, v36, 0, 8
	;; [unrolled: 1-line block ×3, first 2 shown]
	v_add_co_ci_u32_e32 v12, vcc_lo, 0, v12, vcc_lo
	v_add_co_u32 v13, vcc_lo, v13, 64
	v_add_co_ci_u32_e32 v14, vcc_lo, 0, v14, vcc_lo
	v_add_co_u32 v15, vcc_lo, v15, -4
	v_add_co_ci_u32_e32 v16, vcc_lo, -1, v16, vcc_lo
	v_add_co_u32 v17, vcc_lo, 0x200, v17
	v_add_co_ci_u32_e32 v18, vcc_lo, 0, v18, vcc_lo
	s_delay_alu instid0(VALU_DEP_3)
	v_cmp_eq_u64_e32 vcc_lo, 0, v[15:16]
	s_or_b32 s10, vcc_lo, s10
	s_waitcnt vmcnt(3)
	v_lshrrev_b16 v56, 8, v40
	v_ashrrev_i32_e32 v57, 24, v40
	v_dot4_i32_iu8 v22, v40, v25, v22 neg_lo:[1,1,0]
	v_dot4_i32_iu8 v21, v40, v26, v21 neg_lo:[1,1,0]
	s_waitcnt vmcnt(2)
	v_lshrrev_b16 v25, 8, v41
	v_ashrrev_i32_e32 v26, 24, v41
	s_waitcnt vmcnt(1)
	v_lshrrev_b16 v60, 8, v42
	v_ashrrev_i32_e32 v61, 24, v42
	v_bfe_i32 v63, v42, 0, 8
	v_bfe_i32 v58, v40, 16, 8
	;; [unrolled: 1-line block ×3, first 2 shown]
	v_dot4_i32_iu8 v20, v40, v27, v20 neg_lo:[1,1,0]
	v_bfe_i32 v27, v41, 16, 8
	v_bfe_i32 v40, v41, 0, 8
	;; [unrolled: 1-line block ×3, first 2 shown]
	s_waitcnt vmcnt(0)
	v_lshrrev_b16 v64, 8, v43
	v_ashrrev_i32_e32 v65, 24, v43
	v_bfe_i32 v56, v56, 0, 8
	v_mul_i32_i24_e32 v45, v57, v45
	v_bfe_i32 v25, v25, 0, 8
	v_mul_i32_i24_e32 v26, v26, v48
	v_dot4_i32_iu8 v22, v41, v29, v22 neg_lo:[1,1,0]
	v_dot4_i32_iu8 v21, v41, v30, v21 neg_lo:[1,1,0]
	v_bfe_i32 v29, v60, 0, 8
	v_mul_i32_i24_e32 v30, v63, v32
	v_mul_i32_i24_e32 v32, v61, v51
	v_bfe_i32 v66, v43, 16, 8
	v_bfe_i32 v67, v43, 0, 8
	v_mul_i32_i24_e32 v24, v59, v24
	v_mul_i32_i24_e32 v46, v58, v46
	;; [unrolled: 1-line block ×4, first 2 shown]
	v_dot4_i32_iu8 v20, v41, v31, v20 neg_lo:[1,1,0]
	v_mul_i32_i24_e32 v31, v62, v52
	v_bfe_i32 v40, v64, 0, 8
	v_mul_i32_i24_e32 v41, v65, v54
	v_mad_i32_i24 v44, v56, v44, v45
	v_mad_i32_i24 v25, v25, v47, v26
	;; [unrolled: 1-line block ×3, first 2 shown]
	v_mul_i32_i24_e32 v36, v67, v36
	v_mul_i32_i24_e32 v29, v66, v55
	v_mad_i32_i24 v32, v40, v53, v41
	v_add3_u32 v24, v24, v46, v44
	v_add3_u32 v25, v28, v27, v25
	;; [unrolled: 1-line block ×3, first 2 shown]
	v_dot4_i32_iu8 v22, v42, v33, v22 neg_lo:[1,1,0]
	v_dot4_i32_iu8 v21, v42, v34, v21 neg_lo:[1,1,0]
	;; [unrolled: 1-line block ×3, first 2 shown]
	v_add3_u32 v27, v36, v29, v32
	v_add3_u32 v24, v24, v25, v26
	v_dot4_i32_iu8 v22, v43, v37, v22 neg_lo:[1,1,0]
	v_dot4_i32_iu8 v21, v43, v38, v21 neg_lo:[1,1,0]
	;; [unrolled: 1-line block ×3, first 2 shown]
	s_delay_alu instid0(VALU_DEP_4)
	v_add3_u32 v19, v24, v27, v19
	s_and_not1_b32 exec_lo, exec_lo, s10
	s_cbranch_execnz .LBB72_23
; %bb.24:
	s_or_b32 exec_lo, exec_lo, s10
.LBB72_25:
	s_delay_alu instid0(SALU_CYCLE_1) | instskip(SKIP_2) | instid1(VALU_DEP_1)
	s_or_b32 exec_lo, exec_lo, s3
	v_dual_mov_b32 v16, 0 :: v_dual_and_b32 v15, 3, v23
	s_mov_b32 s3, exec_lo
	v_cmpx_ne_u64_e32 0, v[15:16]
	s_cbranch_execz .LBB72_29
; %bb.26:
	v_lshlrev_b64 v[13:14], 3, v[13:14]
	v_lshlrev_b32_e32 v15, 1, v15
	s_mov_b32 s10, 0
	s_delay_alu instid0(VALU_DEP_2) | instskip(NEXT) | instid1(VALU_DEP_3)
	v_add_co_u32 v13, vcc_lo, s8, v13
	v_add_co_ci_u32_e32 v14, vcc_lo, s9, v14, vcc_lo
.LBB72_27:                              ; =>This Inner Loop Header: Depth=1
	global_load_b64 v[17:18], v[13:14], off
	s_waitcnt vmcnt(0)
	v_sub_co_u32 v17, vcc_lo, v17, s12
	v_subrev_co_ci_u32_e32 v18, vcc_lo, s15, v18, vcc_lo
	s_delay_alu instid0(VALU_DEP_1) | instskip(SKIP_1) | instid1(VALU_DEP_1)
	v_lshlrev_b64 v[17:18], 2, v[17:18]
	s_waitcnt lgkmcnt(0)
	v_add_co_u32 v17, vcc_lo, s4, v17
	s_delay_alu instid0(VALU_DEP_2)
	v_add_co_ci_u32_e32 v18, vcc_lo, s5, v18, vcc_lo
	global_load_b128 v[23:26], v[11:12], off
	global_load_b32 v17, v[17:18], off
	v_add_co_u32 v11, vcc_lo, 0x100, v11
	v_add_co_ci_u32_e32 v12, vcc_lo, 0, v12, vcc_lo
	v_add_co_u32 v15, vcc_lo, v15, -2
	v_add_co_ci_u32_e32 v16, vcc_lo, -1, v16, vcc_lo
	v_add_co_u32 v13, vcc_lo, 0x80, v13
	v_add_co_ci_u32_e32 v14, vcc_lo, 0, v14, vcc_lo
	s_delay_alu instid0(VALU_DEP_3)
	v_cmp_eq_u64_e32 vcc_lo, 0, v[15:16]
	s_or_b32 s10, vcc_lo, s10
	s_waitcnt vmcnt(1)
	v_lshrrev_b16 v18, 8, v23
	v_ashrrev_i32_e32 v27, 24, v23
	v_bfe_i32 v28, v23, 0, 8
	v_bfe_i32 v23, v23, 16, 8
	s_waitcnt vmcnt(0)
	v_lshrrev_b16 v29, 8, v17
	v_bfe_i32 v30, v17, 16, 8
	v_ashrrev_i32_e32 v31, 24, v17
	v_bfe_i32 v18, v18, 0, 8
	v_bfe_i32 v32, v17, 0, 8
	;; [unrolled: 1-line block ×3, first 2 shown]
	v_mul_i32_i24_e32 v23, v30, v23
	v_mul_i32_i24_e32 v27, v31, v27
	v_dot4_i32_iu8 v22, v17, v24, v22 neg_lo:[1,1,0]
	v_dot4_i32_iu8 v21, v17, v25, v21 neg_lo:[1,1,0]
	;; [unrolled: 1-line block ×3, first 2 shown]
	v_mad_i32_i24 v23, v32, v28, v23
	v_mad_i32_i24 v18, v29, v18, v27
	s_delay_alu instid0(VALU_DEP_1)
	v_add3_u32 v19, v23, v18, v19
	s_and_not1_b32 exec_lo, exec_lo, s10
	s_cbranch_execnz .LBB72_27
; %bb.28:
	s_or_b32 exec_lo, exec_lo, s10
.LBB72_29:
	s_delay_alu instid0(SALU_CYCLE_1)
	s_or_b32 exec_lo, exec_lo, s3
.LBB72_30:
	s_delay_alu instid0(SALU_CYCLE_1) | instskip(NEXT) | instid1(SALU_CYCLE_1)
	s_or_b32 exec_lo, exec_lo, s7
	s_and_not1_b32 vcc_lo, exec_lo, s6
	s_cbranch_vccz .LBB72_32
	s_branch .LBB72_43
.LBB72_31:
                                        ; implicit-def: $vgpr20
                                        ; implicit-def: $vgpr21
                                        ; implicit-def: $vgpr22
                                        ; implicit-def: $vgpr19
.LBB72_32:
	v_dual_mov_b32 v20, 0 :: v_dual_mov_b32 v21, 0
	v_dual_mov_b32 v22, 0 :: v_dual_mov_b32 v19, 0
	s_delay_alu instid0(VALU_DEP_4)
	s_and_saveexec_b32 s3, s2
	s_cbranch_execz .LBB72_42
; %bb.33:
	v_or_b32_e32 v11, 16, v2
	v_dual_mov_b32 v19, 0 :: v_dual_mov_b32 v22, 0
	v_dual_mov_b32 v21, 0 :: v_dual_mov_b32 v20, 0
	s_delay_alu instid0(VALU_DEP_3) | instskip(NEXT) | instid1(VALU_DEP_1)
	v_sub_co_u32 v11, s2, v11, s12
	v_sub_co_ci_u32_e64 v12, null, 0, s15, s2
	v_sub_co_u32 v13, s2, s12, v2
	s_delay_alu instid0(VALU_DEP_3) | instskip(NEXT) | instid1(VALU_DEP_3)
	v_add_co_u32 v11, vcc_lo, v11, v7
	v_add_co_ci_u32_e32 v12, vcc_lo, v12, v8, vcc_lo
	v_not_b32_e32 v7, v7
	v_not_b32_e32 v8, v8
	v_sub_co_ci_u32_e64 v14, null, s15, 0, s2
	s_delay_alu instid0(VALU_DEP_4) | instskip(SKIP_4) | instid1(VALU_DEP_2)
	v_cmp_gt_i64_e32 vcc_lo, v[11:12], v[9:10]
	s_mov_b32 s6, 0
	v_dual_cndmask_b32 v10, v10, v12 :: v_dual_cndmask_b32 v9, v9, v11
	v_add_co_u32 v7, vcc_lo, v13, v7
	v_add_co_ci_u32_e32 v8, vcc_lo, v14, v8, vcc_lo
	v_add_co_u32 v7, vcc_lo, v7, v9
	s_delay_alu instid0(VALU_DEP_2) | instskip(NEXT) | instid1(VALU_DEP_1)
	v_add_co_ci_u32_e32 v8, vcc_lo, v8, v10, vcc_lo
	v_lshrrev_b64 v[9:10], 4, v[7:8]
	v_cmp_lt_u64_e32 vcc_lo, 47, v[7:8]
	s_delay_alu instid0(VALU_DEP_2) | instskip(NEXT) | instid1(VALU_DEP_1)
	v_add_co_u32 v11, s2, v9, 1
	v_add_co_ci_u32_e64 v8, s2, 0, v10, s2
	s_and_saveexec_b32 s2, vcc_lo
	s_cbranch_execz .LBB72_37
; %bb.34:
	v_lshlrev_b64 v[9:10], 3, v[5:6]
	v_dual_mov_b32 v20, 0 :: v_dual_and_b32 v7, -4, v11
	v_dual_mov_b32 v21, 0 :: v_dual_mov_b32 v22, 0
	v_mov_b32_e32 v19, 0
	s_delay_alu instid0(VALU_DEP_4) | instskip(SKIP_1) | instid1(VALU_DEP_2)
	v_add_co_u32 v9, vcc_lo, v9, s8
	v_add_co_ci_u32_e32 v10, vcc_lo, s9, v10, vcc_lo
	v_add_co_u32 v9, vcc_lo, 0x100, v9
	s_delay_alu instid0(VALU_DEP_2)
	v_add_co_ci_u32_e32 v10, vcc_lo, 0, v10, vcc_lo
.LBB72_35:                              ; =>This Inner Loop Header: Depth=1
	s_clause 0x3
	global_load_b64 v[16:17], v[9:10], off offset:-256
	global_load_b64 v[35:36], v[9:10], off offset:-128
	global_load_b64 v[37:38], v[9:10], off
	global_load_b64 v[39:40], v[9:10], off offset:128
	s_clause 0x3
	global_load_b128 v[12:15], v[0:1], off
	global_load_b128 v[23:26], v[0:1], off offset:256
	global_load_b128 v[27:30], v[0:1], off offset:512
	;; [unrolled: 1-line block ×3, first 2 shown]
	s_waitcnt vmcnt(7)
	v_sub_co_u32 v16, vcc_lo, v16, s12
	v_subrev_co_ci_u32_e32 v17, vcc_lo, s15, v17, vcc_lo
	s_waitcnt vmcnt(6)
	v_sub_co_u32 v35, vcc_lo, v35, s12
	v_subrev_co_ci_u32_e32 v36, vcc_lo, s15, v36, vcc_lo
	s_waitcnt vmcnt(5)
	v_sub_co_u32 v37, vcc_lo, v37, s12
	v_lshlrev_b64 v[16:17], 2, v[16:17]
	v_subrev_co_ci_u32_e32 v38, vcc_lo, s15, v38, vcc_lo
	s_waitcnt vmcnt(4)
	v_sub_co_u32 v39, vcc_lo, v39, s12
	v_subrev_co_ci_u32_e32 v40, vcc_lo, s15, v40, vcc_lo
	v_lshlrev_b64 v[35:36], 2, v[35:36]
	s_waitcnt lgkmcnt(0)
	v_add_co_u32 v16, vcc_lo, s4, v16
	v_add_co_ci_u32_e32 v17, vcc_lo, s5, v17, vcc_lo
	v_lshlrev_b64 v[37:38], 2, v[37:38]
	s_delay_alu instid0(VALU_DEP_4)
	v_add_co_u32 v35, vcc_lo, s4, v35
	v_lshlrev_b64 v[39:40], 2, v[39:40]
	v_add_co_ci_u32_e32 v36, vcc_lo, s5, v36, vcc_lo
	global_load_b32 v18, v[16:17], off
	v_add_co_u32 v37, vcc_lo, s4, v37
	global_load_b32 v35, v[35:36], off
	v_add_co_ci_u32_e32 v38, vcc_lo, s5, v38, vcc_lo
	v_add_co_u32 v16, vcc_lo, s4, v39
	v_add_co_ci_u32_e32 v17, vcc_lo, s5, v40, vcc_lo
	s_clause 0x1
	global_load_b32 v36, v[37:38], off
	global_load_b32 v16, v[16:17], off
	s_waitcnt vmcnt(7)
	v_perm_b32 v17, v13, v12, 0xc0c0400
	v_perm_b32 v37, v15, v14, 0x4000c0c
	v_perm_b32 v38, v13, v12, 0xc0c0501
	v_perm_b32 v39, v15, v14, 0x5010c0c
	v_perm_b32 v40, v13, v12, 0xc0c0602
	v_perm_b32 v41, v15, v14, 0x6020c0c
	v_perm_b32 v12, v13, v12, 0xc0c0703
	v_perm_b32 v13, v15, v14, 0x7030c0c
	s_waitcnt vmcnt(6)
	v_perm_b32 v14, v24, v23, 0xc0c0400
	v_perm_b32 v15, v26, v25, 0x4000c0c
	v_perm_b32 v42, v24, v23, 0xc0c0501
	v_perm_b32 v43, v26, v25, 0x5010c0c
	v_perm_b32 v44, v24, v23, 0xc0c0602
	v_perm_b32 v45, v26, v25, 0x6020c0c
	v_perm_b32 v23, v24, v23, 0xc0c0703
	v_perm_b32 v24, v26, v25, 0x7030c0c
	;; [unrolled: 9-line block ×4, first 2 shown]
	v_or_b32_e32 v17, v37, v17
	v_or_b32_e32 v33, v39, v38
	;; [unrolled: 1-line block ×4, first 2 shown]
	v_add_co_u32 v0, vcc_lo, 0x400, v0
	v_or_b32_e32 v13, v15, v14
	v_or_b32_e32 v14, v43, v42
	;; [unrolled: 1-line block ×4, first 2 shown]
	v_add_co_ci_u32_e32 v1, vcc_lo, 0, v1, vcc_lo
	v_add_co_u32 v5, vcc_lo, v5, 64
	v_add_co_ci_u32_e32 v6, vcc_lo, 0, v6, vcc_lo
	v_add_co_u32 v7, vcc_lo, v7, -4
	v_or_b32_e32 v24, v26, v25
	v_or_b32_e32 v25, v47, v46
	;; [unrolled: 1-line block ×4, first 2 shown]
	v_add_co_ci_u32_e32 v8, vcc_lo, -1, v8, vcc_lo
	v_add_co_u32 v9, vcc_lo, 0x200, v9
	v_or_b32_e32 v28, v30, v29
	v_or_b32_e32 v29, v51, v50
	v_add_co_ci_u32_e32 v10, vcc_lo, 0, v10, vcc_lo
	v_cmp_eq_u64_e32 vcc_lo, 0, v[7:8]
	s_or_b32 s6, vcc_lo, s6
	s_waitcnt vmcnt(3)
	v_dot4_i32_iu8 v17, v18, v17, v19 neg_lo:[1,1,0]
	v_dot4_i32_iu8 v19, v33, v18, v22 neg_lo:[1,1,0]
	;; [unrolled: 1-line block ×4, first 2 shown]
	v_or_b32_e32 v18, v53, v52
	s_waitcnt vmcnt(2)
	v_dot4_i32_iu8 v13, v35, v13, v17 neg_lo:[1,1,0]
	v_dot4_i32_iu8 v14, v14, v35, v19 neg_lo:[1,1,0]
	;; [unrolled: 1-line block ×4, first 2 shown]
	v_or_b32_e32 v17, v32, v31
	s_waitcnt vmcnt(1)
	v_dot4_i32_iu8 v13, v36, v24, v13 neg_lo:[1,1,0]
	v_dot4_i32_iu8 v14, v25, v36, v14 neg_lo:[1,1,0]
	;; [unrolled: 1-line block ×4, first 2 shown]
	s_waitcnt vmcnt(0)
	v_dot4_i32_iu8 v19, v16, v28, v13 neg_lo:[1,1,0]
	v_dot4_i32_iu8 v22, v29, v16, v14 neg_lo:[1,1,0]
	;; [unrolled: 1-line block ×4, first 2 shown]
	s_and_not1_b32 exec_lo, exec_lo, s6
	s_cbranch_execnz .LBB72_35
; %bb.36:
	s_or_b32 exec_lo, exec_lo, s6
.LBB72_37:
	s_delay_alu instid0(SALU_CYCLE_1) | instskip(SKIP_2) | instid1(VALU_DEP_1)
	s_or_b32 exec_lo, exec_lo, s2
	v_dual_mov_b32 v8, 0 :: v_dual_and_b32 v7, 3, v11
	s_mov_b32 s2, exec_lo
	v_cmpx_ne_u64_e32 0, v[7:8]
	s_cbranch_execz .LBB72_41
; %bb.38:
	v_lshlrev_b64 v[5:6], 3, v[5:6]
	v_lshlrev_b32_e32 v7, 1, v7
	s_mov_b32 s6, 0
	s_delay_alu instid0(VALU_DEP_2) | instskip(NEXT) | instid1(VALU_DEP_3)
	v_add_co_u32 v5, vcc_lo, s8, v5
	v_add_co_ci_u32_e32 v6, vcc_lo, s9, v6, vcc_lo
.LBB72_39:                              ; =>This Inner Loop Header: Depth=1
	global_load_b64 v[13:14], v[5:6], off
	global_load_b128 v[9:12], v[0:1], off
	s_waitcnt vmcnt(1)
	v_sub_co_u32 v13, vcc_lo, v13, s12
	v_subrev_co_ci_u32_e32 v14, vcc_lo, s15, v14, vcc_lo
	s_waitcnt vmcnt(0)
	v_perm_b32 v15, v12, v11, 0x4000c0c
	v_perm_b32 v16, v10, v9, 0xc0c0501
	;; [unrolled: 1-line block ×3, first 2 shown]
	v_lshlrev_b64 v[13:14], 2, v[13:14]
	v_perm_b32 v18, v10, v9, 0xc0c0602
	v_perm_b32 v23, v12, v11, 0x6020c0c
	s_waitcnt lgkmcnt(0)
	s_delay_alu instid0(VALU_DEP_3) | instskip(NEXT) | instid1(VALU_DEP_4)
	v_add_co_u32 v13, vcc_lo, s4, v13
	v_add_co_ci_u32_e32 v14, vcc_lo, s5, v14, vcc_lo
	v_add_co_u32 v0, vcc_lo, 0x100, v0
	v_add_co_ci_u32_e32 v1, vcc_lo, 0, v1, vcc_lo
	global_load_b32 v13, v[13:14], off
	v_add_co_u32 v5, vcc_lo, 0x80, v5
	v_add_co_ci_u32_e32 v6, vcc_lo, 0, v6, vcc_lo
	v_add_co_u32 v7, vcc_lo, v7, -2
	v_perm_b32 v14, v10, v9, 0xc0c0400
	v_perm_b32 v9, v10, v9, 0xc0c0703
	;; [unrolled: 1-line block ×3, first 2 shown]
	v_add_co_ci_u32_e32 v8, vcc_lo, -1, v8, vcc_lo
	s_delay_alu instid0(VALU_DEP_4)
	v_or_b32_e32 v11, v15, v14
	v_or_b32_e32 v12, v17, v16
	;; [unrolled: 1-line block ×4, first 2 shown]
	v_cmp_eq_u64_e32 vcc_lo, 0, v[7:8]
	s_or_b32 s6, vcc_lo, s6
	s_waitcnt vmcnt(0)
	v_dot4_i32_iu8 v19, v13, v11, v19 neg_lo:[1,1,0]
	v_dot4_i32_iu8 v22, v12, v13, v22 neg_lo:[1,1,0]
	;; [unrolled: 1-line block ×4, first 2 shown]
	s_and_not1_b32 exec_lo, exec_lo, s6
	s_cbranch_execnz .LBB72_39
; %bb.40:
	s_or_b32 exec_lo, exec_lo, s6
.LBB72_41:
	s_delay_alu instid0(SALU_CYCLE_1)
	s_or_b32 exec_lo, exec_lo, s2
.LBB72_42:
	s_delay_alu instid0(SALU_CYCLE_1)
	s_or_b32 exec_lo, exec_lo, s3
.LBB72_43:
	v_mbcnt_lo_u32_b32 v0, -1, 0
	s_mov_b32 s2, -1
	s_delay_alu instid0(VALU_DEP_1) | instskip(SKIP_2) | instid1(VALU_DEP_3)
	v_xor_b32_e32 v1, 8, v0
	v_xor_b32_e32 v8, 4, v0
	;; [unrolled: 1-line block ×3, first 2 shown]
	v_cmp_gt_i32_e32 vcc_lo, 32, v1
	v_cndmask_b32_e32 v1, v0, v1, vcc_lo
	s_delay_alu instid0(VALU_DEP_4) | instskip(SKIP_2) | instid1(VALU_DEP_2)
	v_cmp_gt_i32_e32 vcc_lo, 32, v8
	v_cndmask_b32_e32 v8, v0, v8, vcc_lo
	v_cmp_gt_i32_e32 vcc_lo, 32, v12
	v_lshlrev_b32_e32 v8, 2, v8
	v_dual_cndmask_b32 v12, v0, v12 :: v_dual_lshlrev_b32 v1, 2, v1
	ds_bpermute_b32 v5, v1, v19
	ds_bpermute_b32 v6, v1, v22
	;; [unrolled: 1-line block ×4, first 2 shown]
	v_lshlrev_b32_e32 v12, 2, v12
	s_waitcnt lgkmcnt(0)
	v_add_nc_u32_e32 v5, v5, v19
	v_add_nc_u32_e32 v6, v6, v22
	;; [unrolled: 1-line block ×4, first 2 shown]
	ds_bpermute_b32 v9, v8, v5
	ds_bpermute_b32 v10, v8, v6
	;; [unrolled: 1-line block ×4, first 2 shown]
	s_waitcnt lgkmcnt(3)
	v_add_nc_u32_e32 v5, v9, v5
	s_waitcnt lgkmcnt(2)
	v_add_nc_u32_e32 v6, v10, v6
	;; [unrolled: 2-line block ×4, first 2 shown]
	ds_bpermute_b32 v1, v12, v5
	ds_bpermute_b32 v9, v12, v6
	;; [unrolled: 1-line block ×4, first 2 shown]
	v_xor_b32_e32 v12, 1, v0
	s_delay_alu instid0(VALU_DEP_1) | instskip(SKIP_2) | instid1(VALU_DEP_2)
	v_cmp_gt_i32_e32 vcc_lo, 32, v12
	v_cndmask_b32_e32 v0, v0, v12, vcc_lo
	v_cmp_eq_u32_e32 vcc_lo, 15, v2
	v_lshlrev_b32_e32 v12, 2, v0
	s_waitcnt lgkmcnt(3)
	v_add_nc_u32_e32 v0, v1, v5
	s_waitcnt lgkmcnt(2)
	v_add_nc_u32_e32 v1, v9, v6
	s_waitcnt lgkmcnt(1)
	v_add_nc_u32_e32 v5, v10, v7
	s_waitcnt lgkmcnt(0)
	v_add_nc_u32_e32 v6, v11, v8
	ds_bpermute_b32 v7, v12, v0
	ds_bpermute_b32 v8, v12, v1
	;; [unrolled: 1-line block ×4, first 2 shown]
	s_and_b32 exec_lo, exec_lo, vcc_lo
	s_cbranch_execz .LBB72_14
; %bb.44:
	s_load_b64 s[0:1], s[0:1], 0x58
	s_waitcnt lgkmcnt(0)
	v_add_nc_u32_e32 v0, v7, v0
	v_add_nc_u32_e32 v1, v8, v1
	;; [unrolled: 1-line block ×4, first 2 shown]
	v_lshlrev_b64 v[3:4], 4, v[3:4]
	v_mul_lo_u32 v0, v0, s13
	v_mul_lo_u32 v1, v1, s13
	;; [unrolled: 1-line block ×4, first 2 shown]
	s_cmp_eq_u32 s16, 0
	s_cbranch_scc1 .LBB72_46
; %bb.45:
	v_add_co_u32 v13, vcc_lo, s0, v3
	v_add_co_ci_u32_e32 v14, vcc_lo, s1, v4, vcc_lo
	s_mov_b32 s2, 0
	global_load_b128 v[6:9], v[13:14], off
	s_waitcnt vmcnt(0)
	v_mad_u64_u32 v[15:16], null, v9, s16, v[5:6]
	v_mad_u64_u32 v[9:10], null, v6, s16, v[0:1]
	;; [unrolled: 1-line block ×4, first 2 shown]
	s_delay_alu instid0(VALU_DEP_4)
	v_mov_b32_e32 v12, v15
	global_store_b128 v[13:14], v[9:12], off
.LBB72_46:
	s_and_not1_b32 vcc_lo, exec_lo, s2
	s_cbranch_vccnz .LBB72_14
; %bb.47:
	v_add_co_u32 v6, vcc_lo, s0, v3
	v_add_co_ci_u32_e32 v7, vcc_lo, s1, v4, vcc_lo
	s_delay_alu instid0(VALU_DEP_3)
	v_mov_b32_e32 v3, v5
	global_store_b128 v[6:7], v[0:3], off
	s_nop 0
	s_sendmsg sendmsg(MSG_DEALLOC_VGPRS)
	s_endpgm
	.section	.rodata,"a",@progbits
	.p2align	6, 0x0
	.amdhsa_kernel _ZN9rocsparseL18bsrxmvn_4x4_kernelILj128ELj16EillaaiEEvT3_20rocsparse_direction_NS_24const_host_device_scalarIT1_EES1_PKS1_PKT2_SA_S7_PKT4_PKT5_S5_PT6_21rocsparse_index_base_b
		.amdhsa_group_segment_fixed_size 0
		.amdhsa_private_segment_fixed_size 0
		.amdhsa_kernarg_size 104
		.amdhsa_user_sgpr_count 15
		.amdhsa_user_sgpr_dispatch_ptr 0
		.amdhsa_user_sgpr_queue_ptr 0
		.amdhsa_user_sgpr_kernarg_segment_ptr 1
		.amdhsa_user_sgpr_dispatch_id 0
		.amdhsa_user_sgpr_private_segment_size 0
		.amdhsa_wavefront_size32 1
		.amdhsa_uses_dynamic_stack 0
		.amdhsa_enable_private_segment 0
		.amdhsa_system_sgpr_workgroup_id_x 1
		.amdhsa_system_sgpr_workgroup_id_y 0
		.amdhsa_system_sgpr_workgroup_id_z 0
		.amdhsa_system_sgpr_workgroup_info 0
		.amdhsa_system_vgpr_workitem_id 0
		.amdhsa_next_free_vgpr 68
		.amdhsa_next_free_sgpr 17
		.amdhsa_reserve_vcc 1
		.amdhsa_float_round_mode_32 0
		.amdhsa_float_round_mode_16_64 0
		.amdhsa_float_denorm_mode_32 3
		.amdhsa_float_denorm_mode_16_64 3
		.amdhsa_dx10_clamp 1
		.amdhsa_ieee_mode 1
		.amdhsa_fp16_overflow 0
		.amdhsa_workgroup_processor_mode 1
		.amdhsa_memory_ordered 1
		.amdhsa_forward_progress 0
		.amdhsa_shared_vgpr_count 0
		.amdhsa_exception_fp_ieee_invalid_op 0
		.amdhsa_exception_fp_denorm_src 0
		.amdhsa_exception_fp_ieee_div_zero 0
		.amdhsa_exception_fp_ieee_overflow 0
		.amdhsa_exception_fp_ieee_underflow 0
		.amdhsa_exception_fp_ieee_inexact 0
		.amdhsa_exception_int_div_zero 0
	.end_amdhsa_kernel
	.section	.text._ZN9rocsparseL18bsrxmvn_4x4_kernelILj128ELj16EillaaiEEvT3_20rocsparse_direction_NS_24const_host_device_scalarIT1_EES1_PKS1_PKT2_SA_S7_PKT4_PKT5_S5_PT6_21rocsparse_index_base_b,"axG",@progbits,_ZN9rocsparseL18bsrxmvn_4x4_kernelILj128ELj16EillaaiEEvT3_20rocsparse_direction_NS_24const_host_device_scalarIT1_EES1_PKS1_PKT2_SA_S7_PKT4_PKT5_S5_PT6_21rocsparse_index_base_b,comdat
.Lfunc_end72:
	.size	_ZN9rocsparseL18bsrxmvn_4x4_kernelILj128ELj16EillaaiEEvT3_20rocsparse_direction_NS_24const_host_device_scalarIT1_EES1_PKS1_PKT2_SA_S7_PKT4_PKT5_S5_PT6_21rocsparse_index_base_b, .Lfunc_end72-_ZN9rocsparseL18bsrxmvn_4x4_kernelILj128ELj16EillaaiEEvT3_20rocsparse_direction_NS_24const_host_device_scalarIT1_EES1_PKS1_PKT2_SA_S7_PKT4_PKT5_S5_PT6_21rocsparse_index_base_b
                                        ; -- End function
	.section	.AMDGPU.csdata,"",@progbits
; Kernel info:
; codeLenInByte = 4224
; NumSgprs: 19
; NumVgprs: 68
; ScratchSize: 0
; MemoryBound: 0
; FloatMode: 240
; IeeeMode: 1
; LDSByteSize: 0 bytes/workgroup (compile time only)
; SGPRBlocks: 2
; VGPRBlocks: 8
; NumSGPRsForWavesPerEU: 19
; NumVGPRsForWavesPerEU: 68
; Occupancy: 16
; WaveLimiterHint : 1
; COMPUTE_PGM_RSRC2:SCRATCH_EN: 0
; COMPUTE_PGM_RSRC2:USER_SGPR: 15
; COMPUTE_PGM_RSRC2:TRAP_HANDLER: 0
; COMPUTE_PGM_RSRC2:TGID_X_EN: 1
; COMPUTE_PGM_RSRC2:TGID_Y_EN: 0
; COMPUTE_PGM_RSRC2:TGID_Z_EN: 0
; COMPUTE_PGM_RSRC2:TIDIG_COMP_CNT: 0
	.section	.text._ZN9rocsparseL18bsrxmvn_4x4_kernelILj128ELj32EillaaiEEvT3_20rocsparse_direction_NS_24const_host_device_scalarIT1_EES1_PKS1_PKT2_SA_S7_PKT4_PKT5_S5_PT6_21rocsparse_index_base_b,"axG",@progbits,_ZN9rocsparseL18bsrxmvn_4x4_kernelILj128ELj32EillaaiEEvT3_20rocsparse_direction_NS_24const_host_device_scalarIT1_EES1_PKS1_PKT2_SA_S7_PKT4_PKT5_S5_PT6_21rocsparse_index_base_b,comdat
	.globl	_ZN9rocsparseL18bsrxmvn_4x4_kernelILj128ELj32EillaaiEEvT3_20rocsparse_direction_NS_24const_host_device_scalarIT1_EES1_PKS1_PKT2_SA_S7_PKT4_PKT5_S5_PT6_21rocsparse_index_base_b ; -- Begin function _ZN9rocsparseL18bsrxmvn_4x4_kernelILj128ELj32EillaaiEEvT3_20rocsparse_direction_NS_24const_host_device_scalarIT1_EES1_PKS1_PKT2_SA_S7_PKT4_PKT5_S5_PT6_21rocsparse_index_base_b
	.p2align	8
	.type	_ZN9rocsparseL18bsrxmvn_4x4_kernelILj128ELj32EillaaiEEvT3_20rocsparse_direction_NS_24const_host_device_scalarIT1_EES1_PKS1_PKT2_SA_S7_PKT4_PKT5_S5_PT6_21rocsparse_index_base_b,@function
_ZN9rocsparseL18bsrxmvn_4x4_kernelILj128ELj32EillaaiEEvT3_20rocsparse_direction_NS_24const_host_device_scalarIT1_EES1_PKS1_PKT2_SA_S7_PKT4_PKT5_S5_PT6_21rocsparse_index_base_b: ; @_ZN9rocsparseL18bsrxmvn_4x4_kernelILj128ELj32EillaaiEEvT3_20rocsparse_direction_NS_24const_host_device_scalarIT1_EES1_PKS1_PKT2_SA_S7_PKT4_PKT5_S5_PT6_21rocsparse_index_base_b
; %bb.0:
	s_clause 0x1
	s_load_b64 s[12:13], s[0:1], 0x60
	s_load_b128 s[4:7], s[0:1], 0x10
	s_mov_b32 s9, -1
	s_waitcnt lgkmcnt(0)
	s_bitcmp1_b32 s13, 0
                                        ; implicit-def: $sgpr13
	s_cselect_b32 s2, -1, 0
	s_delay_alu instid0(SALU_CYCLE_1) | instskip(NEXT) | instid1(SALU_CYCLE_1)
	s_xor_b32 s8, s2, -1
	s_and_b32 vcc_lo, exec_lo, s8
	s_cbranch_vccnz .LBB73_4
; %bb.1:
	s_load_b64 s[2:3], s[0:1], 0x50
	s_and_not1_b32 vcc_lo, exec_lo, s9
	s_cbranch_vccz .LBB73_5
.LBB73_2:
	s_and_b32 vcc_lo, exec_lo, s8
	s_cbranch_vccz .LBB73_6
.LBB73_3:
	s_waitcnt lgkmcnt(0)
	s_load_b32 s16, s[2:3], 0x0
	s_cbranch_execz .LBB73_7
	s_branch .LBB73_8
.LBB73_4:
	s_load_b32 s13, s[4:5], 0x0
	s_load_b64 s[2:3], s[0:1], 0x50
	s_cbranch_execnz .LBB73_2
.LBB73_5:
	s_waitcnt lgkmcnt(0)
	s_mov_b32 s13, s4
	s_and_b32 vcc_lo, exec_lo, s8
	s_cbranch_vccnz .LBB73_3
.LBB73_6:
	s_waitcnt lgkmcnt(0)
                                        ; implicit-def: $sgpr16
.LBB73_7:
	s_waitcnt lgkmcnt(0)
	s_mov_b32 s16, s2
.LBB73_8:
	s_cmp_lg_u32 s13, 0
	s_mov_b32 s4, 0
	s_cselect_b32 s2, -1, 0
	s_waitcnt lgkmcnt(0)
	s_cmp_lg_u32 s16, 1
	s_cselect_b32 s3, -1, 0
	s_delay_alu instid0(SALU_CYCLE_1) | instskip(NEXT) | instid1(SALU_CYCLE_1)
	s_or_b32 s2, s2, s3
	s_and_not1_b32 vcc_lo, exec_lo, s2
	s_cbranch_vccnz .LBB73_14
; %bb.9:
	s_load_b64 s[2:3], s[0:1], 0x20
	v_lshrrev_b32_e32 v1, 5, v0
	v_mov_b32_e32 v2, 0
	s_delay_alu instid0(VALU_DEP_2)
	v_lshl_or_b32 v1, s15, 2, v1
	s_waitcnt lgkmcnt(0)
	s_cmp_lg_u64 s[2:3], 0
	s_cbranch_scc0 .LBB73_15
; %bb.10:
	s_delay_alu instid0(VALU_DEP_1) | instskip(SKIP_2) | instid1(SALU_CYCLE_1)
	v_cmp_gt_i64_e32 vcc_lo, s[6:7], v[1:2]
	s_mov_b32 s5, 0
                                        ; implicit-def: $vgpr3_vgpr4
	s_and_saveexec_b32 s6, vcc_lo
	s_xor_b32 s6, exec_lo, s6
                                        ; implicit-def: $sgpr14_sgpr15
	s_cbranch_execz .LBB73_12
; %bb.11:
	v_lshlrev_b64 v[3:4], 3, v[1:2]
	s_mov_b32 s4, exec_lo
	s_mov_b32 s15, 0
	s_delay_alu instid0(VALU_DEP_1) | instskip(NEXT) | instid1(VALU_DEP_2)
	v_add_co_u32 v3, vcc_lo, s2, v3
	v_add_co_ci_u32_e32 v4, vcc_lo, s3, v4, vcc_lo
	global_load_b64 v[3:4], v[3:4], off
	s_waitcnt vmcnt(0)
	v_sub_co_u32 v3, vcc_lo, v3, s12
	v_subrev_co_ci_u32_e32 v4, vcc_lo, 0, v4, vcc_lo
.LBB73_12:
	s_or_b32 exec_lo, exec_lo, s6
	s_delay_alu instid0(SALU_CYCLE_1)
	s_and_b32 vcc_lo, exec_lo, s5
	s_cbranch_vccnz .LBB73_16
.LBB73_13:
	s_and_saveexec_b32 s2, s4
	s_cbranch_execnz .LBB73_19
.LBB73_14:
	s_nop 0
	s_sendmsg sendmsg(MSG_DEALLOC_VGPRS)
	s_endpgm
.LBB73_15:
                                        ; implicit-def: $vgpr3_vgpr4
                                        ; implicit-def: $sgpr14_sgpr15
	s_cbranch_execz .LBB73_13
.LBB73_16:
	s_load_b64 s[2:3], s[0:1], 0x0
                                        ; implicit-def: $vgpr3_vgpr4
	s_waitcnt lgkmcnt(0)
	v_cmp_gt_i64_e32 vcc_lo, s[2:3], v[1:2]
	s_and_saveexec_b32 s2, vcc_lo
                                        ; implicit-def: $sgpr14_sgpr15
; %bb.17:
	v_dual_mov_b32 v4, v2 :: v_dual_mov_b32 v3, v1
	s_mov_b32 s15, 0
	s_or_b32 s4, s4, exec_lo
; %bb.18:
	s_or_b32 exec_lo, exec_lo, s2
	s_and_saveexec_b32 s2, s4
	s_cbranch_execz .LBB73_14
.LBB73_19:
	s_load_b256 s[4:11], s[0:1], 0x28
	v_lshlrev_b64 v[1:2], 3, v[3:4]
	s_load_b32 s3, s[0:1], 0x8
	v_mov_b32_e32 v20, 0
	s_waitcnt lgkmcnt(0)
	s_delay_alu instid0(VALU_DEP_2) | instskip(NEXT) | instid1(VALU_DEP_3)
	v_add_co_u32 v5, vcc_lo, s4, v1
	v_add_co_ci_u32_e32 v6, vcc_lo, s5, v2, vcc_lo
	v_add_co_u32 v1, vcc_lo, s6, v1
	v_add_co_ci_u32_e32 v2, vcc_lo, s7, v2, vcc_lo
	s_delay_alu instid0(VALU_DEP_4)
	v_add_co_u32 v9, vcc_lo, v5, 8
	global_load_b64 v[7:8], v[5:6], off
	v_add_co_ci_u32_e32 v10, vcc_lo, 0, v6, vcc_lo
	s_cmp_eq_u64 s[6:7], 0
	s_load_b64 s[4:5], s[0:1], 0x48
	s_cselect_b32 vcc_lo, -1, 0
	s_cmp_eq_u32 s3, 1
	v_dual_cndmask_b32 v2, v2, v10 :: v_dual_cndmask_b32 v1, v1, v9
	global_load_b64 v[9:10], v[1:2], off
	v_and_b32_e32 v2, 31, v0
	s_waitcnt vmcnt(1)
	v_sub_co_u32 v0, vcc_lo, v7, s12
	v_subrev_co_ci_u32_e32 v1, vcc_lo, s15, v8, vcc_lo
	s_delay_alu instid0(VALU_DEP_2) | instskip(NEXT) | instid1(VALU_DEP_2)
	v_add_co_u32 v5, vcc_lo, v0, v2
	v_add_co_ci_u32_e32 v6, vcc_lo, 0, v1, vcc_lo
	s_delay_alu instid0(VALU_DEP_1) | instskip(SKIP_3) | instid1(VALU_DEP_3)
	v_lshlrev_b64 v[0:1], 4, v[5:6]
	s_waitcnt vmcnt(0)
	v_sub_co_u32 v9, vcc_lo, v9, s12
	v_subrev_co_ci_u32_e32 v10, vcc_lo, s15, v10, vcc_lo
	v_add_co_u32 v0, vcc_lo, s10, v0
	s_delay_alu instid0(VALU_DEP_2)
	v_cmp_lt_i64_e64 s2, v[5:6], v[9:10]
	v_add_co_ci_u32_e32 v1, vcc_lo, s11, v1, vcc_lo
	s_cbranch_scc1 .LBB73_31
; %bb.20:
	v_dual_mov_b32 v21, 0 :: v_dual_mov_b32 v22, 0
	v_mov_b32_e32 v19, 0
	s_mov_b32 s6, 0
	s_and_saveexec_b32 s7, s2
	s_cbranch_execz .LBB73_30
; %bb.21:
	v_or_b32_e32 v11, 32, v2
	v_not_b32_e32 v14, v7
	v_not_b32_e32 v13, v8
	v_dual_mov_b32 v19, 0 :: v_dual_mov_b32 v22, 0
	s_delay_alu instid0(VALU_DEP_4) | instskip(NEXT) | instid1(VALU_DEP_1)
	v_sub_co_u32 v11, s3, v11, s12
	v_sub_co_ci_u32_e64 v12, null, 0, s15, s3
	v_sub_co_u32 v15, s3, s12, v2
	s_delay_alu instid0(VALU_DEP_3) | instskip(NEXT) | instid1(VALU_DEP_3)
	v_add_co_u32 v11, vcc_lo, v11, v7
	v_add_co_ci_u32_e32 v12, vcc_lo, v12, v8, vcc_lo
	v_sub_co_ci_u32_e64 v16, null, s15, 0, s3
	v_dual_mov_b32 v21, 0 :: v_dual_mov_b32 v20, 0
	s_delay_alu instid0(VALU_DEP_3) | instskip(SKIP_4) | instid1(VALU_DEP_2)
	v_cmp_gt_i64_e32 vcc_lo, v[11:12], v[9:10]
	s_mov_b32 s10, 0
	v_dual_cndmask_b32 v12, v10, v12 :: v_dual_cndmask_b32 v11, v9, v11
	v_add_co_u32 v14, vcc_lo, v15, v14
	v_add_co_ci_u32_e32 v13, vcc_lo, v16, v13, vcc_lo
	v_add_co_u32 v11, vcc_lo, v14, v11
	s_delay_alu instid0(VALU_DEP_2) | instskip(SKIP_1) | instid1(VALU_DEP_2)
	v_add_co_ci_u32_e32 v12, vcc_lo, v13, v12, vcc_lo
	v_dual_mov_b32 v14, v6 :: v_dual_mov_b32 v13, v5
	v_lshrrev_b64 v[15:16], 5, v[11:12]
	v_cmp_lt_u64_e32 vcc_lo, 0x5f, v[11:12]
	v_dual_mov_b32 v12, v1 :: v_dual_mov_b32 v11, v0
	s_delay_alu instid0(VALU_DEP_3) | instskip(NEXT) | instid1(VALU_DEP_1)
	v_add_co_u32 v23, s3, v15, 1
	v_add_co_ci_u32_e64 v16, s3, 0, v16, s3
	s_and_saveexec_b32 s3, vcc_lo
	s_cbranch_execz .LBB73_25
; %bb.22:
	v_lshlrev_b64 v[11:12], 3, v[5:6]
	v_dual_mov_b32 v20, 0 :: v_dual_and_b32 v15, -4, v23
	v_dual_mov_b32 v21, 0 :: v_dual_mov_b32 v22, 0
	v_mov_b32_e32 v19, 0
	s_delay_alu instid0(VALU_DEP_4) | instskip(SKIP_2) | instid1(VALU_DEP_3)
	v_add_co_u32 v13, vcc_lo, v11, s8
	v_add_co_ci_u32_e32 v14, vcc_lo, s9, v12, vcc_lo
	v_dual_mov_b32 v12, v1 :: v_dual_mov_b32 v11, v0
	v_add_co_u32 v17, vcc_lo, 0x200, v13
	s_delay_alu instid0(VALU_DEP_3)
	v_add_co_ci_u32_e32 v18, vcc_lo, 0, v14, vcc_lo
	v_dual_mov_b32 v14, v6 :: v_dual_mov_b32 v13, v5
.LBB73_23:                              ; =>This Inner Loop Header: Depth=1
	s_clause 0x3
	global_load_b64 v[40:41], v[17:18], off offset:-512
	global_load_b64 v[42:43], v[17:18], off offset:-256
	global_load_b64 v[44:45], v[17:18], off
	global_load_b64 v[46:47], v[17:18], off offset:256
	s_clause 0x3
	global_load_b128 v[24:27], v[11:12], off
	global_load_b128 v[28:31], v[11:12], off offset:512
	global_load_b128 v[32:35], v[11:12], off offset:1024
	;; [unrolled: 1-line block ×3, first 2 shown]
	s_waitcnt vmcnt(7)
	v_sub_co_u32 v40, vcc_lo, v40, s12
	v_subrev_co_ci_u32_e32 v41, vcc_lo, s15, v41, vcc_lo
	s_waitcnt vmcnt(6)
	v_sub_co_u32 v42, vcc_lo, v42, s12
	v_subrev_co_ci_u32_e32 v43, vcc_lo, s15, v43, vcc_lo
	s_waitcnt vmcnt(5)
	v_sub_co_u32 v44, vcc_lo, v44, s12
	v_lshlrev_b64 v[40:41], 2, v[40:41]
	v_subrev_co_ci_u32_e32 v45, vcc_lo, s15, v45, vcc_lo
	s_waitcnt vmcnt(4)
	v_sub_co_u32 v46, vcc_lo, v46, s12
	v_lshlrev_b64 v[42:43], 2, v[42:43]
	v_subrev_co_ci_u32_e32 v47, vcc_lo, s15, v47, vcc_lo
	v_lshlrev_b64 v[44:45], 2, v[44:45]
	s_waitcnt lgkmcnt(0)
	v_add_co_u32 v40, vcc_lo, s4, v40
	v_add_co_ci_u32_e32 v41, vcc_lo, s5, v41, vcc_lo
	v_lshlrev_b64 v[46:47], 2, v[46:47]
	v_add_co_u32 v42, vcc_lo, s4, v42
	v_add_co_ci_u32_e32 v43, vcc_lo, s5, v43, vcc_lo
	v_add_co_u32 v44, vcc_lo, s4, v44
	v_add_co_ci_u32_e32 v45, vcc_lo, s5, v45, vcc_lo
	;; [unrolled: 2-line block ×3, first 2 shown]
	s_clause 0x3
	global_load_b32 v40, v[40:41], off
	global_load_b32 v41, v[42:43], off
	global_load_b32 v42, v[44:45], off
	global_load_b32 v43, v[46:47], off
	s_waitcnt vmcnt(7)
	v_lshrrev_b16 v44, 8, v24
	v_ashrrev_i32_e32 v45, 24, v24
	s_waitcnt vmcnt(6)
	v_lshrrev_b16 v47, 8, v28
	v_ashrrev_i32_e32 v48, 24, v28
	;; [unrolled: 3-line block ×3, first 2 shown]
	v_bfe_i32 v52, v32, 16, 8
	v_bfe_i32 v32, v32, 0, 8
	;; [unrolled: 1-line block ×6, first 2 shown]
	s_waitcnt vmcnt(4)
	v_lshrrev_b16 v53, 8, v36
	v_ashrrev_i32_e32 v54, 24, v36
	v_bfe_i32 v44, v44, 0, 8
	v_bfe_i32 v47, v47, 0, 8
	;; [unrolled: 1-line block ×3, first 2 shown]
	v_add_co_u32 v11, vcc_lo, 0x800, v11
	v_bfe_i32 v55, v36, 16, 8
	v_bfe_i32 v36, v36, 0, 8
	;; [unrolled: 1-line block ×3, first 2 shown]
	v_add_co_ci_u32_e32 v12, vcc_lo, 0, v12, vcc_lo
	v_add_co_u32 v13, vcc_lo, 0x80, v13
	v_add_co_ci_u32_e32 v14, vcc_lo, 0, v14, vcc_lo
	v_add_co_u32 v15, vcc_lo, v15, -4
	v_add_co_ci_u32_e32 v16, vcc_lo, -1, v16, vcc_lo
	v_add_co_u32 v17, vcc_lo, 0x400, v17
	v_add_co_ci_u32_e32 v18, vcc_lo, 0, v18, vcc_lo
	s_delay_alu instid0(VALU_DEP_3)
	v_cmp_eq_u64_e32 vcc_lo, 0, v[15:16]
	s_or_b32 s10, vcc_lo, s10
	s_waitcnt vmcnt(3)
	v_lshrrev_b16 v56, 8, v40
	v_ashrrev_i32_e32 v57, 24, v40
	v_dot4_i32_iu8 v22, v40, v25, v22 neg_lo:[1,1,0]
	v_dot4_i32_iu8 v21, v40, v26, v21 neg_lo:[1,1,0]
	s_waitcnt vmcnt(2)
	v_lshrrev_b16 v25, 8, v41
	v_ashrrev_i32_e32 v26, 24, v41
	s_waitcnt vmcnt(1)
	v_lshrrev_b16 v60, 8, v42
	v_ashrrev_i32_e32 v61, 24, v42
	v_bfe_i32 v63, v42, 0, 8
	v_bfe_i32 v58, v40, 16, 8
	;; [unrolled: 1-line block ×3, first 2 shown]
	v_dot4_i32_iu8 v20, v40, v27, v20 neg_lo:[1,1,0]
	v_bfe_i32 v27, v41, 16, 8
	v_bfe_i32 v40, v41, 0, 8
	;; [unrolled: 1-line block ×3, first 2 shown]
	s_waitcnt vmcnt(0)
	v_lshrrev_b16 v64, 8, v43
	v_ashrrev_i32_e32 v65, 24, v43
	v_bfe_i32 v56, v56, 0, 8
	v_mul_i32_i24_e32 v45, v57, v45
	v_bfe_i32 v25, v25, 0, 8
	v_mul_i32_i24_e32 v26, v26, v48
	v_dot4_i32_iu8 v22, v41, v29, v22 neg_lo:[1,1,0]
	v_dot4_i32_iu8 v21, v41, v30, v21 neg_lo:[1,1,0]
	v_bfe_i32 v29, v60, 0, 8
	v_mul_i32_i24_e32 v30, v63, v32
	v_mul_i32_i24_e32 v32, v61, v51
	v_bfe_i32 v66, v43, 16, 8
	v_bfe_i32 v67, v43, 0, 8
	v_mul_i32_i24_e32 v24, v59, v24
	v_mul_i32_i24_e32 v46, v58, v46
	;; [unrolled: 1-line block ×4, first 2 shown]
	v_dot4_i32_iu8 v20, v41, v31, v20 neg_lo:[1,1,0]
	v_mul_i32_i24_e32 v31, v62, v52
	v_bfe_i32 v40, v64, 0, 8
	v_mul_i32_i24_e32 v41, v65, v54
	v_mad_i32_i24 v44, v56, v44, v45
	v_mad_i32_i24 v25, v25, v47, v26
	;; [unrolled: 1-line block ×3, first 2 shown]
	v_mul_i32_i24_e32 v36, v67, v36
	v_mul_i32_i24_e32 v29, v66, v55
	v_mad_i32_i24 v32, v40, v53, v41
	v_add3_u32 v24, v24, v46, v44
	v_add3_u32 v25, v28, v27, v25
	;; [unrolled: 1-line block ×3, first 2 shown]
	v_dot4_i32_iu8 v22, v42, v33, v22 neg_lo:[1,1,0]
	v_dot4_i32_iu8 v21, v42, v34, v21 neg_lo:[1,1,0]
	;; [unrolled: 1-line block ×3, first 2 shown]
	v_add3_u32 v27, v36, v29, v32
	v_add3_u32 v24, v24, v25, v26
	v_dot4_i32_iu8 v22, v43, v37, v22 neg_lo:[1,1,0]
	v_dot4_i32_iu8 v21, v43, v38, v21 neg_lo:[1,1,0]
	;; [unrolled: 1-line block ×3, first 2 shown]
	s_delay_alu instid0(VALU_DEP_4)
	v_add3_u32 v19, v24, v27, v19
	s_and_not1_b32 exec_lo, exec_lo, s10
	s_cbranch_execnz .LBB73_23
; %bb.24:
	s_or_b32 exec_lo, exec_lo, s10
.LBB73_25:
	s_delay_alu instid0(SALU_CYCLE_1) | instskip(SKIP_2) | instid1(VALU_DEP_1)
	s_or_b32 exec_lo, exec_lo, s3
	v_dual_mov_b32 v16, 0 :: v_dual_and_b32 v15, 3, v23
	s_mov_b32 s3, exec_lo
	v_cmpx_ne_u64_e32 0, v[15:16]
	s_cbranch_execz .LBB73_29
; %bb.26:
	v_lshlrev_b64 v[13:14], 3, v[13:14]
	v_lshlrev_b32_e32 v15, 1, v15
	s_mov_b32 s10, 0
	s_delay_alu instid0(VALU_DEP_2) | instskip(NEXT) | instid1(VALU_DEP_3)
	v_add_co_u32 v13, vcc_lo, s8, v13
	v_add_co_ci_u32_e32 v14, vcc_lo, s9, v14, vcc_lo
.LBB73_27:                              ; =>This Inner Loop Header: Depth=1
	global_load_b64 v[17:18], v[13:14], off
	s_waitcnt vmcnt(0)
	v_sub_co_u32 v17, vcc_lo, v17, s12
	v_subrev_co_ci_u32_e32 v18, vcc_lo, s15, v18, vcc_lo
	s_delay_alu instid0(VALU_DEP_1) | instskip(SKIP_1) | instid1(VALU_DEP_1)
	v_lshlrev_b64 v[17:18], 2, v[17:18]
	s_waitcnt lgkmcnt(0)
	v_add_co_u32 v17, vcc_lo, s4, v17
	s_delay_alu instid0(VALU_DEP_2)
	v_add_co_ci_u32_e32 v18, vcc_lo, s5, v18, vcc_lo
	global_load_b128 v[23:26], v[11:12], off
	global_load_b32 v17, v[17:18], off
	v_add_co_u32 v11, vcc_lo, 0x200, v11
	v_add_co_ci_u32_e32 v12, vcc_lo, 0, v12, vcc_lo
	v_add_co_u32 v15, vcc_lo, v15, -2
	v_add_co_ci_u32_e32 v16, vcc_lo, -1, v16, vcc_lo
	v_add_co_u32 v13, vcc_lo, 0x100, v13
	v_add_co_ci_u32_e32 v14, vcc_lo, 0, v14, vcc_lo
	s_delay_alu instid0(VALU_DEP_3)
	v_cmp_eq_u64_e32 vcc_lo, 0, v[15:16]
	s_or_b32 s10, vcc_lo, s10
	s_waitcnt vmcnt(1)
	v_lshrrev_b16 v18, 8, v23
	v_ashrrev_i32_e32 v27, 24, v23
	v_bfe_i32 v28, v23, 0, 8
	v_bfe_i32 v23, v23, 16, 8
	s_waitcnt vmcnt(0)
	v_lshrrev_b16 v29, 8, v17
	v_bfe_i32 v30, v17, 16, 8
	v_ashrrev_i32_e32 v31, 24, v17
	v_bfe_i32 v18, v18, 0, 8
	v_bfe_i32 v32, v17, 0, 8
	;; [unrolled: 1-line block ×3, first 2 shown]
	v_mul_i32_i24_e32 v23, v30, v23
	v_mul_i32_i24_e32 v27, v31, v27
	v_dot4_i32_iu8 v22, v17, v24, v22 neg_lo:[1,1,0]
	v_dot4_i32_iu8 v21, v17, v25, v21 neg_lo:[1,1,0]
	;; [unrolled: 1-line block ×3, first 2 shown]
	v_mad_i32_i24 v23, v32, v28, v23
	v_mad_i32_i24 v18, v29, v18, v27
	s_delay_alu instid0(VALU_DEP_1)
	v_add3_u32 v19, v23, v18, v19
	s_and_not1_b32 exec_lo, exec_lo, s10
	s_cbranch_execnz .LBB73_27
; %bb.28:
	s_or_b32 exec_lo, exec_lo, s10
.LBB73_29:
	s_delay_alu instid0(SALU_CYCLE_1)
	s_or_b32 exec_lo, exec_lo, s3
.LBB73_30:
	s_delay_alu instid0(SALU_CYCLE_1) | instskip(NEXT) | instid1(SALU_CYCLE_1)
	s_or_b32 exec_lo, exec_lo, s7
	s_and_not1_b32 vcc_lo, exec_lo, s6
	s_cbranch_vccz .LBB73_32
	s_branch .LBB73_43
.LBB73_31:
                                        ; implicit-def: $vgpr20
                                        ; implicit-def: $vgpr21
                                        ; implicit-def: $vgpr22
                                        ; implicit-def: $vgpr19
.LBB73_32:
	v_dual_mov_b32 v20, 0 :: v_dual_mov_b32 v21, 0
	v_dual_mov_b32 v22, 0 :: v_dual_mov_b32 v19, 0
	s_delay_alu instid0(VALU_DEP_4)
	s_and_saveexec_b32 s3, s2
	s_cbranch_execz .LBB73_42
; %bb.33:
	v_or_b32_e32 v11, 32, v2
	v_dual_mov_b32 v19, 0 :: v_dual_mov_b32 v22, 0
	v_dual_mov_b32 v21, 0 :: v_dual_mov_b32 v20, 0
	s_delay_alu instid0(VALU_DEP_3) | instskip(NEXT) | instid1(VALU_DEP_1)
	v_sub_co_u32 v11, s2, v11, s12
	v_sub_co_ci_u32_e64 v12, null, 0, s15, s2
	v_sub_co_u32 v13, s2, s12, v2
	s_delay_alu instid0(VALU_DEP_3) | instskip(NEXT) | instid1(VALU_DEP_3)
	v_add_co_u32 v11, vcc_lo, v11, v7
	v_add_co_ci_u32_e32 v12, vcc_lo, v12, v8, vcc_lo
	v_not_b32_e32 v7, v7
	v_not_b32_e32 v8, v8
	v_sub_co_ci_u32_e64 v14, null, s15, 0, s2
	s_delay_alu instid0(VALU_DEP_4) | instskip(SKIP_4) | instid1(VALU_DEP_2)
	v_cmp_gt_i64_e32 vcc_lo, v[11:12], v[9:10]
	s_mov_b32 s6, 0
	v_dual_cndmask_b32 v10, v10, v12 :: v_dual_cndmask_b32 v9, v9, v11
	v_add_co_u32 v7, vcc_lo, v13, v7
	v_add_co_ci_u32_e32 v8, vcc_lo, v14, v8, vcc_lo
	v_add_co_u32 v7, vcc_lo, v7, v9
	s_delay_alu instid0(VALU_DEP_2) | instskip(NEXT) | instid1(VALU_DEP_1)
	v_add_co_ci_u32_e32 v8, vcc_lo, v8, v10, vcc_lo
	v_lshrrev_b64 v[9:10], 5, v[7:8]
	v_cmp_lt_u64_e32 vcc_lo, 0x5f, v[7:8]
	s_delay_alu instid0(VALU_DEP_2) | instskip(NEXT) | instid1(VALU_DEP_1)
	v_add_co_u32 v11, s2, v9, 1
	v_add_co_ci_u32_e64 v8, s2, 0, v10, s2
	s_and_saveexec_b32 s2, vcc_lo
	s_cbranch_execz .LBB73_37
; %bb.34:
	v_lshlrev_b64 v[9:10], 3, v[5:6]
	v_dual_mov_b32 v20, 0 :: v_dual_and_b32 v7, -4, v11
	v_dual_mov_b32 v21, 0 :: v_dual_mov_b32 v22, 0
	v_mov_b32_e32 v19, 0
	s_delay_alu instid0(VALU_DEP_4) | instskip(SKIP_1) | instid1(VALU_DEP_2)
	v_add_co_u32 v9, vcc_lo, v9, s8
	v_add_co_ci_u32_e32 v10, vcc_lo, s9, v10, vcc_lo
	v_add_co_u32 v9, vcc_lo, 0x200, v9
	s_delay_alu instid0(VALU_DEP_2)
	v_add_co_ci_u32_e32 v10, vcc_lo, 0, v10, vcc_lo
.LBB73_35:                              ; =>This Inner Loop Header: Depth=1
	s_clause 0x3
	global_load_b64 v[16:17], v[9:10], off offset:-512
	global_load_b64 v[35:36], v[9:10], off offset:-256
	global_load_b64 v[37:38], v[9:10], off
	global_load_b64 v[39:40], v[9:10], off offset:256
	s_clause 0x3
	global_load_b128 v[12:15], v[0:1], off
	global_load_b128 v[23:26], v[0:1], off offset:512
	global_load_b128 v[27:30], v[0:1], off offset:1024
	;; [unrolled: 1-line block ×3, first 2 shown]
	s_waitcnt vmcnt(7)
	v_sub_co_u32 v16, vcc_lo, v16, s12
	v_subrev_co_ci_u32_e32 v17, vcc_lo, s15, v17, vcc_lo
	s_waitcnt vmcnt(6)
	v_sub_co_u32 v35, vcc_lo, v35, s12
	v_subrev_co_ci_u32_e32 v36, vcc_lo, s15, v36, vcc_lo
	s_waitcnt vmcnt(5)
	v_sub_co_u32 v37, vcc_lo, v37, s12
	v_lshlrev_b64 v[16:17], 2, v[16:17]
	v_subrev_co_ci_u32_e32 v38, vcc_lo, s15, v38, vcc_lo
	s_waitcnt vmcnt(4)
	v_sub_co_u32 v39, vcc_lo, v39, s12
	v_subrev_co_ci_u32_e32 v40, vcc_lo, s15, v40, vcc_lo
	v_lshlrev_b64 v[35:36], 2, v[35:36]
	s_waitcnt lgkmcnt(0)
	v_add_co_u32 v16, vcc_lo, s4, v16
	v_add_co_ci_u32_e32 v17, vcc_lo, s5, v17, vcc_lo
	v_lshlrev_b64 v[37:38], 2, v[37:38]
	s_delay_alu instid0(VALU_DEP_4)
	v_add_co_u32 v35, vcc_lo, s4, v35
	v_lshlrev_b64 v[39:40], 2, v[39:40]
	v_add_co_ci_u32_e32 v36, vcc_lo, s5, v36, vcc_lo
	global_load_b32 v18, v[16:17], off
	v_add_co_u32 v37, vcc_lo, s4, v37
	global_load_b32 v35, v[35:36], off
	v_add_co_ci_u32_e32 v38, vcc_lo, s5, v38, vcc_lo
	v_add_co_u32 v16, vcc_lo, s4, v39
	v_add_co_ci_u32_e32 v17, vcc_lo, s5, v40, vcc_lo
	s_clause 0x1
	global_load_b32 v36, v[37:38], off
	global_load_b32 v16, v[16:17], off
	s_waitcnt vmcnt(7)
	v_perm_b32 v17, v13, v12, 0xc0c0400
	v_perm_b32 v37, v15, v14, 0x4000c0c
	v_perm_b32 v38, v13, v12, 0xc0c0501
	v_perm_b32 v39, v15, v14, 0x5010c0c
	v_perm_b32 v40, v13, v12, 0xc0c0602
	v_perm_b32 v41, v15, v14, 0x6020c0c
	v_perm_b32 v12, v13, v12, 0xc0c0703
	v_perm_b32 v13, v15, v14, 0x7030c0c
	s_waitcnt vmcnt(6)
	v_perm_b32 v14, v24, v23, 0xc0c0400
	v_perm_b32 v15, v26, v25, 0x4000c0c
	v_perm_b32 v42, v24, v23, 0xc0c0501
	v_perm_b32 v43, v26, v25, 0x5010c0c
	v_perm_b32 v44, v24, v23, 0xc0c0602
	v_perm_b32 v45, v26, v25, 0x6020c0c
	v_perm_b32 v23, v24, v23, 0xc0c0703
	v_perm_b32 v24, v26, v25, 0x7030c0c
	;; [unrolled: 9-line block ×4, first 2 shown]
	v_or_b32_e32 v17, v37, v17
	v_or_b32_e32 v33, v39, v38
	;; [unrolled: 1-line block ×4, first 2 shown]
	v_add_co_u32 v0, vcc_lo, 0x800, v0
	v_or_b32_e32 v13, v15, v14
	v_or_b32_e32 v14, v43, v42
	;; [unrolled: 1-line block ×4, first 2 shown]
	v_add_co_ci_u32_e32 v1, vcc_lo, 0, v1, vcc_lo
	v_add_co_u32 v5, vcc_lo, 0x80, v5
	v_add_co_ci_u32_e32 v6, vcc_lo, 0, v6, vcc_lo
	v_add_co_u32 v7, vcc_lo, v7, -4
	v_or_b32_e32 v24, v26, v25
	v_or_b32_e32 v25, v47, v46
	;; [unrolled: 1-line block ×4, first 2 shown]
	v_add_co_ci_u32_e32 v8, vcc_lo, -1, v8, vcc_lo
	v_add_co_u32 v9, vcc_lo, 0x400, v9
	v_or_b32_e32 v28, v30, v29
	v_or_b32_e32 v29, v51, v50
	v_add_co_ci_u32_e32 v10, vcc_lo, 0, v10, vcc_lo
	v_cmp_eq_u64_e32 vcc_lo, 0, v[7:8]
	s_or_b32 s6, vcc_lo, s6
	s_waitcnt vmcnt(3)
	v_dot4_i32_iu8 v17, v18, v17, v19 neg_lo:[1,1,0]
	v_dot4_i32_iu8 v19, v33, v18, v22 neg_lo:[1,1,0]
	;; [unrolled: 1-line block ×4, first 2 shown]
	v_or_b32_e32 v18, v53, v52
	s_waitcnt vmcnt(2)
	v_dot4_i32_iu8 v13, v35, v13, v17 neg_lo:[1,1,0]
	v_dot4_i32_iu8 v14, v14, v35, v19 neg_lo:[1,1,0]
	v_dot4_i32_iu8 v15, v15, v35, v21 neg_lo:[1,1,0]
	v_dot4_i32_iu8 v12, v23, v35, v12 neg_lo:[1,1,0]
	v_or_b32_e32 v17, v32, v31
	s_waitcnt vmcnt(1)
	v_dot4_i32_iu8 v13, v36, v24, v13 neg_lo:[1,1,0]
	v_dot4_i32_iu8 v14, v25, v36, v14 neg_lo:[1,1,0]
	v_dot4_i32_iu8 v15, v26, v36, v15 neg_lo:[1,1,0]
	v_dot4_i32_iu8 v12, v27, v36, v12 neg_lo:[1,1,0]
	s_waitcnt vmcnt(0)
	v_dot4_i32_iu8 v19, v16, v28, v13 neg_lo:[1,1,0]
	v_dot4_i32_iu8 v22, v29, v16, v14 neg_lo:[1,1,0]
	;; [unrolled: 1-line block ×4, first 2 shown]
	s_and_not1_b32 exec_lo, exec_lo, s6
	s_cbranch_execnz .LBB73_35
; %bb.36:
	s_or_b32 exec_lo, exec_lo, s6
.LBB73_37:
	s_delay_alu instid0(SALU_CYCLE_1) | instskip(SKIP_2) | instid1(VALU_DEP_1)
	s_or_b32 exec_lo, exec_lo, s2
	v_dual_mov_b32 v8, 0 :: v_dual_and_b32 v7, 3, v11
	s_mov_b32 s2, exec_lo
	v_cmpx_ne_u64_e32 0, v[7:8]
	s_cbranch_execz .LBB73_41
; %bb.38:
	v_lshlrev_b64 v[5:6], 3, v[5:6]
	v_lshlrev_b32_e32 v7, 1, v7
	s_mov_b32 s6, 0
	s_delay_alu instid0(VALU_DEP_2) | instskip(NEXT) | instid1(VALU_DEP_3)
	v_add_co_u32 v5, vcc_lo, s8, v5
	v_add_co_ci_u32_e32 v6, vcc_lo, s9, v6, vcc_lo
.LBB73_39:                              ; =>This Inner Loop Header: Depth=1
	global_load_b64 v[13:14], v[5:6], off
	global_load_b128 v[9:12], v[0:1], off
	s_waitcnt vmcnt(1)
	v_sub_co_u32 v13, vcc_lo, v13, s12
	v_subrev_co_ci_u32_e32 v14, vcc_lo, s15, v14, vcc_lo
	s_waitcnt vmcnt(0)
	v_perm_b32 v15, v12, v11, 0x4000c0c
	v_perm_b32 v16, v10, v9, 0xc0c0501
	;; [unrolled: 1-line block ×3, first 2 shown]
	v_lshlrev_b64 v[13:14], 2, v[13:14]
	v_perm_b32 v18, v10, v9, 0xc0c0602
	v_perm_b32 v23, v12, v11, 0x6020c0c
	s_waitcnt lgkmcnt(0)
	s_delay_alu instid0(VALU_DEP_3) | instskip(NEXT) | instid1(VALU_DEP_4)
	v_add_co_u32 v13, vcc_lo, s4, v13
	v_add_co_ci_u32_e32 v14, vcc_lo, s5, v14, vcc_lo
	v_add_co_u32 v0, vcc_lo, 0x200, v0
	v_add_co_ci_u32_e32 v1, vcc_lo, 0, v1, vcc_lo
	global_load_b32 v13, v[13:14], off
	v_add_co_u32 v5, vcc_lo, 0x100, v5
	v_add_co_ci_u32_e32 v6, vcc_lo, 0, v6, vcc_lo
	v_add_co_u32 v7, vcc_lo, v7, -2
	v_perm_b32 v14, v10, v9, 0xc0c0400
	v_perm_b32 v9, v10, v9, 0xc0c0703
	;; [unrolled: 1-line block ×3, first 2 shown]
	v_add_co_ci_u32_e32 v8, vcc_lo, -1, v8, vcc_lo
	s_delay_alu instid0(VALU_DEP_4)
	v_or_b32_e32 v11, v15, v14
	v_or_b32_e32 v12, v17, v16
	;; [unrolled: 1-line block ×4, first 2 shown]
	v_cmp_eq_u64_e32 vcc_lo, 0, v[7:8]
	s_or_b32 s6, vcc_lo, s6
	s_waitcnt vmcnt(0)
	v_dot4_i32_iu8 v19, v13, v11, v19 neg_lo:[1,1,0]
	v_dot4_i32_iu8 v22, v12, v13, v22 neg_lo:[1,1,0]
	;; [unrolled: 1-line block ×4, first 2 shown]
	s_and_not1_b32 exec_lo, exec_lo, s6
	s_cbranch_execnz .LBB73_39
; %bb.40:
	s_or_b32 exec_lo, exec_lo, s6
.LBB73_41:
	s_delay_alu instid0(SALU_CYCLE_1)
	s_or_b32 exec_lo, exec_lo, s2
.LBB73_42:
	s_delay_alu instid0(SALU_CYCLE_1)
	s_or_b32 exec_lo, exec_lo, s3
.LBB73_43:
	v_mbcnt_lo_u32_b32 v0, -1, 0
	s_mov_b32 s2, -1
	s_delay_alu instid0(VALU_DEP_1) | instskip(SKIP_2) | instid1(VALU_DEP_3)
	v_xor_b32_e32 v1, 16, v0
	v_xor_b32_e32 v8, 8, v0
	;; [unrolled: 1-line block ×3, first 2 shown]
	v_cmp_gt_i32_e32 vcc_lo, 32, v1
	v_cndmask_b32_e32 v1, v0, v1, vcc_lo
	s_delay_alu instid0(VALU_DEP_4) | instskip(SKIP_2) | instid1(VALU_DEP_2)
	v_cmp_gt_i32_e32 vcc_lo, 32, v8
	v_cndmask_b32_e32 v8, v0, v8, vcc_lo
	v_cmp_gt_i32_e32 vcc_lo, 32, v12
	v_lshlrev_b32_e32 v8, 2, v8
	v_dual_cndmask_b32 v12, v0, v12 :: v_dual_lshlrev_b32 v1, 2, v1
	ds_bpermute_b32 v5, v1, v19
	ds_bpermute_b32 v6, v1, v22
	;; [unrolled: 1-line block ×4, first 2 shown]
	v_lshlrev_b32_e32 v12, 2, v12
	s_waitcnt lgkmcnt(0)
	v_add_nc_u32_e32 v5, v5, v19
	v_add_nc_u32_e32 v6, v6, v22
	;; [unrolled: 1-line block ×4, first 2 shown]
	ds_bpermute_b32 v9, v8, v5
	ds_bpermute_b32 v10, v8, v6
	;; [unrolled: 1-line block ×4, first 2 shown]
	s_waitcnt lgkmcnt(3)
	v_add_nc_u32_e32 v5, v9, v5
	s_waitcnt lgkmcnt(2)
	v_add_nc_u32_e32 v6, v10, v6
	;; [unrolled: 2-line block ×4, first 2 shown]
	ds_bpermute_b32 v8, v12, v5
	ds_bpermute_b32 v9, v12, v6
	;; [unrolled: 1-line block ×4, first 2 shown]
	v_xor_b32_e32 v12, 2, v0
	s_delay_alu instid0(VALU_DEP_1) | instskip(SKIP_1) | instid1(VALU_DEP_1)
	v_cmp_gt_i32_e32 vcc_lo, 32, v12
	v_cndmask_b32_e32 v12, v0, v12, vcc_lo
	v_lshlrev_b32_e32 v12, 2, v12
	s_waitcnt lgkmcnt(3)
	v_add_nc_u32_e32 v5, v8, v5
	s_waitcnt lgkmcnt(2)
	v_add_nc_u32_e32 v6, v9, v6
	;; [unrolled: 2-line block ×4, first 2 shown]
	ds_bpermute_b32 v1, v12, v5
	ds_bpermute_b32 v9, v12, v6
	;; [unrolled: 1-line block ×4, first 2 shown]
	v_xor_b32_e32 v12, 1, v0
	s_delay_alu instid0(VALU_DEP_1) | instskip(SKIP_2) | instid1(VALU_DEP_2)
	v_cmp_gt_i32_e32 vcc_lo, 32, v12
	v_cndmask_b32_e32 v0, v0, v12, vcc_lo
	v_cmp_eq_u32_e32 vcc_lo, 31, v2
	v_lshlrev_b32_e32 v12, 2, v0
	s_waitcnt lgkmcnt(3)
	v_add_nc_u32_e32 v0, v1, v5
	s_waitcnt lgkmcnt(2)
	v_add_nc_u32_e32 v1, v9, v6
	;; [unrolled: 2-line block ×4, first 2 shown]
	ds_bpermute_b32 v7, v12, v0
	ds_bpermute_b32 v8, v12, v1
	;; [unrolled: 1-line block ×4, first 2 shown]
	s_and_b32 exec_lo, exec_lo, vcc_lo
	s_cbranch_execz .LBB73_14
; %bb.44:
	s_load_b64 s[0:1], s[0:1], 0x58
	s_waitcnt lgkmcnt(0)
	v_add_nc_u32_e32 v0, v7, v0
	v_add_nc_u32_e32 v1, v8, v1
	;; [unrolled: 1-line block ×4, first 2 shown]
	v_lshlrev_b64 v[3:4], 4, v[3:4]
	v_mul_lo_u32 v0, v0, s13
	v_mul_lo_u32 v1, v1, s13
	;; [unrolled: 1-line block ×4, first 2 shown]
	s_cmp_eq_u32 s16, 0
	s_cbranch_scc1 .LBB73_46
; %bb.45:
	v_add_co_u32 v13, vcc_lo, s0, v3
	v_add_co_ci_u32_e32 v14, vcc_lo, s1, v4, vcc_lo
	s_mov_b32 s2, 0
	global_load_b128 v[6:9], v[13:14], off
	s_waitcnt vmcnt(0)
	v_mad_u64_u32 v[15:16], null, v9, s16, v[5:6]
	v_mad_u64_u32 v[9:10], null, v6, s16, v[0:1]
	;; [unrolled: 1-line block ×4, first 2 shown]
	s_delay_alu instid0(VALU_DEP_4)
	v_mov_b32_e32 v12, v15
	global_store_b128 v[13:14], v[9:12], off
.LBB73_46:
	s_and_not1_b32 vcc_lo, exec_lo, s2
	s_cbranch_vccnz .LBB73_14
; %bb.47:
	v_add_co_u32 v6, vcc_lo, s0, v3
	v_add_co_ci_u32_e32 v7, vcc_lo, s1, v4, vcc_lo
	s_delay_alu instid0(VALU_DEP_3)
	v_mov_b32_e32 v3, v5
	global_store_b128 v[6:7], v[0:3], off
	s_nop 0
	s_sendmsg sendmsg(MSG_DEALLOC_VGPRS)
	s_endpgm
	.section	.rodata,"a",@progbits
	.p2align	6, 0x0
	.amdhsa_kernel _ZN9rocsparseL18bsrxmvn_4x4_kernelILj128ELj32EillaaiEEvT3_20rocsparse_direction_NS_24const_host_device_scalarIT1_EES1_PKS1_PKT2_SA_S7_PKT4_PKT5_S5_PT6_21rocsparse_index_base_b
		.amdhsa_group_segment_fixed_size 0
		.amdhsa_private_segment_fixed_size 0
		.amdhsa_kernarg_size 104
		.amdhsa_user_sgpr_count 15
		.amdhsa_user_sgpr_dispatch_ptr 0
		.amdhsa_user_sgpr_queue_ptr 0
		.amdhsa_user_sgpr_kernarg_segment_ptr 1
		.amdhsa_user_sgpr_dispatch_id 0
		.amdhsa_user_sgpr_private_segment_size 0
		.amdhsa_wavefront_size32 1
		.amdhsa_uses_dynamic_stack 0
		.amdhsa_enable_private_segment 0
		.amdhsa_system_sgpr_workgroup_id_x 1
		.amdhsa_system_sgpr_workgroup_id_y 0
		.amdhsa_system_sgpr_workgroup_id_z 0
		.amdhsa_system_sgpr_workgroup_info 0
		.amdhsa_system_vgpr_workitem_id 0
		.amdhsa_next_free_vgpr 68
		.amdhsa_next_free_sgpr 17
		.amdhsa_reserve_vcc 1
		.amdhsa_float_round_mode_32 0
		.amdhsa_float_round_mode_16_64 0
		.amdhsa_float_denorm_mode_32 3
		.amdhsa_float_denorm_mode_16_64 3
		.amdhsa_dx10_clamp 1
		.amdhsa_ieee_mode 1
		.amdhsa_fp16_overflow 0
		.amdhsa_workgroup_processor_mode 1
		.amdhsa_memory_ordered 1
		.amdhsa_forward_progress 0
		.amdhsa_shared_vgpr_count 0
		.amdhsa_exception_fp_ieee_invalid_op 0
		.amdhsa_exception_fp_denorm_src 0
		.amdhsa_exception_fp_ieee_div_zero 0
		.amdhsa_exception_fp_ieee_overflow 0
		.amdhsa_exception_fp_ieee_underflow 0
		.amdhsa_exception_fp_ieee_inexact 0
		.amdhsa_exception_int_div_zero 0
	.end_amdhsa_kernel
	.section	.text._ZN9rocsparseL18bsrxmvn_4x4_kernelILj128ELj32EillaaiEEvT3_20rocsparse_direction_NS_24const_host_device_scalarIT1_EES1_PKS1_PKT2_SA_S7_PKT4_PKT5_S5_PT6_21rocsparse_index_base_b,"axG",@progbits,_ZN9rocsparseL18bsrxmvn_4x4_kernelILj128ELj32EillaaiEEvT3_20rocsparse_direction_NS_24const_host_device_scalarIT1_EES1_PKS1_PKT2_SA_S7_PKT4_PKT5_S5_PT6_21rocsparse_index_base_b,comdat
.Lfunc_end73:
	.size	_ZN9rocsparseL18bsrxmvn_4x4_kernelILj128ELj32EillaaiEEvT3_20rocsparse_direction_NS_24const_host_device_scalarIT1_EES1_PKS1_PKT2_SA_S7_PKT4_PKT5_S5_PT6_21rocsparse_index_base_b, .Lfunc_end73-_ZN9rocsparseL18bsrxmvn_4x4_kernelILj128ELj32EillaaiEEvT3_20rocsparse_direction_NS_24const_host_device_scalarIT1_EES1_PKS1_PKT2_SA_S7_PKT4_PKT5_S5_PT6_21rocsparse_index_base_b
                                        ; -- End function
	.section	.AMDGPU.csdata,"",@progbits
; Kernel info:
; codeLenInByte = 4324
; NumSgprs: 19
; NumVgprs: 68
; ScratchSize: 0
; MemoryBound: 0
; FloatMode: 240
; IeeeMode: 1
; LDSByteSize: 0 bytes/workgroup (compile time only)
; SGPRBlocks: 2
; VGPRBlocks: 8
; NumSGPRsForWavesPerEU: 19
; NumVGPRsForWavesPerEU: 68
; Occupancy: 16
; WaveLimiterHint : 1
; COMPUTE_PGM_RSRC2:SCRATCH_EN: 0
; COMPUTE_PGM_RSRC2:USER_SGPR: 15
; COMPUTE_PGM_RSRC2:TRAP_HANDLER: 0
; COMPUTE_PGM_RSRC2:TGID_X_EN: 1
; COMPUTE_PGM_RSRC2:TGID_Y_EN: 0
; COMPUTE_PGM_RSRC2:TGID_Z_EN: 0
; COMPUTE_PGM_RSRC2:TIDIG_COMP_CNT: 0
	.section	.text._ZN9rocsparseL18bsrxmvn_4x4_kernelILj128ELj64EillaaiEEvT3_20rocsparse_direction_NS_24const_host_device_scalarIT1_EES1_PKS1_PKT2_SA_S7_PKT4_PKT5_S5_PT6_21rocsparse_index_base_b,"axG",@progbits,_ZN9rocsparseL18bsrxmvn_4x4_kernelILj128ELj64EillaaiEEvT3_20rocsparse_direction_NS_24const_host_device_scalarIT1_EES1_PKS1_PKT2_SA_S7_PKT4_PKT5_S5_PT6_21rocsparse_index_base_b,comdat
	.globl	_ZN9rocsparseL18bsrxmvn_4x4_kernelILj128ELj64EillaaiEEvT3_20rocsparse_direction_NS_24const_host_device_scalarIT1_EES1_PKS1_PKT2_SA_S7_PKT4_PKT5_S5_PT6_21rocsparse_index_base_b ; -- Begin function _ZN9rocsparseL18bsrxmvn_4x4_kernelILj128ELj64EillaaiEEvT3_20rocsparse_direction_NS_24const_host_device_scalarIT1_EES1_PKS1_PKT2_SA_S7_PKT4_PKT5_S5_PT6_21rocsparse_index_base_b
	.p2align	8
	.type	_ZN9rocsparseL18bsrxmvn_4x4_kernelILj128ELj64EillaaiEEvT3_20rocsparse_direction_NS_24const_host_device_scalarIT1_EES1_PKS1_PKT2_SA_S7_PKT4_PKT5_S5_PT6_21rocsparse_index_base_b,@function
_ZN9rocsparseL18bsrxmvn_4x4_kernelILj128ELj64EillaaiEEvT3_20rocsparse_direction_NS_24const_host_device_scalarIT1_EES1_PKS1_PKT2_SA_S7_PKT4_PKT5_S5_PT6_21rocsparse_index_base_b: ; @_ZN9rocsparseL18bsrxmvn_4x4_kernelILj128ELj64EillaaiEEvT3_20rocsparse_direction_NS_24const_host_device_scalarIT1_EES1_PKS1_PKT2_SA_S7_PKT4_PKT5_S5_PT6_21rocsparse_index_base_b
; %bb.0:
	s_clause 0x1
	s_load_b64 s[12:13], s[0:1], 0x60
	s_load_b128 s[4:7], s[0:1], 0x10
	s_mov_b32 s9, -1
	s_waitcnt lgkmcnt(0)
	s_bitcmp1_b32 s13, 0
                                        ; implicit-def: $sgpr13
	s_cselect_b32 s2, -1, 0
	s_delay_alu instid0(SALU_CYCLE_1) | instskip(NEXT) | instid1(SALU_CYCLE_1)
	s_xor_b32 s8, s2, -1
	s_and_b32 vcc_lo, exec_lo, s8
	s_cbranch_vccnz .LBB74_4
; %bb.1:
	s_load_b64 s[2:3], s[0:1], 0x50
	s_and_not1_b32 vcc_lo, exec_lo, s9
	s_cbranch_vccz .LBB74_5
.LBB74_2:
	s_and_b32 vcc_lo, exec_lo, s8
	s_cbranch_vccz .LBB74_6
.LBB74_3:
	s_waitcnt lgkmcnt(0)
	s_load_b32 s16, s[2:3], 0x0
	s_cbranch_execz .LBB74_7
	s_branch .LBB74_8
.LBB74_4:
	s_load_b32 s13, s[4:5], 0x0
	s_load_b64 s[2:3], s[0:1], 0x50
	s_cbranch_execnz .LBB74_2
.LBB74_5:
	s_waitcnt lgkmcnt(0)
	s_mov_b32 s13, s4
	s_and_b32 vcc_lo, exec_lo, s8
	s_cbranch_vccnz .LBB74_3
.LBB74_6:
	s_waitcnt lgkmcnt(0)
                                        ; implicit-def: $sgpr16
.LBB74_7:
	s_waitcnt lgkmcnt(0)
	s_mov_b32 s16, s2
.LBB74_8:
	s_cmp_lg_u32 s13, 0
	s_mov_b32 s4, 0
	s_cselect_b32 s2, -1, 0
	s_waitcnt lgkmcnt(0)
	s_cmp_lg_u32 s16, 1
	s_cselect_b32 s3, -1, 0
	s_delay_alu instid0(SALU_CYCLE_1) | instskip(NEXT) | instid1(SALU_CYCLE_1)
	s_or_b32 s2, s2, s3
	s_and_not1_b32 vcc_lo, exec_lo, s2
	s_cbranch_vccnz .LBB74_14
; %bb.9:
	s_load_b64 s[2:3], s[0:1], 0x20
	v_lshrrev_b32_e32 v1, 6, v0
	v_mov_b32_e32 v2, 0
	s_delay_alu instid0(VALU_DEP_2)
	v_lshl_or_b32 v1, s15, 1, v1
	s_waitcnt lgkmcnt(0)
	s_cmp_lg_u64 s[2:3], 0
	s_cbranch_scc0 .LBB74_15
; %bb.10:
	s_delay_alu instid0(VALU_DEP_1) | instskip(SKIP_2) | instid1(SALU_CYCLE_1)
	v_cmp_gt_i64_e32 vcc_lo, s[6:7], v[1:2]
	s_mov_b32 s5, 0
                                        ; implicit-def: $vgpr3_vgpr4
	s_and_saveexec_b32 s6, vcc_lo
	s_xor_b32 s6, exec_lo, s6
                                        ; implicit-def: $sgpr14_sgpr15
	s_cbranch_execz .LBB74_12
; %bb.11:
	v_lshlrev_b64 v[3:4], 3, v[1:2]
	s_mov_b32 s4, exec_lo
	s_mov_b32 s15, 0
	s_delay_alu instid0(VALU_DEP_1) | instskip(NEXT) | instid1(VALU_DEP_2)
	v_add_co_u32 v3, vcc_lo, s2, v3
	v_add_co_ci_u32_e32 v4, vcc_lo, s3, v4, vcc_lo
	global_load_b64 v[3:4], v[3:4], off
	s_waitcnt vmcnt(0)
	v_sub_co_u32 v3, vcc_lo, v3, s12
	v_subrev_co_ci_u32_e32 v4, vcc_lo, 0, v4, vcc_lo
.LBB74_12:
	s_or_b32 exec_lo, exec_lo, s6
	s_delay_alu instid0(SALU_CYCLE_1)
	s_and_b32 vcc_lo, exec_lo, s5
	s_cbranch_vccnz .LBB74_16
.LBB74_13:
	s_and_saveexec_b32 s2, s4
	s_cbranch_execnz .LBB74_19
.LBB74_14:
	s_nop 0
	s_sendmsg sendmsg(MSG_DEALLOC_VGPRS)
	s_endpgm
.LBB74_15:
                                        ; implicit-def: $vgpr3_vgpr4
                                        ; implicit-def: $sgpr14_sgpr15
	s_cbranch_execz .LBB74_13
.LBB74_16:
	s_load_b64 s[2:3], s[0:1], 0x0
                                        ; implicit-def: $vgpr3_vgpr4
	s_waitcnt lgkmcnt(0)
	v_cmp_gt_i64_e32 vcc_lo, s[2:3], v[1:2]
	s_and_saveexec_b32 s2, vcc_lo
                                        ; implicit-def: $sgpr14_sgpr15
; %bb.17:
	v_dual_mov_b32 v4, v2 :: v_dual_mov_b32 v3, v1
	s_mov_b32 s15, 0
	s_or_b32 s4, s4, exec_lo
; %bb.18:
	s_or_b32 exec_lo, exec_lo, s2
	s_and_saveexec_b32 s2, s4
	s_cbranch_execz .LBB74_14
.LBB74_19:
	s_load_b256 s[4:11], s[0:1], 0x28
	v_lshlrev_b64 v[1:2], 3, v[3:4]
	s_load_b32 s3, s[0:1], 0x8
	v_mov_b32_e32 v20, 0
	s_waitcnt lgkmcnt(0)
	s_delay_alu instid0(VALU_DEP_2) | instskip(NEXT) | instid1(VALU_DEP_3)
	v_add_co_u32 v5, vcc_lo, s4, v1
	v_add_co_ci_u32_e32 v6, vcc_lo, s5, v2, vcc_lo
	v_add_co_u32 v1, vcc_lo, s6, v1
	v_add_co_ci_u32_e32 v2, vcc_lo, s7, v2, vcc_lo
	s_delay_alu instid0(VALU_DEP_4)
	v_add_co_u32 v9, vcc_lo, v5, 8
	global_load_b64 v[7:8], v[5:6], off
	v_add_co_ci_u32_e32 v10, vcc_lo, 0, v6, vcc_lo
	s_cmp_eq_u64 s[6:7], 0
	s_load_b64 s[4:5], s[0:1], 0x48
	s_cselect_b32 vcc_lo, -1, 0
	s_cmp_eq_u32 s3, 1
	v_dual_cndmask_b32 v2, v2, v10 :: v_dual_cndmask_b32 v1, v1, v9
	global_load_b64 v[9:10], v[1:2], off
	v_and_b32_e32 v2, 63, v0
	s_waitcnt vmcnt(1)
	v_sub_co_u32 v0, vcc_lo, v7, s12
	v_subrev_co_ci_u32_e32 v1, vcc_lo, s15, v8, vcc_lo
	s_delay_alu instid0(VALU_DEP_2) | instskip(NEXT) | instid1(VALU_DEP_2)
	v_add_co_u32 v5, vcc_lo, v0, v2
	v_add_co_ci_u32_e32 v6, vcc_lo, 0, v1, vcc_lo
	s_delay_alu instid0(VALU_DEP_1) | instskip(SKIP_3) | instid1(VALU_DEP_3)
	v_lshlrev_b64 v[0:1], 4, v[5:6]
	s_waitcnt vmcnt(0)
	v_sub_co_u32 v9, vcc_lo, v9, s12
	v_subrev_co_ci_u32_e32 v10, vcc_lo, s15, v10, vcc_lo
	v_add_co_u32 v0, vcc_lo, s10, v0
	s_delay_alu instid0(VALU_DEP_2)
	v_cmp_lt_i64_e64 s2, v[5:6], v[9:10]
	v_add_co_ci_u32_e32 v1, vcc_lo, s11, v1, vcc_lo
	s_cbranch_scc1 .LBB74_31
; %bb.20:
	v_dual_mov_b32 v21, 0 :: v_dual_mov_b32 v22, 0
	v_mov_b32_e32 v19, 0
	s_mov_b32 s6, 0
	s_and_saveexec_b32 s7, s2
	s_cbranch_execz .LBB74_30
; %bb.21:
	v_or_b32_e32 v11, 64, v2
	v_not_b32_e32 v14, v7
	v_not_b32_e32 v13, v8
	v_dual_mov_b32 v19, 0 :: v_dual_mov_b32 v22, 0
	s_delay_alu instid0(VALU_DEP_4) | instskip(NEXT) | instid1(VALU_DEP_1)
	v_sub_co_u32 v11, s3, v11, s12
	v_sub_co_ci_u32_e64 v12, null, 0, s15, s3
	v_sub_co_u32 v15, s3, s12, v2
	s_delay_alu instid0(VALU_DEP_3) | instskip(NEXT) | instid1(VALU_DEP_3)
	v_add_co_u32 v11, vcc_lo, v11, v7
	v_add_co_ci_u32_e32 v12, vcc_lo, v12, v8, vcc_lo
	v_sub_co_ci_u32_e64 v16, null, s15, 0, s3
	v_dual_mov_b32 v21, 0 :: v_dual_mov_b32 v20, 0
	s_delay_alu instid0(VALU_DEP_3) | instskip(SKIP_4) | instid1(VALU_DEP_2)
	v_cmp_gt_i64_e32 vcc_lo, v[11:12], v[9:10]
	s_mov_b32 s10, 0
	v_dual_cndmask_b32 v12, v10, v12 :: v_dual_cndmask_b32 v11, v9, v11
	v_add_co_u32 v14, vcc_lo, v15, v14
	v_add_co_ci_u32_e32 v13, vcc_lo, v16, v13, vcc_lo
	v_add_co_u32 v11, vcc_lo, v14, v11
	s_delay_alu instid0(VALU_DEP_2) | instskip(SKIP_1) | instid1(VALU_DEP_2)
	v_add_co_ci_u32_e32 v12, vcc_lo, v13, v12, vcc_lo
	v_dual_mov_b32 v14, v6 :: v_dual_mov_b32 v13, v5
	v_lshrrev_b64 v[15:16], 6, v[11:12]
	v_cmp_lt_u64_e32 vcc_lo, 0xbf, v[11:12]
	v_dual_mov_b32 v12, v1 :: v_dual_mov_b32 v11, v0
	s_delay_alu instid0(VALU_DEP_3) | instskip(NEXT) | instid1(VALU_DEP_1)
	v_add_co_u32 v23, s3, v15, 1
	v_add_co_ci_u32_e64 v16, s3, 0, v16, s3
	s_and_saveexec_b32 s3, vcc_lo
	s_cbranch_execz .LBB74_25
; %bb.22:
	v_lshlrev_b64 v[11:12], 3, v[5:6]
	v_dual_mov_b32 v20, 0 :: v_dual_and_b32 v15, -4, v23
	v_dual_mov_b32 v21, 0 :: v_dual_mov_b32 v22, 0
	v_mov_b32_e32 v19, 0
	s_delay_alu instid0(VALU_DEP_4) | instskip(SKIP_2) | instid1(VALU_DEP_3)
	v_add_co_u32 v13, vcc_lo, v11, s8
	v_add_co_ci_u32_e32 v14, vcc_lo, s9, v12, vcc_lo
	v_dual_mov_b32 v12, v1 :: v_dual_mov_b32 v11, v0
	v_add_co_u32 v17, vcc_lo, 0x400, v13
	s_delay_alu instid0(VALU_DEP_3)
	v_add_co_ci_u32_e32 v18, vcc_lo, 0, v14, vcc_lo
	v_dual_mov_b32 v14, v6 :: v_dual_mov_b32 v13, v5
.LBB74_23:                              ; =>This Inner Loop Header: Depth=1
	s_clause 0x3
	global_load_b64 v[40:41], v[17:18], off offset:-1024
	global_load_b64 v[42:43], v[17:18], off offset:-512
	global_load_b64 v[44:45], v[17:18], off
	global_load_b64 v[46:47], v[17:18], off offset:512
	s_clause 0x3
	global_load_b128 v[24:27], v[11:12], off
	global_load_b128 v[28:31], v[11:12], off offset:1024
	global_load_b128 v[32:35], v[11:12], off offset:2048
	global_load_b128 v[36:39], v[11:12], off offset:3072
	s_waitcnt vmcnt(7)
	v_sub_co_u32 v40, vcc_lo, v40, s12
	v_subrev_co_ci_u32_e32 v41, vcc_lo, s15, v41, vcc_lo
	s_waitcnt vmcnt(6)
	v_sub_co_u32 v42, vcc_lo, v42, s12
	v_subrev_co_ci_u32_e32 v43, vcc_lo, s15, v43, vcc_lo
	s_waitcnt vmcnt(5)
	v_sub_co_u32 v44, vcc_lo, v44, s12
	v_lshlrev_b64 v[40:41], 2, v[40:41]
	v_subrev_co_ci_u32_e32 v45, vcc_lo, s15, v45, vcc_lo
	s_waitcnt vmcnt(4)
	v_sub_co_u32 v46, vcc_lo, v46, s12
	v_lshlrev_b64 v[42:43], 2, v[42:43]
	v_subrev_co_ci_u32_e32 v47, vcc_lo, s15, v47, vcc_lo
	v_lshlrev_b64 v[44:45], 2, v[44:45]
	s_waitcnt lgkmcnt(0)
	v_add_co_u32 v40, vcc_lo, s4, v40
	v_add_co_ci_u32_e32 v41, vcc_lo, s5, v41, vcc_lo
	v_lshlrev_b64 v[46:47], 2, v[46:47]
	v_add_co_u32 v42, vcc_lo, s4, v42
	v_add_co_ci_u32_e32 v43, vcc_lo, s5, v43, vcc_lo
	v_add_co_u32 v44, vcc_lo, s4, v44
	v_add_co_ci_u32_e32 v45, vcc_lo, s5, v45, vcc_lo
	;; [unrolled: 2-line block ×3, first 2 shown]
	s_clause 0x3
	global_load_b32 v40, v[40:41], off
	global_load_b32 v41, v[42:43], off
	;; [unrolled: 1-line block ×4, first 2 shown]
	s_waitcnt vmcnt(7)
	v_lshrrev_b16 v44, 8, v24
	v_ashrrev_i32_e32 v45, 24, v24
	s_waitcnt vmcnt(6)
	v_lshrrev_b16 v47, 8, v28
	v_ashrrev_i32_e32 v48, 24, v28
	;; [unrolled: 3-line block ×3, first 2 shown]
	v_bfe_i32 v52, v32, 16, 8
	v_bfe_i32 v32, v32, 0, 8
	;; [unrolled: 1-line block ×6, first 2 shown]
	s_waitcnt vmcnt(4)
	v_lshrrev_b16 v53, 8, v36
	v_ashrrev_i32_e32 v54, 24, v36
	v_bfe_i32 v44, v44, 0, 8
	v_bfe_i32 v47, v47, 0, 8
	;; [unrolled: 1-line block ×3, first 2 shown]
	v_add_co_u32 v11, vcc_lo, 0x1000, v11
	v_bfe_i32 v55, v36, 16, 8
	v_bfe_i32 v36, v36, 0, 8
	v_bfe_i32 v53, v53, 0, 8
	v_add_co_ci_u32_e32 v12, vcc_lo, 0, v12, vcc_lo
	v_add_co_u32 v13, vcc_lo, 0x100, v13
	v_add_co_ci_u32_e32 v14, vcc_lo, 0, v14, vcc_lo
	v_add_co_u32 v15, vcc_lo, v15, -4
	v_add_co_ci_u32_e32 v16, vcc_lo, -1, v16, vcc_lo
	v_add_co_u32 v17, vcc_lo, 0x800, v17
	v_add_co_ci_u32_e32 v18, vcc_lo, 0, v18, vcc_lo
	s_delay_alu instid0(VALU_DEP_3)
	v_cmp_eq_u64_e32 vcc_lo, 0, v[15:16]
	s_or_b32 s10, vcc_lo, s10
	s_waitcnt vmcnt(3)
	v_lshrrev_b16 v56, 8, v40
	v_ashrrev_i32_e32 v57, 24, v40
	v_dot4_i32_iu8 v22, v40, v25, v22 neg_lo:[1,1,0]
	v_dot4_i32_iu8 v21, v40, v26, v21 neg_lo:[1,1,0]
	s_waitcnt vmcnt(2)
	v_lshrrev_b16 v25, 8, v41
	v_ashrrev_i32_e32 v26, 24, v41
	s_waitcnt vmcnt(1)
	v_lshrrev_b16 v60, 8, v42
	v_ashrrev_i32_e32 v61, 24, v42
	v_bfe_i32 v63, v42, 0, 8
	v_bfe_i32 v58, v40, 16, 8
	;; [unrolled: 1-line block ×3, first 2 shown]
	v_dot4_i32_iu8 v20, v40, v27, v20 neg_lo:[1,1,0]
	v_bfe_i32 v27, v41, 16, 8
	v_bfe_i32 v40, v41, 0, 8
	;; [unrolled: 1-line block ×3, first 2 shown]
	s_waitcnt vmcnt(0)
	v_lshrrev_b16 v64, 8, v43
	v_ashrrev_i32_e32 v65, 24, v43
	v_bfe_i32 v56, v56, 0, 8
	v_mul_i32_i24_e32 v45, v57, v45
	v_bfe_i32 v25, v25, 0, 8
	v_mul_i32_i24_e32 v26, v26, v48
	v_dot4_i32_iu8 v22, v41, v29, v22 neg_lo:[1,1,0]
	v_dot4_i32_iu8 v21, v41, v30, v21 neg_lo:[1,1,0]
	v_bfe_i32 v29, v60, 0, 8
	v_mul_i32_i24_e32 v30, v63, v32
	v_mul_i32_i24_e32 v32, v61, v51
	v_bfe_i32 v66, v43, 16, 8
	v_bfe_i32 v67, v43, 0, 8
	v_mul_i32_i24_e32 v24, v59, v24
	v_mul_i32_i24_e32 v46, v58, v46
	;; [unrolled: 1-line block ×4, first 2 shown]
	v_dot4_i32_iu8 v20, v41, v31, v20 neg_lo:[1,1,0]
	v_mul_i32_i24_e32 v31, v62, v52
	v_bfe_i32 v40, v64, 0, 8
	v_mul_i32_i24_e32 v41, v65, v54
	v_mad_i32_i24 v44, v56, v44, v45
	v_mad_i32_i24 v25, v25, v47, v26
	v_mad_i32_i24 v26, v29, v50, v32
	v_mul_i32_i24_e32 v36, v67, v36
	v_mul_i32_i24_e32 v29, v66, v55
	v_mad_i32_i24 v32, v40, v53, v41
	v_add3_u32 v24, v24, v46, v44
	v_add3_u32 v25, v28, v27, v25
	;; [unrolled: 1-line block ×3, first 2 shown]
	v_dot4_i32_iu8 v22, v42, v33, v22 neg_lo:[1,1,0]
	v_dot4_i32_iu8 v21, v42, v34, v21 neg_lo:[1,1,0]
	;; [unrolled: 1-line block ×3, first 2 shown]
	v_add3_u32 v27, v36, v29, v32
	v_add3_u32 v24, v24, v25, v26
	v_dot4_i32_iu8 v22, v43, v37, v22 neg_lo:[1,1,0]
	v_dot4_i32_iu8 v21, v43, v38, v21 neg_lo:[1,1,0]
	v_dot4_i32_iu8 v20, v43, v39, v20 neg_lo:[1,1,0]
	s_delay_alu instid0(VALU_DEP_4)
	v_add3_u32 v19, v24, v27, v19
	s_and_not1_b32 exec_lo, exec_lo, s10
	s_cbranch_execnz .LBB74_23
; %bb.24:
	s_or_b32 exec_lo, exec_lo, s10
.LBB74_25:
	s_delay_alu instid0(SALU_CYCLE_1) | instskip(SKIP_2) | instid1(VALU_DEP_1)
	s_or_b32 exec_lo, exec_lo, s3
	v_dual_mov_b32 v16, 0 :: v_dual_and_b32 v15, 3, v23
	s_mov_b32 s3, exec_lo
	v_cmpx_ne_u64_e32 0, v[15:16]
	s_cbranch_execz .LBB74_29
; %bb.26:
	v_lshlrev_b64 v[13:14], 3, v[13:14]
	v_lshlrev_b32_e32 v15, 1, v15
	s_mov_b32 s10, 0
	s_delay_alu instid0(VALU_DEP_2) | instskip(NEXT) | instid1(VALU_DEP_3)
	v_add_co_u32 v13, vcc_lo, s8, v13
	v_add_co_ci_u32_e32 v14, vcc_lo, s9, v14, vcc_lo
.LBB74_27:                              ; =>This Inner Loop Header: Depth=1
	global_load_b64 v[17:18], v[13:14], off
	s_waitcnt vmcnt(0)
	v_sub_co_u32 v17, vcc_lo, v17, s12
	v_subrev_co_ci_u32_e32 v18, vcc_lo, s15, v18, vcc_lo
	s_delay_alu instid0(VALU_DEP_1) | instskip(SKIP_1) | instid1(VALU_DEP_1)
	v_lshlrev_b64 v[17:18], 2, v[17:18]
	s_waitcnt lgkmcnt(0)
	v_add_co_u32 v17, vcc_lo, s4, v17
	s_delay_alu instid0(VALU_DEP_2)
	v_add_co_ci_u32_e32 v18, vcc_lo, s5, v18, vcc_lo
	global_load_b128 v[23:26], v[11:12], off
	global_load_b32 v17, v[17:18], off
	v_add_co_u32 v11, vcc_lo, 0x400, v11
	v_add_co_ci_u32_e32 v12, vcc_lo, 0, v12, vcc_lo
	v_add_co_u32 v15, vcc_lo, v15, -2
	v_add_co_ci_u32_e32 v16, vcc_lo, -1, v16, vcc_lo
	v_add_co_u32 v13, vcc_lo, 0x200, v13
	v_add_co_ci_u32_e32 v14, vcc_lo, 0, v14, vcc_lo
	s_delay_alu instid0(VALU_DEP_3)
	v_cmp_eq_u64_e32 vcc_lo, 0, v[15:16]
	s_or_b32 s10, vcc_lo, s10
	s_waitcnt vmcnt(1)
	v_lshrrev_b16 v18, 8, v23
	v_ashrrev_i32_e32 v27, 24, v23
	v_bfe_i32 v28, v23, 0, 8
	v_bfe_i32 v23, v23, 16, 8
	s_waitcnt vmcnt(0)
	v_lshrrev_b16 v29, 8, v17
	v_bfe_i32 v30, v17, 16, 8
	v_ashrrev_i32_e32 v31, 24, v17
	v_bfe_i32 v18, v18, 0, 8
	v_bfe_i32 v32, v17, 0, 8
	v_bfe_i32 v29, v29, 0, 8
	v_mul_i32_i24_e32 v23, v30, v23
	v_mul_i32_i24_e32 v27, v31, v27
	v_dot4_i32_iu8 v22, v17, v24, v22 neg_lo:[1,1,0]
	v_dot4_i32_iu8 v21, v17, v25, v21 neg_lo:[1,1,0]
	;; [unrolled: 1-line block ×3, first 2 shown]
	v_mad_i32_i24 v23, v32, v28, v23
	v_mad_i32_i24 v18, v29, v18, v27
	s_delay_alu instid0(VALU_DEP_1)
	v_add3_u32 v19, v23, v18, v19
	s_and_not1_b32 exec_lo, exec_lo, s10
	s_cbranch_execnz .LBB74_27
; %bb.28:
	s_or_b32 exec_lo, exec_lo, s10
.LBB74_29:
	s_delay_alu instid0(SALU_CYCLE_1)
	s_or_b32 exec_lo, exec_lo, s3
.LBB74_30:
	s_delay_alu instid0(SALU_CYCLE_1) | instskip(NEXT) | instid1(SALU_CYCLE_1)
	s_or_b32 exec_lo, exec_lo, s7
	s_and_not1_b32 vcc_lo, exec_lo, s6
	s_cbranch_vccz .LBB74_32
	s_branch .LBB74_43
.LBB74_31:
                                        ; implicit-def: $vgpr20
                                        ; implicit-def: $vgpr21
                                        ; implicit-def: $vgpr22
                                        ; implicit-def: $vgpr19
.LBB74_32:
	v_dual_mov_b32 v20, 0 :: v_dual_mov_b32 v21, 0
	v_dual_mov_b32 v22, 0 :: v_dual_mov_b32 v19, 0
	s_delay_alu instid0(VALU_DEP_4)
	s_and_saveexec_b32 s3, s2
	s_cbranch_execz .LBB74_42
; %bb.33:
	v_or_b32_e32 v11, 64, v2
	v_dual_mov_b32 v19, 0 :: v_dual_mov_b32 v22, 0
	v_dual_mov_b32 v21, 0 :: v_dual_mov_b32 v20, 0
	s_delay_alu instid0(VALU_DEP_3) | instskip(NEXT) | instid1(VALU_DEP_1)
	v_sub_co_u32 v11, s2, v11, s12
	v_sub_co_ci_u32_e64 v12, null, 0, s15, s2
	v_sub_co_u32 v13, s2, s12, v2
	s_delay_alu instid0(VALU_DEP_3) | instskip(NEXT) | instid1(VALU_DEP_3)
	v_add_co_u32 v11, vcc_lo, v11, v7
	v_add_co_ci_u32_e32 v12, vcc_lo, v12, v8, vcc_lo
	v_not_b32_e32 v7, v7
	v_not_b32_e32 v8, v8
	v_sub_co_ci_u32_e64 v14, null, s15, 0, s2
	s_delay_alu instid0(VALU_DEP_4) | instskip(SKIP_4) | instid1(VALU_DEP_2)
	v_cmp_gt_i64_e32 vcc_lo, v[11:12], v[9:10]
	s_mov_b32 s6, 0
	v_dual_cndmask_b32 v10, v10, v12 :: v_dual_cndmask_b32 v9, v9, v11
	v_add_co_u32 v7, vcc_lo, v13, v7
	v_add_co_ci_u32_e32 v8, vcc_lo, v14, v8, vcc_lo
	v_add_co_u32 v7, vcc_lo, v7, v9
	s_delay_alu instid0(VALU_DEP_2) | instskip(NEXT) | instid1(VALU_DEP_1)
	v_add_co_ci_u32_e32 v8, vcc_lo, v8, v10, vcc_lo
	v_lshrrev_b64 v[9:10], 6, v[7:8]
	v_cmp_lt_u64_e32 vcc_lo, 0xbf, v[7:8]
	s_delay_alu instid0(VALU_DEP_2) | instskip(NEXT) | instid1(VALU_DEP_1)
	v_add_co_u32 v11, s2, v9, 1
	v_add_co_ci_u32_e64 v8, s2, 0, v10, s2
	s_and_saveexec_b32 s2, vcc_lo
	s_cbranch_execz .LBB74_37
; %bb.34:
	v_lshlrev_b64 v[9:10], 3, v[5:6]
	v_dual_mov_b32 v20, 0 :: v_dual_and_b32 v7, -4, v11
	v_dual_mov_b32 v21, 0 :: v_dual_mov_b32 v22, 0
	v_mov_b32_e32 v19, 0
	s_delay_alu instid0(VALU_DEP_4) | instskip(SKIP_1) | instid1(VALU_DEP_2)
	v_add_co_u32 v9, vcc_lo, v9, s8
	v_add_co_ci_u32_e32 v10, vcc_lo, s9, v10, vcc_lo
	v_add_co_u32 v9, vcc_lo, 0x400, v9
	s_delay_alu instid0(VALU_DEP_2)
	v_add_co_ci_u32_e32 v10, vcc_lo, 0, v10, vcc_lo
.LBB74_35:                              ; =>This Inner Loop Header: Depth=1
	s_clause 0x3
	global_load_b64 v[16:17], v[9:10], off offset:-1024
	global_load_b64 v[35:36], v[9:10], off offset:-512
	global_load_b64 v[37:38], v[9:10], off
	global_load_b64 v[39:40], v[9:10], off offset:512
	s_clause 0x3
	global_load_b128 v[12:15], v[0:1], off
	global_load_b128 v[23:26], v[0:1], off offset:1024
	global_load_b128 v[27:30], v[0:1], off offset:2048
	;; [unrolled: 1-line block ×3, first 2 shown]
	s_waitcnt vmcnt(7)
	v_sub_co_u32 v16, vcc_lo, v16, s12
	v_subrev_co_ci_u32_e32 v17, vcc_lo, s15, v17, vcc_lo
	s_waitcnt vmcnt(6)
	v_sub_co_u32 v35, vcc_lo, v35, s12
	v_subrev_co_ci_u32_e32 v36, vcc_lo, s15, v36, vcc_lo
	s_waitcnt vmcnt(5)
	v_sub_co_u32 v37, vcc_lo, v37, s12
	v_lshlrev_b64 v[16:17], 2, v[16:17]
	v_subrev_co_ci_u32_e32 v38, vcc_lo, s15, v38, vcc_lo
	s_waitcnt vmcnt(4)
	v_sub_co_u32 v39, vcc_lo, v39, s12
	v_subrev_co_ci_u32_e32 v40, vcc_lo, s15, v40, vcc_lo
	v_lshlrev_b64 v[35:36], 2, v[35:36]
	s_waitcnt lgkmcnt(0)
	v_add_co_u32 v16, vcc_lo, s4, v16
	v_add_co_ci_u32_e32 v17, vcc_lo, s5, v17, vcc_lo
	v_lshlrev_b64 v[37:38], 2, v[37:38]
	s_delay_alu instid0(VALU_DEP_4)
	v_add_co_u32 v35, vcc_lo, s4, v35
	v_lshlrev_b64 v[39:40], 2, v[39:40]
	v_add_co_ci_u32_e32 v36, vcc_lo, s5, v36, vcc_lo
	global_load_b32 v18, v[16:17], off
	v_add_co_u32 v37, vcc_lo, s4, v37
	global_load_b32 v35, v[35:36], off
	v_add_co_ci_u32_e32 v38, vcc_lo, s5, v38, vcc_lo
	v_add_co_u32 v16, vcc_lo, s4, v39
	v_add_co_ci_u32_e32 v17, vcc_lo, s5, v40, vcc_lo
	s_clause 0x1
	global_load_b32 v36, v[37:38], off
	global_load_b32 v16, v[16:17], off
	s_waitcnt vmcnt(7)
	v_perm_b32 v17, v13, v12, 0xc0c0400
	v_perm_b32 v37, v15, v14, 0x4000c0c
	v_perm_b32 v38, v13, v12, 0xc0c0501
	v_perm_b32 v39, v15, v14, 0x5010c0c
	v_perm_b32 v40, v13, v12, 0xc0c0602
	v_perm_b32 v41, v15, v14, 0x6020c0c
	v_perm_b32 v12, v13, v12, 0xc0c0703
	v_perm_b32 v13, v15, v14, 0x7030c0c
	s_waitcnt vmcnt(6)
	v_perm_b32 v14, v24, v23, 0xc0c0400
	v_perm_b32 v15, v26, v25, 0x4000c0c
	v_perm_b32 v42, v24, v23, 0xc0c0501
	v_perm_b32 v43, v26, v25, 0x5010c0c
	v_perm_b32 v44, v24, v23, 0xc0c0602
	v_perm_b32 v45, v26, v25, 0x6020c0c
	v_perm_b32 v23, v24, v23, 0xc0c0703
	v_perm_b32 v24, v26, v25, 0x7030c0c
	;; [unrolled: 9-line block ×4, first 2 shown]
	v_or_b32_e32 v17, v37, v17
	v_or_b32_e32 v33, v39, v38
	v_or_b32_e32 v34, v41, v40
	v_or_b32_e32 v12, v13, v12
	v_add_co_u32 v0, vcc_lo, 0x1000, v0
	v_or_b32_e32 v13, v15, v14
	v_or_b32_e32 v14, v43, v42
	;; [unrolled: 1-line block ×4, first 2 shown]
	v_add_co_ci_u32_e32 v1, vcc_lo, 0, v1, vcc_lo
	v_add_co_u32 v5, vcc_lo, 0x100, v5
	v_add_co_ci_u32_e32 v6, vcc_lo, 0, v6, vcc_lo
	v_add_co_u32 v7, vcc_lo, v7, -4
	v_or_b32_e32 v24, v26, v25
	v_or_b32_e32 v25, v47, v46
	;; [unrolled: 1-line block ×4, first 2 shown]
	v_add_co_ci_u32_e32 v8, vcc_lo, -1, v8, vcc_lo
	v_add_co_u32 v9, vcc_lo, 0x800, v9
	v_or_b32_e32 v28, v30, v29
	v_or_b32_e32 v29, v51, v50
	v_add_co_ci_u32_e32 v10, vcc_lo, 0, v10, vcc_lo
	v_cmp_eq_u64_e32 vcc_lo, 0, v[7:8]
	s_or_b32 s6, vcc_lo, s6
	s_waitcnt vmcnt(3)
	v_dot4_i32_iu8 v17, v18, v17, v19 neg_lo:[1,1,0]
	v_dot4_i32_iu8 v19, v33, v18, v22 neg_lo:[1,1,0]
	;; [unrolled: 1-line block ×4, first 2 shown]
	v_or_b32_e32 v18, v53, v52
	s_waitcnt vmcnt(2)
	v_dot4_i32_iu8 v13, v35, v13, v17 neg_lo:[1,1,0]
	v_dot4_i32_iu8 v14, v14, v35, v19 neg_lo:[1,1,0]
	;; [unrolled: 1-line block ×4, first 2 shown]
	v_or_b32_e32 v17, v32, v31
	s_waitcnt vmcnt(1)
	v_dot4_i32_iu8 v13, v36, v24, v13 neg_lo:[1,1,0]
	v_dot4_i32_iu8 v14, v25, v36, v14 neg_lo:[1,1,0]
	;; [unrolled: 1-line block ×4, first 2 shown]
	s_waitcnt vmcnt(0)
	v_dot4_i32_iu8 v19, v16, v28, v13 neg_lo:[1,1,0]
	v_dot4_i32_iu8 v22, v29, v16, v14 neg_lo:[1,1,0]
	;; [unrolled: 1-line block ×4, first 2 shown]
	s_and_not1_b32 exec_lo, exec_lo, s6
	s_cbranch_execnz .LBB74_35
; %bb.36:
	s_or_b32 exec_lo, exec_lo, s6
.LBB74_37:
	s_delay_alu instid0(SALU_CYCLE_1) | instskip(SKIP_2) | instid1(VALU_DEP_1)
	s_or_b32 exec_lo, exec_lo, s2
	v_dual_mov_b32 v8, 0 :: v_dual_and_b32 v7, 3, v11
	s_mov_b32 s2, exec_lo
	v_cmpx_ne_u64_e32 0, v[7:8]
	s_cbranch_execz .LBB74_41
; %bb.38:
	v_lshlrev_b64 v[5:6], 3, v[5:6]
	v_lshlrev_b32_e32 v7, 1, v7
	s_mov_b32 s6, 0
	s_delay_alu instid0(VALU_DEP_2) | instskip(NEXT) | instid1(VALU_DEP_3)
	v_add_co_u32 v5, vcc_lo, s8, v5
	v_add_co_ci_u32_e32 v6, vcc_lo, s9, v6, vcc_lo
.LBB74_39:                              ; =>This Inner Loop Header: Depth=1
	global_load_b64 v[13:14], v[5:6], off
	global_load_b128 v[9:12], v[0:1], off
	s_waitcnt vmcnt(1)
	v_sub_co_u32 v13, vcc_lo, v13, s12
	v_subrev_co_ci_u32_e32 v14, vcc_lo, s15, v14, vcc_lo
	s_waitcnt vmcnt(0)
	v_perm_b32 v15, v12, v11, 0x4000c0c
	v_perm_b32 v16, v10, v9, 0xc0c0501
	;; [unrolled: 1-line block ×3, first 2 shown]
	v_lshlrev_b64 v[13:14], 2, v[13:14]
	v_perm_b32 v18, v10, v9, 0xc0c0602
	v_perm_b32 v23, v12, v11, 0x6020c0c
	s_waitcnt lgkmcnt(0)
	s_delay_alu instid0(VALU_DEP_3) | instskip(NEXT) | instid1(VALU_DEP_4)
	v_add_co_u32 v13, vcc_lo, s4, v13
	v_add_co_ci_u32_e32 v14, vcc_lo, s5, v14, vcc_lo
	v_add_co_u32 v0, vcc_lo, 0x400, v0
	v_add_co_ci_u32_e32 v1, vcc_lo, 0, v1, vcc_lo
	global_load_b32 v13, v[13:14], off
	v_add_co_u32 v5, vcc_lo, 0x200, v5
	v_add_co_ci_u32_e32 v6, vcc_lo, 0, v6, vcc_lo
	v_add_co_u32 v7, vcc_lo, v7, -2
	v_perm_b32 v14, v10, v9, 0xc0c0400
	v_perm_b32 v9, v10, v9, 0xc0c0703
	v_perm_b32 v10, v12, v11, 0x7030c0c
	v_add_co_ci_u32_e32 v8, vcc_lo, -1, v8, vcc_lo
	s_delay_alu instid0(VALU_DEP_4)
	v_or_b32_e32 v11, v15, v14
	v_or_b32_e32 v12, v17, v16
	;; [unrolled: 1-line block ×4, first 2 shown]
	v_cmp_eq_u64_e32 vcc_lo, 0, v[7:8]
	s_or_b32 s6, vcc_lo, s6
	s_waitcnt vmcnt(0)
	v_dot4_i32_iu8 v19, v13, v11, v19 neg_lo:[1,1,0]
	v_dot4_i32_iu8 v22, v12, v13, v22 neg_lo:[1,1,0]
	;; [unrolled: 1-line block ×4, first 2 shown]
	s_and_not1_b32 exec_lo, exec_lo, s6
	s_cbranch_execnz .LBB74_39
; %bb.40:
	s_or_b32 exec_lo, exec_lo, s6
.LBB74_41:
	s_delay_alu instid0(SALU_CYCLE_1)
	s_or_b32 exec_lo, exec_lo, s2
.LBB74_42:
	s_delay_alu instid0(SALU_CYCLE_1)
	s_or_b32 exec_lo, exec_lo, s3
.LBB74_43:
	v_mbcnt_lo_u32_b32 v0, -1, 0
	s_mov_b32 s2, -1
	s_delay_alu instid0(VALU_DEP_1) | instskip(SKIP_2) | instid1(VALU_DEP_3)
	v_or_b32_e32 v1, 32, v0
	v_xor_b32_e32 v8, 16, v0
	v_xor_b32_e32 v12, 8, v0
	v_cmp_gt_i32_e32 vcc_lo, 32, v1
	v_cndmask_b32_e32 v1, v0, v1, vcc_lo
	s_delay_alu instid0(VALU_DEP_4) | instskip(SKIP_2) | instid1(VALU_DEP_2)
	v_cmp_gt_i32_e32 vcc_lo, 32, v8
	v_cndmask_b32_e32 v8, v0, v8, vcc_lo
	v_cmp_gt_i32_e32 vcc_lo, 32, v12
	v_lshlrev_b32_e32 v8, 2, v8
	v_dual_cndmask_b32 v12, v0, v12 :: v_dual_lshlrev_b32 v1, 2, v1
	ds_bpermute_b32 v5, v1, v19
	ds_bpermute_b32 v6, v1, v22
	;; [unrolled: 1-line block ×4, first 2 shown]
	v_lshlrev_b32_e32 v12, 2, v12
	s_waitcnt lgkmcnt(0)
	v_add_nc_u32_e32 v5, v5, v19
	v_add_nc_u32_e32 v6, v6, v22
	;; [unrolled: 1-line block ×4, first 2 shown]
	ds_bpermute_b32 v9, v8, v5
	ds_bpermute_b32 v10, v8, v6
	;; [unrolled: 1-line block ×4, first 2 shown]
	s_waitcnt lgkmcnt(3)
	v_add_nc_u32_e32 v5, v9, v5
	s_waitcnt lgkmcnt(2)
	v_add_nc_u32_e32 v6, v10, v6
	;; [unrolled: 2-line block ×4, first 2 shown]
	ds_bpermute_b32 v8, v12, v5
	ds_bpermute_b32 v9, v12, v6
	;; [unrolled: 1-line block ×4, first 2 shown]
	v_xor_b32_e32 v12, 4, v0
	s_delay_alu instid0(VALU_DEP_1) | instskip(SKIP_1) | instid1(VALU_DEP_1)
	v_cmp_gt_i32_e32 vcc_lo, 32, v12
	v_cndmask_b32_e32 v12, v0, v12, vcc_lo
	v_lshlrev_b32_e32 v12, 2, v12
	s_waitcnt lgkmcnt(3)
	v_add_nc_u32_e32 v5, v8, v5
	s_waitcnt lgkmcnt(2)
	v_add_nc_u32_e32 v6, v9, v6
	;; [unrolled: 2-line block ×4, first 2 shown]
	ds_bpermute_b32 v8, v12, v5
	ds_bpermute_b32 v9, v12, v6
	;; [unrolled: 1-line block ×4, first 2 shown]
	v_xor_b32_e32 v12, 2, v0
	s_delay_alu instid0(VALU_DEP_1) | instskip(SKIP_1) | instid1(VALU_DEP_1)
	v_cmp_gt_i32_e32 vcc_lo, 32, v12
	v_cndmask_b32_e32 v12, v0, v12, vcc_lo
	v_lshlrev_b32_e32 v12, 2, v12
	s_waitcnt lgkmcnt(3)
	v_add_nc_u32_e32 v5, v8, v5
	s_waitcnt lgkmcnt(2)
	v_add_nc_u32_e32 v6, v9, v6
	s_waitcnt lgkmcnt(1)
	v_add_nc_u32_e32 v7, v10, v7
	s_waitcnt lgkmcnt(0)
	v_add_nc_u32_e32 v8, v11, v1
	ds_bpermute_b32 v1, v12, v5
	ds_bpermute_b32 v9, v12, v6
	;; [unrolled: 1-line block ×4, first 2 shown]
	v_xor_b32_e32 v12, 1, v0
	s_delay_alu instid0(VALU_DEP_1) | instskip(SKIP_2) | instid1(VALU_DEP_2)
	v_cmp_gt_i32_e32 vcc_lo, 32, v12
	v_cndmask_b32_e32 v0, v0, v12, vcc_lo
	v_cmp_eq_u32_e32 vcc_lo, 63, v2
	v_lshlrev_b32_e32 v12, 2, v0
	s_waitcnt lgkmcnt(3)
	v_add_nc_u32_e32 v0, v1, v5
	s_waitcnt lgkmcnt(2)
	v_add_nc_u32_e32 v1, v9, v6
	;; [unrolled: 2-line block ×4, first 2 shown]
	ds_bpermute_b32 v7, v12, v0
	ds_bpermute_b32 v8, v12, v1
	;; [unrolled: 1-line block ×4, first 2 shown]
	s_and_b32 exec_lo, exec_lo, vcc_lo
	s_cbranch_execz .LBB74_14
; %bb.44:
	s_load_b64 s[0:1], s[0:1], 0x58
	s_waitcnt lgkmcnt(0)
	v_add_nc_u32_e32 v0, v7, v0
	v_add_nc_u32_e32 v1, v8, v1
	;; [unrolled: 1-line block ×4, first 2 shown]
	v_lshlrev_b64 v[3:4], 4, v[3:4]
	v_mul_lo_u32 v0, v0, s13
	v_mul_lo_u32 v1, v1, s13
	;; [unrolled: 1-line block ×4, first 2 shown]
	s_cmp_eq_u32 s16, 0
	s_cbranch_scc1 .LBB74_46
; %bb.45:
	v_add_co_u32 v13, vcc_lo, s0, v3
	v_add_co_ci_u32_e32 v14, vcc_lo, s1, v4, vcc_lo
	s_mov_b32 s2, 0
	global_load_b128 v[6:9], v[13:14], off
	s_waitcnt vmcnt(0)
	v_mad_u64_u32 v[15:16], null, v9, s16, v[5:6]
	v_mad_u64_u32 v[9:10], null, v6, s16, v[0:1]
	v_mad_u64_u32 v[10:11], null, v7, s16, v[1:2]
	v_mad_u64_u32 v[11:12], null, v8, s16, v[2:3]
	s_delay_alu instid0(VALU_DEP_4)
	v_mov_b32_e32 v12, v15
	global_store_b128 v[13:14], v[9:12], off
.LBB74_46:
	s_and_not1_b32 vcc_lo, exec_lo, s2
	s_cbranch_vccnz .LBB74_14
; %bb.47:
	v_add_co_u32 v6, vcc_lo, s0, v3
	v_add_co_ci_u32_e32 v7, vcc_lo, s1, v4, vcc_lo
	s_delay_alu instid0(VALU_DEP_3)
	v_mov_b32_e32 v3, v5
	global_store_b128 v[6:7], v[0:3], off
	s_nop 0
	s_sendmsg sendmsg(MSG_DEALLOC_VGPRS)
	s_endpgm
	.section	.rodata,"a",@progbits
	.p2align	6, 0x0
	.amdhsa_kernel _ZN9rocsparseL18bsrxmvn_4x4_kernelILj128ELj64EillaaiEEvT3_20rocsparse_direction_NS_24const_host_device_scalarIT1_EES1_PKS1_PKT2_SA_S7_PKT4_PKT5_S5_PT6_21rocsparse_index_base_b
		.amdhsa_group_segment_fixed_size 0
		.amdhsa_private_segment_fixed_size 0
		.amdhsa_kernarg_size 104
		.amdhsa_user_sgpr_count 15
		.amdhsa_user_sgpr_dispatch_ptr 0
		.amdhsa_user_sgpr_queue_ptr 0
		.amdhsa_user_sgpr_kernarg_segment_ptr 1
		.amdhsa_user_sgpr_dispatch_id 0
		.amdhsa_user_sgpr_private_segment_size 0
		.amdhsa_wavefront_size32 1
		.amdhsa_uses_dynamic_stack 0
		.amdhsa_enable_private_segment 0
		.amdhsa_system_sgpr_workgroup_id_x 1
		.amdhsa_system_sgpr_workgroup_id_y 0
		.amdhsa_system_sgpr_workgroup_id_z 0
		.amdhsa_system_sgpr_workgroup_info 0
		.amdhsa_system_vgpr_workitem_id 0
		.amdhsa_next_free_vgpr 68
		.amdhsa_next_free_sgpr 17
		.amdhsa_reserve_vcc 1
		.amdhsa_float_round_mode_32 0
		.amdhsa_float_round_mode_16_64 0
		.amdhsa_float_denorm_mode_32 3
		.amdhsa_float_denorm_mode_16_64 3
		.amdhsa_dx10_clamp 1
		.amdhsa_ieee_mode 1
		.amdhsa_fp16_overflow 0
		.amdhsa_workgroup_processor_mode 1
		.amdhsa_memory_ordered 1
		.amdhsa_forward_progress 0
		.amdhsa_shared_vgpr_count 0
		.amdhsa_exception_fp_ieee_invalid_op 0
		.amdhsa_exception_fp_denorm_src 0
		.amdhsa_exception_fp_ieee_div_zero 0
		.amdhsa_exception_fp_ieee_overflow 0
		.amdhsa_exception_fp_ieee_underflow 0
		.amdhsa_exception_fp_ieee_inexact 0
		.amdhsa_exception_int_div_zero 0
	.end_amdhsa_kernel
	.section	.text._ZN9rocsparseL18bsrxmvn_4x4_kernelILj128ELj64EillaaiEEvT3_20rocsparse_direction_NS_24const_host_device_scalarIT1_EES1_PKS1_PKT2_SA_S7_PKT4_PKT5_S5_PT6_21rocsparse_index_base_b,"axG",@progbits,_ZN9rocsparseL18bsrxmvn_4x4_kernelILj128ELj64EillaaiEEvT3_20rocsparse_direction_NS_24const_host_device_scalarIT1_EES1_PKS1_PKT2_SA_S7_PKT4_PKT5_S5_PT6_21rocsparse_index_base_b,comdat
.Lfunc_end74:
	.size	_ZN9rocsparseL18bsrxmvn_4x4_kernelILj128ELj64EillaaiEEvT3_20rocsparse_direction_NS_24const_host_device_scalarIT1_EES1_PKS1_PKT2_SA_S7_PKT4_PKT5_S5_PT6_21rocsparse_index_base_b, .Lfunc_end74-_ZN9rocsparseL18bsrxmvn_4x4_kernelILj128ELj64EillaaiEEvT3_20rocsparse_direction_NS_24const_host_device_scalarIT1_EES1_PKS1_PKT2_SA_S7_PKT4_PKT5_S5_PT6_21rocsparse_index_base_b
                                        ; -- End function
	.section	.AMDGPU.csdata,"",@progbits
; Kernel info:
; codeLenInByte = 4408
; NumSgprs: 19
; NumVgprs: 68
; ScratchSize: 0
; MemoryBound: 0
; FloatMode: 240
; IeeeMode: 1
; LDSByteSize: 0 bytes/workgroup (compile time only)
; SGPRBlocks: 2
; VGPRBlocks: 8
; NumSGPRsForWavesPerEU: 19
; NumVGPRsForWavesPerEU: 68
; Occupancy: 16
; WaveLimiterHint : 1
; COMPUTE_PGM_RSRC2:SCRATCH_EN: 0
; COMPUTE_PGM_RSRC2:USER_SGPR: 15
; COMPUTE_PGM_RSRC2:TRAP_HANDLER: 0
; COMPUTE_PGM_RSRC2:TGID_X_EN: 1
; COMPUTE_PGM_RSRC2:TGID_Y_EN: 0
; COMPUTE_PGM_RSRC2:TGID_Z_EN: 0
; COMPUTE_PGM_RSRC2:TIDIG_COMP_CNT: 0
	.section	.text._ZN9rocsparseL18bsrxmvn_4x4_kernelILj128ELj4EfiiaafEEvT3_20rocsparse_direction_NS_24const_host_device_scalarIT1_EES1_PKS1_PKT2_SA_S7_PKT4_PKT5_S5_PT6_21rocsparse_index_base_b,"axG",@progbits,_ZN9rocsparseL18bsrxmvn_4x4_kernelILj128ELj4EfiiaafEEvT3_20rocsparse_direction_NS_24const_host_device_scalarIT1_EES1_PKS1_PKT2_SA_S7_PKT4_PKT5_S5_PT6_21rocsparse_index_base_b,comdat
	.globl	_ZN9rocsparseL18bsrxmvn_4x4_kernelILj128ELj4EfiiaafEEvT3_20rocsparse_direction_NS_24const_host_device_scalarIT1_EES1_PKS1_PKT2_SA_S7_PKT4_PKT5_S5_PT6_21rocsparse_index_base_b ; -- Begin function _ZN9rocsparseL18bsrxmvn_4x4_kernelILj128ELj4EfiiaafEEvT3_20rocsparse_direction_NS_24const_host_device_scalarIT1_EES1_PKS1_PKT2_SA_S7_PKT4_PKT5_S5_PT6_21rocsparse_index_base_b
	.p2align	8
	.type	_ZN9rocsparseL18bsrxmvn_4x4_kernelILj128ELj4EfiiaafEEvT3_20rocsparse_direction_NS_24const_host_device_scalarIT1_EES1_PKS1_PKT2_SA_S7_PKT4_PKT5_S5_PT6_21rocsparse_index_base_b,@function
_ZN9rocsparseL18bsrxmvn_4x4_kernelILj128ELj4EfiiaafEEvT3_20rocsparse_direction_NS_24const_host_device_scalarIT1_EES1_PKS1_PKT2_SA_S7_PKT4_PKT5_S5_PT6_21rocsparse_index_base_b: ; @_ZN9rocsparseL18bsrxmvn_4x4_kernelILj128ELj4EfiiaafEEvT3_20rocsparse_direction_NS_24const_host_device_scalarIT1_EES1_PKS1_PKT2_SA_S7_PKT4_PKT5_S5_PT6_21rocsparse_index_base_b
; %bb.0:
	s_clause 0x2
	s_load_b64 s[18:19], s[0:1], 0x58
	s_load_b64 s[16:17], s[0:1], 0x8
	;; [unrolled: 1-line block ×3, first 2 shown]
	s_waitcnt lgkmcnt(0)
	s_bitcmp1_b32 s19, 0
	s_cselect_b32 s2, -1, 0
	s_delay_alu instid0(SALU_CYCLE_1)
	s_and_b32 vcc_lo, exec_lo, s2
	s_xor_b32 s2, s2, -1
	s_cbranch_vccnz .LBB75_2
; %bb.1:
	s_load_b32 s16, s[16:17], 0x0
.LBB75_2:
	s_and_not1_b32 vcc_lo, exec_lo, s2
	s_cbranch_vccnz .LBB75_4
; %bb.3:
	s_load_b32 s12, s[12:13], 0x0
.LBB75_4:
	s_waitcnt lgkmcnt(0)
	v_cmp_neq_f32_e64 s2, s16, 0
	v_cmp_neq_f32_e64 s3, s12, 1.0
	s_mov_b32 s6, 0
	s_delay_alu instid0(VALU_DEP_1) | instskip(NEXT) | instid1(SALU_CYCLE_1)
	s_or_b32 s2, s2, s3
	s_and_not1_b32 vcc_lo, exec_lo, s2
	s_cbranch_vccnz .LBB75_10
; %bb.5:
	s_clause 0x1
	s_load_b64 s[4:5], s[0:1], 0x18
	s_load_b64 s[2:3], s[0:1], 0x0
	v_lshrrev_b32_e32 v1, 2, v0
	s_delay_alu instid0(VALU_DEP_1)
	v_lshl_or_b32 v4, s15, 5, v1
	s_waitcnt lgkmcnt(0)
	s_cmp_lg_u64 s[4:5], 0
	s_cbranch_scc0 .LBB75_11
; %bb.6:
	s_load_b32 s6, s[0:1], 0x10
	s_mov_b32 s7, 0
                                        ; implicit-def: $vgpr1
	s_waitcnt lgkmcnt(0)
	v_cmp_gt_i32_e32 vcc_lo, s6, v4
	s_mov_b32 s6, 0
	s_and_saveexec_b32 s8, vcc_lo
	s_delay_alu instid0(SALU_CYCLE_1)
	s_xor_b32 s8, exec_lo, s8
	s_cbranch_execz .LBB75_8
; %bb.7:
	v_ashrrev_i32_e32 v5, 31, v4
	s_mov_b32 s6, exec_lo
	s_delay_alu instid0(VALU_DEP_1) | instskip(NEXT) | instid1(VALU_DEP_1)
	v_lshlrev_b64 v[1:2], 2, v[4:5]
	v_add_co_u32 v1, vcc_lo, s4, v1
	s_delay_alu instid0(VALU_DEP_2)
	v_add_co_ci_u32_e32 v2, vcc_lo, s5, v2, vcc_lo
	global_load_b32 v1, v[1:2], off
	s_waitcnt vmcnt(0)
	v_subrev_nc_u32_e32 v1, s18, v1
.LBB75_8:
	s_or_b32 exec_lo, exec_lo, s8
	s_delay_alu instid0(SALU_CYCLE_1)
	s_and_b32 vcc_lo, exec_lo, s7
	s_cbranch_vccz .LBB75_12
.LBB75_9:
	v_cmp_gt_i32_e32 vcc_lo, s2, v4
	s_and_not1_b32 s2, s6, exec_lo
	s_and_b32 s4, vcc_lo, exec_lo
	s_delay_alu instid0(SALU_CYCLE_1) | instskip(NEXT) | instid1(SALU_CYCLE_1)
	s_or_b32 s6, s2, s4
	s_and_saveexec_b32 s2, s6
	s_cbranch_execnz .LBB75_13
.LBB75_10:
	s_nop 0
	s_sendmsg sendmsg(MSG_DEALLOC_VGPRS)
	s_endpgm
.LBB75_11:
                                        ; implicit-def: $vgpr1
	s_cbranch_execnz .LBB75_9
.LBB75_12:
	s_delay_alu instid0(VALU_DEP_1)
	v_mov_b32_e32 v4, v1
	s_and_saveexec_b32 s2, s6
	s_cbranch_execz .LBB75_10
.LBB75_13:
	s_load_b256 s[4:11], s[0:1], 0x20
	s_delay_alu instid0(VALU_DEP_1) | instskip(SKIP_1) | instid1(VALU_DEP_2)
	v_ashrrev_i32_e32 v5, 31, v4
	v_and_b32_e32 v9, 3, v0
	v_lshlrev_b64 v[1:2], 2, v[4:5]
	s_waitcnt lgkmcnt(0)
	s_delay_alu instid0(VALU_DEP_1) | instskip(NEXT) | instid1(VALU_DEP_2)
	v_add_co_u32 v5, vcc_lo, s4, v1
	v_add_co_ci_u32_e32 v6, vcc_lo, s5, v2, vcc_lo
	v_add_co_u32 v1, vcc_lo, s6, v1
	v_add_co_ci_u32_e32 v2, vcc_lo, s7, v2, vcc_lo
	global_load_b32 v15, v[5:6], off
	v_add_co_u32 v3, vcc_lo, v5, 4
	v_add_co_ci_u32_e32 v5, vcc_lo, 0, v6, vcc_lo
	s_cmp_eq_u64 s[6:7], 0
	s_load_b64 s[6:7], s[0:1], 0x40
	s_cselect_b32 vcc_lo, -1, 0
	s_cmp_eq_u32 s3, 1
	v_dual_cndmask_b32 v2, v2, v5 :: v_dual_cndmask_b32 v1, v1, v3
	global_load_b32 v5, v[1:2], off
	s_waitcnt vmcnt(1)
	v_subrev_nc_u32_e32 v0, s18, v15
	s_delay_alu instid0(VALU_DEP_1) | instskip(NEXT) | instid1(VALU_DEP_1)
	v_add_nc_u32_e32 v0, v0, v9
	v_ashrrev_i32_e32 v1, 31, v0
	s_waitcnt vmcnt(0)
	v_subrev_nc_u32_e32 v10, s18, v5
	s_delay_alu instid0(VALU_DEP_2) | instskip(NEXT) | instid1(VALU_DEP_2)
	v_lshlrev_b64 v[2:3], 4, v[0:1]
	v_cmp_lt_i32_e64 s2, v0, v10
	s_delay_alu instid0(VALU_DEP_2) | instskip(NEXT) | instid1(VALU_DEP_3)
	v_add_co_u32 v2, vcc_lo, s10, v2
	v_add_co_ci_u32_e32 v3, vcc_lo, s11, v3, vcc_lo
	s_cbranch_scc1 .LBB75_25
; %bb.14:
	v_dual_mov_b32 v11, 0 :: v_dual_mov_b32 v14, 0
	v_dual_mov_b32 v13, 0 :: v_dual_mov_b32 v12, 0
	s_mov_b32 s10, 0
	s_and_saveexec_b32 s11, s2
	s_cbranch_execz .LBB75_24
; %bb.15:
	v_dual_mov_b32 v12, 0 :: v_dual_add_nc_u32 v1, v15, v9
	v_not_b32_e32 v5, v15
	v_mov_b32_e32 v11, 0
	s_mov_b32 s4, 0
	s_delay_alu instid0(VALU_DEP_3) | instskip(SKIP_3) | instid1(VALU_DEP_3)
	v_subrev_nc_u32_e32 v1, s18, v1
	s_mov_b32 s3, exec_lo
	v_mov_b32_e32 v14, 0
	v_dual_mov_b32 v8, v3 :: v_dual_mov_b32 v7, v2
	v_add_nc_u32_e32 v1, 4, v1
	v_mov_b32_e32 v13, 0
	s_delay_alu instid0(VALU_DEP_2) | instskip(NEXT) | instid1(VALU_DEP_1)
	v_max_i32_e32 v1, v1, v10
	v_add3_u32 v1, v1, s18, v5
	s_delay_alu instid0(VALU_DEP_1) | instskip(NEXT) | instid1(VALU_DEP_1)
	v_sub_nc_u32_e32 v1, v1, v9
	v_lshrrev_b32_e32 v5, 2, v1
	s_delay_alu instid0(VALU_DEP_1) | instskip(NEXT) | instid1(VALU_DEP_1)
	v_add_nc_u32_e32 v5, 1, v5
	v_dual_mov_b32 v5, v0 :: v_dual_and_b32 v6, 3, v5
	s_delay_alu instid0(VALU_DEP_1)
	v_cmpx_ne_u32_e32 0, v6
	s_cbranch_execz .LBB75_19
; %bb.16:
	v_dual_mov_b32 v11, 0 :: v_dual_lshlrev_b32 v16, 4, v6
	v_dual_mov_b32 v8, v3 :: v_dual_mov_b32 v7, v2
	v_dual_mov_b32 v5, v0 :: v_dual_mov_b32 v14, 0
	;; [unrolled: 1-line block ×3, first 2 shown]
.LBB75_17:                              ; =>This Inner Loop Header: Depth=1
	s_delay_alu instid0(VALU_DEP_2) | instskip(NEXT) | instid1(VALU_DEP_1)
	v_ashrrev_i32_e32 v6, 31, v5
	v_lshlrev_b64 v[17:18], 2, v[5:6]
	s_delay_alu instid0(VALU_DEP_1) | instskip(NEXT) | instid1(VALU_DEP_2)
	v_add_co_u32 v17, vcc_lo, s8, v17
	v_add_co_ci_u32_e32 v18, vcc_lo, s9, v18, vcc_lo
	global_load_b32 v6, v[17:18], off
	global_load_b128 v[17:20], v[7:8], off
	s_waitcnt vmcnt(1)
	v_subrev_nc_u32_e32 v6, s18, v6
	s_waitcnt vmcnt(0)
	v_bfe_i32 v27, v19, 0, 8
	v_bfe_i32 v24, v18, 0, 8
	v_lshrrev_b32_e32 v28, 8, v19
	v_lshrrev_b32_e32 v29, 16, v19
	v_bfe_i32 v30, v20, 0, 8
	v_bfe_i32 v27, v27, 0, 16
	v_lshrrev_b32_e32 v31, 8, v20
	v_lshrrev_b32_e32 v32, 16, v20
	;; [unrolled: 1-line block ×4, first 2 shown]
	v_cvt_f32_i32_e32 v27, v27
	v_lshlrev_b32_e32 v6, 2, v6
	v_lshrrev_b32_e32 v26, 16, v18
	v_bfe_i32 v28, v28, 0, 8
	v_bfe_i32 v29, v29, 0, 8
	;; [unrolled: 1-line block ×3, first 2 shown]
	v_ashrrev_i32_e32 v22, 31, v6
	s_waitcnt lgkmcnt(0)
	v_add_co_u32 v21, vcc_lo, s6, v6
	v_bfe_i32 v32, v32, 0, 8
	v_bfe_i32 v24, v24, 0, 16
	v_add_co_ci_u32_e32 v22, vcc_lo, s7, v22, vcc_lo
	v_bfe_i32 v30, v30, 0, 16
	v_lshrrev_b32_e32 v19, 24, v19
	v_lshrrev_b32_e32 v20, 24, v20
	global_load_b32 v6, v[21:22], off
	v_bfe_i32 v21, v17, 0, 8
	v_lshrrev_b32_e32 v22, 8, v17
	v_lshrrev_b32_e32 v17, 24, v17
	v_bfe_i32 v25, v25, 0, 8
	v_bfe_i32 v26, v26, 0, 8
	v_bfe_i32 v21, v21, 0, 16
	v_bfe_i32 v22, v22, 0, 8
	v_bfe_i32 v17, v17, 0, 8
	v_cvt_f32_i32_e32 v24, v24
	v_bfe_i32 v28, v28, 0, 16
	v_cvt_f32_i32_e32 v21, v21
	v_bfe_i32 v29, v29, 0, 16
	;; [unrolled: 2-line block ×3, first 2 shown]
	v_bfe_i32 v32, v32, 0, 16
	v_lshrrev_b32_e32 v18, 24, v18
	v_bfe_i32 v23, v23, 0, 8
	v_bfe_i32 v19, v19, 0, 8
	;; [unrolled: 1-line block ×7, first 2 shown]
	v_cvt_f32_i32_e32 v28, v28
	v_cvt_f32_i32_e32 v29, v29
	;; [unrolled: 1-line block ×4, first 2 shown]
	v_bfe_i32 v18, v18, 0, 8
	v_bfe_i32 v23, v23, 0, 16
	;; [unrolled: 1-line block ×4, first 2 shown]
	v_cvt_f32_i32_e32 v22, v22
	v_cvt_f32_i32_e32 v17, v17
	;; [unrolled: 1-line block ×4, first 2 shown]
	v_bfe_i32 v18, v18, 0, 16
	v_cvt_f32_i32_e32 v23, v23
	v_cvt_f32_i32_e32 v19, v19
	;; [unrolled: 1-line block ×3, first 2 shown]
	v_add_co_u32 v7, vcc_lo, v7, 64
	v_cvt_f32_i32_e32 v18, v18
	v_add_co_ci_u32_e32 v8, vcc_lo, 0, v8, vcc_lo
	s_waitcnt vmcnt(0)
	v_bfe_i32 v33, v6, 0, 8
	v_lshrrev_b32_e32 v34, 8, v6
	v_lshrrev_b32_e32 v35, 16, v6
	;; [unrolled: 1-line block ×3, first 2 shown]
	s_delay_alu instid0(VALU_DEP_4) | instskip(NEXT) | instid1(VALU_DEP_4)
	v_bfe_i32 v33, v33, 0, 16
	v_bfe_i32 v34, v34, 0, 8
	s_delay_alu instid0(VALU_DEP_4) | instskip(NEXT) | instid1(VALU_DEP_4)
	v_bfe_i32 v35, v35, 0, 8
	v_bfe_i32 v6, v6, 0, 8
	s_delay_alu instid0(VALU_DEP_4) | instskip(NEXT) | instid1(VALU_DEP_4)
	v_cvt_f32_i32_e32 v33, v33
	v_bfe_i32 v34, v34, 0, 16
	s_delay_alu instid0(VALU_DEP_4)
	v_bfe_i32 v35, v35, 0, 16
	v_add_nc_u32_e32 v16, -16, v16
	v_bfe_i32 v6, v6, 0, 16
	v_fmac_f32_e32 v11, v30, v33
	v_fmac_f32_e32 v14, v24, v33
	;; [unrolled: 1-line block ×3, first 2 shown]
	v_cvt_f32_i32_e32 v24, v35
	v_fmac_f32_e32 v12, v21, v33
	v_cvt_f32_i32_e32 v21, v34
	v_cvt_f32_i32_e32 v6, v6
	v_cmp_eq_u32_e32 vcc_lo, 0, v16
	s_delay_alu instid0(VALU_DEP_3) | instskip(SKIP_2) | instid1(VALU_DEP_2)
	v_fmac_f32_e32 v13, v28, v21
	v_fmac_f32_e32 v11, v31, v21
	s_or_b32 s4, vcc_lo, s4
	v_fmac_f32_e32 v13, v29, v24
	s_delay_alu instid0(VALU_DEP_2) | instskip(NEXT) | instid1(VALU_DEP_2)
	v_dual_fmac_f32 v11, v32, v24 :: v_dual_fmac_f32 v12, v22, v21
	v_dual_fmac_f32 v14, v25, v21 :: v_dual_fmac_f32 v13, v19, v6
	s_delay_alu instid0(VALU_DEP_2) | instskip(NEXT) | instid1(VALU_DEP_3)
	v_fmac_f32_e32 v11, v20, v6
	v_dual_fmac_f32 v12, v23, v24 :: v_dual_add_nc_u32 v5, 4, v5
	s_delay_alu instid0(VALU_DEP_3) | instskip(NEXT) | instid1(VALU_DEP_2)
	v_fmac_f32_e32 v14, v26, v24
	v_fmac_f32_e32 v12, v17, v6
	s_delay_alu instid0(VALU_DEP_2)
	v_fmac_f32_e32 v14, v18, v6
	s_and_not1_b32 exec_lo, exec_lo, s4
	s_cbranch_execnz .LBB75_17
; %bb.18:
	s_or_b32 exec_lo, exec_lo, s4
.LBB75_19:
	s_delay_alu instid0(SALU_CYCLE_1) | instskip(NEXT) | instid1(SALU_CYCLE_1)
	s_or_b32 exec_lo, exec_lo, s3
	s_mov_b32 s13, exec_lo
	v_cmpx_lt_u32_e32 11, v1
	s_cbranch_execz .LBB75_23
; %bb.20:
	s_mov_b32 s14, 0
.LBB75_21:                              ; =>This Inner Loop Header: Depth=1
	v_ashrrev_i32_e32 v6, 31, v5
	s_delay_alu instid0(VALU_DEP_1) | instskip(NEXT) | instid1(VALU_DEP_1)
	v_lshlrev_b64 v[16:17], 2, v[5:6]
	v_add_co_u32 v16, vcc_lo, s8, v16
	s_delay_alu instid0(VALU_DEP_2)
	v_add_co_ci_u32_e32 v17, vcc_lo, s9, v17, vcc_lo
	s_clause 0x3
	global_load_b32 v1, v[16:17], off
	global_load_b32 v6, v[16:17], off offset:16
	global_load_b32 v32, v[16:17], off offset:32
	;; [unrolled: 1-line block ×3, first 2 shown]
	s_clause 0x3
	global_load_b128 v[16:19], v[7:8], off
	global_load_b128 v[20:23], v[7:8], off offset:64
	global_load_b128 v[24:27], v[7:8], off offset:128
	;; [unrolled: 1-line block ×3, first 2 shown]
	v_add_co_u32 v7, vcc_lo, 0x100, v7
	v_add_co_ci_u32_e32 v8, vcc_lo, 0, v8, vcc_lo
	s_waitcnt vmcnt(7)
	v_subrev_nc_u32_e32 v1, s18, v1
	s_waitcnt vmcnt(6)
	v_subrev_nc_u32_e32 v6, s18, v6
	s_waitcnt vmcnt(3)
	v_lshrrev_b32_e32 v39, 8, v16
	v_bfe_i32 v42, v17, 0, 8
	v_bfe_i32 v46, v18, 0, 8
	;; [unrolled: 1-line block ×7, first 2 shown]
	v_lshrrev_b32_e32 v40, 16, v16
	v_lshrrev_b32_e32 v41, 24, v16
	v_subrev_nc_u32_e32 v16, s18, v32
	v_bfe_i32 v49, v49, 0, 16
	v_lshrrev_b32_e32 v43, 8, v17
	v_lshrrev_b32_e32 v44, 16, v17
	;; [unrolled: 1-line block ×3, first 2 shown]
	v_subrev_nc_u32_e32 v17, s18, v33
	v_bfe_i32 v39, v39, 0, 16
	v_cvt_f32_i32_e32 v42, v42
	v_lshlrev_b32_e32 v1, 2, v1
	v_cvt_f32_i32_e32 v46, v46
	v_lshlrev_b32_e32 v6, 2, v6
	;; [unrolled: 2-line block ×4, first 2 shown]
	v_ashrrev_i32_e32 v33, 31, v1
	v_ashrrev_i32_e32 v35, 31, v6
	s_waitcnt lgkmcnt(0)
	v_add_co_u32 v16, vcc_lo, s6, v6
	v_ashrrev_i32_e32 v6, 31, v32
	v_ashrrev_i32_e32 v52, 31, v17
	v_add_co_u32 v36, s5, s6, v1
	v_add_co_u32 v32, s3, s6, v32
	v_add_co_ci_u32_e64 v37, s5, s7, v33, s5
	v_add_co_u32 v34, s4, s6, v17
	v_add_co_ci_u32_e32 v17, vcc_lo, s7, v35, vcc_lo
	v_add_co_ci_u32_e64 v33, vcc_lo, s7, v6, s3
	v_add_co_ci_u32_e64 v35, vcc_lo, s7, v52, s4
	s_clause 0x3
	global_load_b32 v1, v[36:37], off
	global_load_b32 v6, v[16:17], off
	;; [unrolled: 1-line block ×4, first 2 shown]
	v_bfe_i32 v38, v38, 0, 16
	v_lshrrev_b32_e32 v47, 8, v18
	v_lshrrev_b32_e32 v50, 8, v19
	;; [unrolled: 1-line block ×4, first 2 shown]
	v_bfe_i32 v40, v40, 0, 8
	v_cvt_f32_i32_e32 v38, v38
	v_lshrrev_b32_e32 v48, 16, v18
	v_bfe_i32 v41, v41, 0, 8
	v_bfe_i32 v47, v47, 0, 8
	;; [unrolled: 1-line block ×4, first 2 shown]
	v_lshrrev_b32_e32 v18, 24, v18
	s_waitcnt vmcnt(6)
	v_bfe_i32 v32, v20, 0, 8
	v_lshrrev_b32_e32 v33, 8, v20
	v_bfe_i32 v52, v22, 0, 8
	v_lshrrev_b32_e32 v53, 8, v22
	v_lshrrev_b32_e32 v54, 16, v22
	;; [unrolled: 1-line block ×3, first 2 shown]
	v_bfe_i32 v48, v48, 0, 8
	v_bfe_i32 v41, v41, 0, 16
	v_bfe_i32 v47, v47, 0, 16
	v_bfe_i32 v19, v19, 0, 16
	v_cvt_f32_i32_e32 v40, v40
	v_bfe_i32 v43, v43, 0, 8
	v_bfe_i32 v18, v18, 0, 8
	;; [unrolled: 1-line block ×6, first 2 shown]
	v_cvt_f32_i32_e32 v41, v41
	v_cvt_f32_i32_e32 v47, v47
	;; [unrolled: 1-line block ×3, first 2 shown]
	v_bfe_i32 v35, v21, 0, 8
	v_lshrrev_b32_e32 v36, 8, v21
	v_lshrrev_b32_e32 v37, 16, v21
	;; [unrolled: 1-line block ×3, first 2 shown]
	v_bfe_i32 v44, v44, 0, 8
	v_bfe_i32 v43, v43, 0, 16
	;; [unrolled: 1-line block ×3, first 2 shown]
	v_cvt_f32_i32_e32 v32, v32
	v_bfe_i32 v33, v33, 0, 16
	v_bfe_i32 v22, v22, 0, 16
	v_cvt_f32_i32_e32 v48, v48
	v_bfe_i32 v45, v45, 0, 8
	v_bfe_i32 v50, v50, 0, 8
	;; [unrolled: 1-line block ×6, first 2 shown]
	v_cvt_f32_i32_e32 v43, v43
	v_cvt_f32_i32_e32 v18, v18
	;; [unrolled: 1-line block ×4, first 2 shown]
	v_lshrrev_b32_e32 v56, 8, v23
	v_bfe_i32 v51, v51, 0, 8
	v_bfe_i32 v45, v45, 0, 16
	;; [unrolled: 1-line block ×4, first 2 shown]
	v_cvt_f32_i32_e32 v52, v52
	v_bfe_i32 v53, v53, 0, 16
	v_cvt_f32_i32_e32 v44, v44
	v_bfe_i32 v36, v36, 0, 8
	v_bfe_i32 v56, v56, 0, 8
	;; [unrolled: 1-line block ×4, first 2 shown]
	v_cvt_f32_i32_e32 v45, v45
	v_cvt_f32_i32_e32 v50, v50
	;; [unrolled: 1-line block ×4, first 2 shown]
	v_lshrrev_b32_e32 v34, 16, v20
	v_cvt_f32_i32_e32 v35, v35
	v_bfe_i32 v36, v36, 0, 16
	v_bfe_i32 v56, v56, 0, 16
	v_cvt_f32_i32_e32 v51, v51
	v_lshrrev_b32_e32 v20, 24, v20
	v_bfe_i32 v55, v23, 0, 8
	v_lshrrev_b32_e32 v57, 16, v23
	v_lshrrev_b32_e32 v23, 24, v23
	v_bfe_i32 v34, v34, 0, 8
	v_cvt_f32_i32_e32 v36, v36
	v_cvt_f32_i32_e32 v56, v56
	v_bfe_i32 v20, v20, 0, 8
	v_bfe_i32 v54, v54, 0, 8
	v_bfe_i32 v23, v23, 0, 8
	v_bfe_i32 v55, v55, 0, 16
	v_bfe_i32 v34, v34, 0, 16
	s_waitcnt vmcnt(5)
	v_bfe_i32 v61, v25, 0, 8
	v_bfe_i32 v37, v37, 0, 8
	;; [unrolled: 1-line block ×5, first 2 shown]
	v_cvt_f32_i32_e32 v55, v55
	v_bfe_i32 v23, v23, 0, 16
	v_cvt_f32_i32_e32 v34, v34
	v_bfe_i32 v58, v24, 0, 8
	v_bfe_i32 v64, v26, 0, 8
	v_lshrrev_b32_e32 v65, 8, v26
	v_bfe_i32 v61, v61, 0, 16
	v_bfe_i32 v37, v37, 0, 16
	;; [unrolled: 1-line block ×3, first 2 shown]
	v_cvt_f32_i32_e32 v20, v20
	v_cvt_f32_i32_e32 v54, v54
	;; [unrolled: 1-line block ×3, first 2 shown]
	v_lshrrev_b32_e32 v59, 8, v24
	v_lshrrev_b32_e32 v63, 16, v25
	;; [unrolled: 1-line block ×3, first 2 shown]
	v_bfe_i32 v65, v65, 0, 8
	v_bfe_i32 v58, v58, 0, 16
	;; [unrolled: 1-line block ×3, first 2 shown]
	v_cvt_f32_i32_e32 v61, v61
	v_cvt_f32_i32_e32 v37, v37
	;; [unrolled: 1-line block ×3, first 2 shown]
	v_lshrrev_b32_e32 v60, 16, v24
	v_lshrrev_b32_e32 v62, 8, v25
	v_bfe_i32 v67, v27, 0, 8
	v_lshrrev_b32_e32 v68, 8, v27
	v_bfe_i32 v59, v59, 0, 8
	v_bfe_i32 v63, v63, 0, 8
	;; [unrolled: 1-line block ×3, first 2 shown]
	v_cvt_f32_i32_e32 v58, v58
	v_cvt_f32_i32_e32 v64, v64
	v_bfe_i32 v65, v65, 0, 16
	v_lshrrev_b32_e32 v24, 24, v24
	v_lshrrev_b32_e32 v69, 16, v27
	v_bfe_i32 v60, v60, 0, 8
	v_bfe_i32 v62, v62, 0, 8
	;; [unrolled: 1-line block ×7, first 2 shown]
	v_cvt_f32_i32_e32 v65, v65
	v_lshrrev_b32_e32 v26, 24, v26
	s_waitcnt vmcnt(4)
	v_bfe_i32 v70, v28, 0, 8
	v_bfe_i32 v24, v24, 0, 8
	;; [unrolled: 1-line block ×5, first 2 shown]
	v_cvt_f32_i32_e32 v67, v67
	v_bfe_i32 v68, v68, 0, 16
	v_cvt_f32_i32_e32 v59, v59
	v_cvt_f32_i32_e32 v63, v63
	;; [unrolled: 1-line block ×3, first 2 shown]
	v_lshrrev_b32_e32 v25, 24, v25
	v_lshrrev_b32_e32 v27, 24, v27
	v_bfe_i32 v79, v31, 0, 8
	v_bfe_i32 v26, v26, 0, 8
	;; [unrolled: 1-line block ×5, first 2 shown]
	v_cvt_f32_i32_e32 v60, v60
	v_cvt_f32_i32_e32 v62, v62
	v_cvt_f32_i32_e32 v68, v68
	v_lshrrev_b32_e32 v71, 8, v28
	v_lshrrev_b32_e32 v72, 16, v28
	v_bfe_i32 v73, v29, 0, 8
	v_bfe_i32 v76, v30, 0, 8
	v_lshrrev_b32_e32 v77, 8, v30
	v_bfe_i32 v25, v25, 0, 8
	v_bfe_i32 v27, v27, 0, 8
	;; [unrolled: 1-line block ×4, first 2 shown]
	v_cvt_f32_i32_e32 v70, v70
	v_cvt_f32_i32_e32 v24, v24
	;; [unrolled: 1-line block ×3, first 2 shown]
	v_lshrrev_b32_e32 v75, 16, v29
	v_lshrrev_b32_e32 v78, 16, v30
	v_bfe_i32 v71, v71, 0, 8
	v_bfe_i32 v72, v72, 0, 8
	;; [unrolled: 1-line block ×7, first 2 shown]
	v_cvt_f32_i32_e32 v79, v79
	v_cvt_f32_i32_e32 v26, v26
	v_lshrrev_b32_e32 v74, 8, v29
	v_lshrrev_b32_e32 v80, 8, v31
	v_bfe_i32 v75, v75, 0, 8
	v_bfe_i32 v78, v78, 0, 8
	;; [unrolled: 1-line block ×4, first 2 shown]
	v_cvt_f32_i32_e32 v73, v73
	v_cvt_f32_i32_e32 v76, v76
	v_bfe_i32 v77, v77, 0, 16
	v_cvt_f32_i32_e32 v25, v25
	v_cvt_f32_i32_e32 v27, v27
	v_lshrrev_b32_e32 v81, 16, v31
	v_bfe_i32 v74, v74, 0, 8
	v_bfe_i32 v80, v80, 0, 8
	;; [unrolled: 1-line block ×4, first 2 shown]
	v_cvt_f32_i32_e32 v71, v71
	v_cvt_f32_i32_e32 v72, v72
	v_cvt_f32_i32_e32 v77, v77
	v_lshrrev_b32_e32 v28, 24, v28
	v_lshrrev_b32_e32 v29, 24, v29
	;; [unrolled: 1-line block ×4, first 2 shown]
	v_bfe_i32 v81, v81, 0, 8
	v_bfe_i32 v74, v74, 0, 16
	;; [unrolled: 1-line block ×3, first 2 shown]
	v_cvt_f32_i32_e32 v75, v75
	v_cvt_f32_i32_e32 v78, v78
	v_bfe_i32 v28, v28, 0, 8
	v_bfe_i32 v29, v29, 0, 8
	;; [unrolled: 1-line block ×5, first 2 shown]
	v_cvt_f32_i32_e32 v74, v74
	v_cvt_f32_i32_e32 v80, v80
	v_bfe_i32 v28, v28, 0, 16
	v_bfe_i32 v29, v29, 0, 16
	;; [unrolled: 1-line block ×4, first 2 shown]
	v_cvt_f32_i32_e32 v81, v81
	v_cvt_f32_i32_e32 v28, v28
	;; [unrolled: 1-line block ×5, first 2 shown]
	s_waitcnt vmcnt(3)
	v_bfe_i32 v83, v1, 0, 8
	v_lshrrev_b32_e32 v84, 8, v1
	v_lshrrev_b32_e32 v82, 16, v1
	;; [unrolled: 1-line block ×3, first 2 shown]
	s_waitcnt vmcnt(2)
	v_bfe_i32 v86, v6, 0, 8
	v_bfe_i32 v83, v83, 0, 16
	;; [unrolled: 1-line block ×6, first 2 shown]
	v_cvt_f32_i32_e32 v83, v83
	v_bfe_i32 v84, v84, 0, 16
	v_add_nc_u32_e32 v5, 16, v5
	v_bfe_i32 v82, v82, 0, 16
	v_bfe_i32 v1, v1, 0, 16
	v_fmac_f32_e32 v12, v38, v83
	v_cvt_f32_i32_e32 v38, v84
	v_fmac_f32_e32 v14, v42, v83
	v_cvt_f32_i32_e32 v42, v82
	;; [unrolled: 2-line block ×4, first 2 shown]
	v_lshrrev_b32_e32 v87, 8, v6
	v_fmac_f32_e32 v11, v49, v83
	v_lshrrev_b32_e32 v85, 16, v6
	v_fmac_f32_e32 v12, v40, v42
	v_fmac_f32_e32 v13, v47, v38
	v_bfe_i32 v87, v87, 0, 8
	v_lshrrev_b32_e32 v6, 24, v6
	v_bfe_i32 v85, v85, 0, 8
	v_fmac_f32_e32 v12, v41, v1
	s_waitcnt vmcnt(1)
	v_bfe_i32 v89, v16, 0, 8
	v_bfe_i32 v87, v87, 0, 16
	v_bfe_i32 v6, v6, 0, 8
	v_bfe_i32 v85, v85, 0, 16
	v_fmac_f32_e32 v12, v32, v86
	v_fmac_f32_e32 v13, v48, v42
	;; [unrolled: 1-line block ×3, first 2 shown]
	v_lshrrev_b32_e32 v90, 8, v16
	v_bfe_i32 v89, v89, 0, 16
	v_bfe_i32 v6, v6, 0, 16
	v_fmac_f32_e32 v13, v18, v1
	v_cvt_f32_i32_e32 v18, v85
	v_lshrrev_b32_e32 v88, 16, v16
	v_bfe_i32 v90, v90, 0, 8
	v_cvt_f32_i32_e32 v89, v89
	v_fmac_f32_e32 v13, v52, v86
	v_fmac_f32_e32 v14, v44, v42
	;; [unrolled: 1-line block ×3, first 2 shown]
	v_bfe_i32 v88, v88, 0, 8
	v_bfe_i32 v90, v90, 0, 16
	v_lshrrev_b32_e32 v16, 24, v16
	v_fmac_f32_e32 v14, v45, v1
	s_waitcnt vmcnt(0)
	v_bfe_i32 v92, v17, 0, 8
	v_bfe_i32 v88, v88, 0, 16
	v_lshrrev_b32_e32 v91, 16, v17
	v_bfe_i32 v16, v16, 0, 8
	v_fmac_f32_e32 v14, v35, v86
	v_fmac_f32_e32 v11, v51, v42
	v_bfe_i32 v92, v92, 0, 16
	v_lshrrev_b32_e32 v93, 8, v17
	v_bfe_i32 v16, v16, 0, 16
	v_bfe_i32 v91, v91, 0, 8
	v_fmac_f32_e32 v11, v19, v1
	v_cvt_f32_i32_e32 v1, v87
	v_cvt_f32_i32_e32 v92, v92
	v_bfe_i32 v93, v93, 0, 8
	v_lshrrev_b32_e32 v17, 24, v17
	v_cmp_ge_i32_e32 vcc_lo, v5, v10
	v_fmac_f32_e32 v12, v33, v1
	v_fmac_f32_e32 v13, v53, v1
	v_bfe_i32 v38, v93, 0, 16
	v_bfe_i32 v17, v17, 0, 8
	s_or_b32 s14, vcc_lo, s14
	v_fmac_f32_e32 v12, v34, v18
	v_fmac_f32_e32 v11, v55, v86
	v_fmac_f32_e32 v13, v54, v18
	s_delay_alu instid0(VALU_DEP_2) | instskip(SKIP_3) | instid1(VALU_DEP_4)
	v_fmac_f32_e32 v11, v56, v1
	v_fmac_f32_e32 v14, v36, v1
	v_cvt_f32_i32_e32 v1, v6
	v_bfe_i32 v6, v91, 0, 16
	v_fmac_f32_e32 v11, v57, v18
	s_delay_alu instid0(VALU_DEP_3) | instskip(SKIP_1) | instid1(VALU_DEP_3)
	v_dual_fmac_f32 v13, v22, v1 :: v_dual_fmac_f32 v14, v37, v18
	v_cvt_f32_i32_e32 v18, v88
	v_fmac_f32_e32 v11, v23, v1
	v_fmac_f32_e32 v12, v20, v1
	s_delay_alu instid0(VALU_DEP_4) | instskip(SKIP_4) | instid1(VALU_DEP_4)
	v_fmac_f32_e32 v13, v64, v89
	v_fmac_f32_e32 v14, v21, v1
	v_cvt_f32_i32_e32 v1, v90
	v_cvt_f32_i32_e32 v6, v6
	v_fmac_f32_e32 v12, v58, v89
	v_fmac_f32_e32 v14, v61, v89
	s_delay_alu instid0(VALU_DEP_4) | instskip(NEXT) | instid1(VALU_DEP_1)
	v_fmac_f32_e32 v13, v65, v1
	v_dual_fmac_f32 v12, v59, v1 :: v_dual_fmac_f32 v13, v66, v18
	s_delay_alu instid0(VALU_DEP_1) | instskip(NEXT) | instid1(VALU_DEP_1)
	v_dual_fmac_f32 v11, v67, v89 :: v_dual_fmac_f32 v12, v60, v18
	v_fmac_f32_e32 v11, v68, v1
	v_fmac_f32_e32 v14, v62, v1
	v_cvt_f32_i32_e32 v1, v16
	v_bfe_i32 v16, v17, 0, 16
	s_delay_alu instid0(VALU_DEP_2) | instskip(SKIP_1) | instid1(VALU_DEP_2)
	v_fmac_f32_e32 v12, v24, v1
	v_fmac_f32_e32 v13, v26, v1
	v_dual_fmac_f32 v12, v70, v92 :: v_dual_fmac_f32 v11, v69, v18
	s_delay_alu instid0(VALU_DEP_2) | instskip(NEXT) | instid1(VALU_DEP_2)
	v_dual_fmac_f32 v14, v63, v18 :: v_dual_fmac_f32 v13, v76, v92
	v_fmac_f32_e32 v11, v27, v1
	s_delay_alu instid0(VALU_DEP_2) | instskip(SKIP_1) | instid1(VALU_DEP_2)
	v_fmac_f32_e32 v14, v25, v1
	v_cvt_f32_i32_e32 v1, v38
	v_fmac_f32_e32 v14, v73, v92
	s_delay_alu instid0(VALU_DEP_2) | instskip(NEXT) | instid1(VALU_DEP_1)
	v_fmac_f32_e32 v13, v77, v1
	v_dual_fmac_f32 v12, v71, v1 :: v_dual_fmac_f32 v13, v78, v6
	s_delay_alu instid0(VALU_DEP_1) | instskip(NEXT) | instid1(VALU_DEP_1)
	v_dual_fmac_f32 v12, v72, v6 :: v_dual_fmac_f32 v11, v79, v92
	v_fmac_f32_e32 v11, v80, v1
	v_fmac_f32_e32 v14, v74, v1
	v_cvt_f32_i32_e32 v1, v16
	s_delay_alu instid0(VALU_DEP_3) | instskip(NEXT) | instid1(VALU_DEP_3)
	v_fmac_f32_e32 v11, v81, v6
	v_fmac_f32_e32 v14, v75, v6
	s_delay_alu instid0(VALU_DEP_3) | instskip(SKIP_1) | instid1(VALU_DEP_4)
	v_fmac_f32_e32 v12, v28, v1
	v_fmac_f32_e32 v13, v30, v1
	;; [unrolled: 1-line block ×3, first 2 shown]
	s_delay_alu instid0(VALU_DEP_4)
	v_fmac_f32_e32 v14, v29, v1
	s_and_not1_b32 exec_lo, exec_lo, s14
	s_cbranch_execnz .LBB75_21
; %bb.22:
	s_or_b32 exec_lo, exec_lo, s14
.LBB75_23:
	s_delay_alu instid0(SALU_CYCLE_1)
	s_or_b32 exec_lo, exec_lo, s13
.LBB75_24:
	s_delay_alu instid0(SALU_CYCLE_1) | instskip(NEXT) | instid1(SALU_CYCLE_1)
	s_or_b32 exec_lo, exec_lo, s11
	s_and_not1_b32 vcc_lo, exec_lo, s10
	s_cbranch_vccz .LBB75_26
	s_branch .LBB75_37
.LBB75_25:
                                        ; implicit-def: $vgpr11
                                        ; implicit-def: $vgpr13
                                        ; implicit-def: $vgpr14
                                        ; implicit-def: $vgpr12
.LBB75_26:
	v_dual_mov_b32 v11, 0 :: v_dual_mov_b32 v14, 0
	v_dual_mov_b32 v13, 0 :: v_dual_mov_b32 v12, 0
	s_and_saveexec_b32 s5, s2
	s_cbranch_execz .LBB75_36
; %bb.27:
	v_dual_mov_b32 v12, 0 :: v_dual_add_nc_u32 v1, v15, v9
	v_not_b32_e32 v5, v15
	v_mov_b32_e32 v13, 0
	v_mov_b32_e32 v11, 0
	s_delay_alu instid0(VALU_DEP_4) | instskip(SKIP_2) | instid1(VALU_DEP_1)
	v_subrev_nc_u32_e32 v1, s18, v1
	s_mov_b32 s3, 0
	s_mov_b32 s2, exec_lo
	v_dual_mov_b32 v14, 0 :: v_dual_add_nc_u32 v1, 4, v1
	s_delay_alu instid0(VALU_DEP_1) | instskip(NEXT) | instid1(VALU_DEP_1)
	v_max_i32_e32 v1, v1, v10
	v_add3_u32 v1, v1, s18, v5
	s_delay_alu instid0(VALU_DEP_1) | instskip(NEXT) | instid1(VALU_DEP_1)
	v_sub_nc_u32_e32 v5, v1, v9
	v_lshrrev_b32_e32 v1, 2, v5
	s_delay_alu instid0(VALU_DEP_1) | instskip(NEXT) | instid1(VALU_DEP_1)
	v_add_nc_u32_e32 v1, 1, v1
	v_and_b32_e32 v1, 3, v1
	s_delay_alu instid0(VALU_DEP_1)
	v_cmpx_ne_u32_e32 0, v1
	s_cbranch_execz .LBB75_31
; %bb.28:
	v_dual_mov_b32 v11, 0 :: v_dual_lshlrev_b32 v6, 4, v1
	v_dual_mov_b32 v13, 0 :: v_dual_mov_b32 v14, 0
	v_mov_b32_e32 v12, 0
.LBB75_29:                              ; =>This Inner Loop Header: Depth=1
	v_ashrrev_i32_e32 v1, 31, v0
	s_delay_alu instid0(VALU_DEP_1) | instskip(NEXT) | instid1(VALU_DEP_1)
	v_lshlrev_b64 v[7:8], 2, v[0:1]
	v_add_co_u32 v7, vcc_lo, s8, v7
	s_delay_alu instid0(VALU_DEP_2)
	v_add_co_ci_u32_e32 v8, vcc_lo, s9, v8, vcc_lo
	global_load_b32 v1, v[7:8], off
	global_load_b128 v[15:18], v[2:3], off
	s_waitcnt vmcnt(1)
	v_subrev_nc_u32_e32 v1, s18, v1
	s_waitcnt vmcnt(0)
	v_bfe_i32 v20, v16, 0, 8
	v_lshrrev_b32_e32 v19, 16, v15
	v_lshrrev_b32_e32 v22, 16, v16
	;; [unrolled: 1-line block ×4, first 2 shown]
	v_bfe_i32 v20, v20, 0, 16
	v_bfe_i32 v19, v19, 0, 8
	v_lshrrev_b32_e32 v25, 16, v17
	v_bfe_i32 v22, v22, 0, 8
	v_bfe_i32 v23, v17, 0, 8
	v_cvt_f32_i32_e32 v20, v20
	v_lshlrev_b32_e32 v1, 2, v1
	v_bfe_i32 v19, v19, 0, 16
	v_lshrrev_b32_e32 v24, 8, v17
	v_lshrrev_b32_e32 v17, 24, v17
	;; [unrolled: 1-line block ×3, first 2 shown]
	v_ashrrev_i32_e32 v8, 31, v1
	s_waitcnt lgkmcnt(0)
	v_add_co_u32 v7, vcc_lo, s6, v1
	v_bfe_i32 v21, v21, 0, 8
	v_bfe_i32 v16, v16, 0, 8
	v_add_co_ci_u32_e32 v8, vcc_lo, s7, v8, vcc_lo
	v_bfe_i32 v25, v25, 0, 8
	v_bfe_i32 v22, v22, 0, 16
	v_cvt_f32_i32_e32 v19, v19
	global_load_b32 v1, v[7:8], off
	v_bfe_i32 v7, v15, 0, 8
	v_lshrrev_b32_e32 v8, 8, v15
	v_lshrrev_b32_e32 v15, 24, v15
	v_bfe_i32 v26, v18, 0, 8
	v_lshrrev_b32_e32 v27, 8, v18
	v_bfe_i32 v7, v7, 0, 16
	v_bfe_i32 v8, v8, 0, 8
	;; [unrolled: 1-line block ×3, first 2 shown]
	v_lshrrev_b32_e32 v18, 24, v18
	v_bfe_i32 v24, v24, 0, 8
	v_cvt_f32_i32_e32 v7, v7
	v_bfe_i32 v8, v8, 0, 16
	v_bfe_i32 v15, v15, 0, 16
	;; [unrolled: 1-line block ×8, first 2 shown]
	v_cvt_f32_i32_e32 v8, v8
	v_cvt_f32_i32_e32 v15, v15
	;; [unrolled: 1-line block ×3, first 2 shown]
	v_bfe_i32 v27, v27, 0, 8
	v_bfe_i32 v18, v18, 0, 8
	;; [unrolled: 1-line block ×3, first 2 shown]
	v_cvt_f32_i32_e32 v23, v23
	v_bfe_i32 v24, v24, 0, 16
	v_bfe_i32 v17, v17, 0, 16
	;; [unrolled: 1-line block ×3, first 2 shown]
	v_cvt_f32_i32_e32 v21, v21
	v_cvt_f32_i32_e32 v16, v16
	;; [unrolled: 1-line block ×4, first 2 shown]
	v_bfe_i32 v27, v27, 0, 16
	v_bfe_i32 v18, v18, 0, 16
	v_cvt_f32_i32_e32 v24, v24
	v_cvt_f32_i32_e32 v17, v17
	;; [unrolled: 1-line block ×3, first 2 shown]
	v_add_co_u32 v2, vcc_lo, v2, 64
	v_cvt_f32_i32_e32 v27, v27
	v_cvt_f32_i32_e32 v18, v18
	v_add_co_ci_u32_e32 v3, vcc_lo, 0, v3, vcc_lo
	s_waitcnt vmcnt(0)
	v_bfe_i32 v29, v1, 0, 8
	v_lshrrev_b32_e32 v30, 8, v1
	v_lshrrev_b32_e32 v31, 16, v1
	;; [unrolled: 1-line block ×3, first 2 shown]
	s_delay_alu instid0(VALU_DEP_4) | instskip(NEXT) | instid1(VALU_DEP_4)
	v_bfe_i32 v29, v29, 0, 16
	v_bfe_i32 v30, v30, 0, 8
	s_delay_alu instid0(VALU_DEP_4) | instskip(NEXT) | instid1(VALU_DEP_4)
	v_bfe_i32 v31, v31, 0, 8
	v_bfe_i32 v1, v1, 0, 8
	s_delay_alu instid0(VALU_DEP_4) | instskip(NEXT) | instid1(VALU_DEP_4)
	v_cvt_f32_i32_e32 v29, v29
	v_bfe_i32 v30, v30, 0, 16
	v_add_nc_u32_e32 v6, -16, v6
	v_bfe_i32 v31, v31, 0, 16
	s_delay_alu instid0(VALU_DEP_4)
	v_dual_fmac_f32 v11, v15, v29 :: v_dual_add_nc_u32 v0, 4, v0
	v_fmac_f32_e32 v13, v19, v29
	v_fmac_f32_e32 v12, v7, v29
	v_cvt_f32_i32_e32 v7, v30
	v_bfe_i32 v1, v1, 0, 16
	v_cmp_eq_u32_e32 vcc_lo, 0, v6
	s_delay_alu instid0(VALU_DEP_3)
	v_dual_fmac_f32 v13, v22, v7 :: v_dual_fmac_f32 v14, v8, v29
	v_cvt_f32_i32_e32 v8, v31
	v_fmac_f32_e32 v12, v20, v7
	v_fmac_f32_e32 v11, v16, v7
	v_cvt_f32_i32_e32 v1, v1
	s_or_b32 s3, vcc_lo, s3
	v_fmac_f32_e32 v13, v25, v8
	v_fmac_f32_e32 v12, v23, v8
	;; [unrolled: 1-line block ×4, first 2 shown]
	s_delay_alu instid0(VALU_DEP_4) | instskip(NEXT) | instid1(VALU_DEP_4)
	v_fmac_f32_e32 v13, v28, v1
	v_fmac_f32_e32 v12, v26, v1
	s_delay_alu instid0(VALU_DEP_3) | instskip(NEXT) | instid1(VALU_DEP_1)
	v_dual_fmac_f32 v14, v24, v8 :: v_dual_fmac_f32 v11, v18, v1
	v_fmac_f32_e32 v14, v27, v1
	s_and_not1_b32 exec_lo, exec_lo, s3
	s_cbranch_execnz .LBB75_29
; %bb.30:
	s_or_b32 exec_lo, exec_lo, s3
.LBB75_31:
	s_delay_alu instid0(SALU_CYCLE_1) | instskip(NEXT) | instid1(SALU_CYCLE_1)
	s_or_b32 exec_lo, exec_lo, s2
	s_mov_b32 s10, exec_lo
	v_cmpx_lt_u32_e32 11, v5
	s_cbranch_execz .LBB75_35
; %bb.32:
	s_mov_b32 s11, 0
.LBB75_33:                              ; =>This Inner Loop Header: Depth=1
	v_ashrrev_i32_e32 v1, 31, v0
	s_delay_alu instid0(VALU_DEP_1) | instskip(NEXT) | instid1(VALU_DEP_1)
	v_lshlrev_b64 v[5:6], 2, v[0:1]
	v_add_co_u32 v5, vcc_lo, s8, v5
	s_delay_alu instid0(VALU_DEP_2)
	v_add_co_ci_u32_e32 v6, vcc_lo, s9, v6, vcc_lo
	s_clause 0x3
	global_load_b32 v1, v[5:6], off
	global_load_b32 v27, v[5:6], off offset:16
	global_load_b32 v28, v[5:6], off offset:32
	;; [unrolled: 1-line block ×3, first 2 shown]
	s_clause 0x3
	global_load_b128 v[5:8], v[2:3], off
	global_load_b128 v[15:18], v[2:3], off offset:64
	global_load_b128 v[19:22], v[2:3], off offset:128
	;; [unrolled: 1-line block ×3, first 2 shown]
	v_add_co_u32 v2, vcc_lo, 0x100, v2
	v_add_co_ci_u32_e32 v3, vcc_lo, 0, v3, vcc_lo
	s_waitcnt vmcnt(7)
	v_subrev_nc_u32_e32 v1, s18, v1
	s_waitcnt vmcnt(3)
	v_lshrrev_b32_e32 v34, 8, v5
	v_lshrrev_b32_e32 v36, 24, v5
	;; [unrolled: 1-line block ×3, first 2 shown]
	v_bfe_i32 v33, v5, 0, 8
	v_lshrrev_b32_e32 v35, 16, v5
	v_bfe_i32 v34, v34, 0, 8
	v_bfe_i32 v36, v36, 0, 8
	;; [unrolled: 1-line block ×4, first 2 shown]
	v_subrev_nc_u32_e32 v5, s18, v27
	v_bfe_i32 v34, v34, 0, 16
	v_bfe_i32 v37, v6, 0, 8
	v_lshrrev_b32_e32 v38, 8, v6
	v_lshrrev_b32_e32 v40, 24, v6
	v_subrev_nc_u32_e32 v6, s18, v28
	v_bfe_i32 v36, v36, 0, 16
	v_subrev_nc_u32_e32 v27, s18, v29
	v_bfe_i32 v39, v39, 0, 16
	v_cvt_f32_i32_e32 v33, v33
	v_lshlrev_b32_e32 v1, 2, v1
	v_cvt_f32_i32_e32 v34, v34
	v_lshlrev_b32_e32 v5, 2, v5
	;; [unrolled: 2-line block ×4, first 2 shown]
	v_ashrrev_i32_e32 v30, 31, v1
	v_ashrrev_i32_e32 v47, 31, v5
	v_ashrrev_i32_e32 v48, 31, v6
	s_waitcnt lgkmcnt(0)
	v_add_co_u32 v31, s4, s6, v1
	v_ashrrev_i32_e32 v49, 31, v28
	v_add_co_u32 v5, vcc_lo, s6, v5
	v_add_co_u32 v27, s2, s6, v6
	v_add_co_ci_u32_e64 v32, s4, s7, v30, s4
	v_add_co_u32 v29, s3, s6, v28
	v_add_co_ci_u32_e32 v6, vcc_lo, s7, v47, vcc_lo
	v_add_co_ci_u32_e64 v28, vcc_lo, s7, v48, s2
	v_add_co_ci_u32_e64 v30, vcc_lo, s7, v49, s3
	s_clause 0x3
	global_load_b32 v1, v[31:32], off
	global_load_b32 v5, v[5:6], off
	;; [unrolled: 1-line block ×4, first 2 shown]
	v_bfe_i32 v35, v35, 0, 8
	v_lshrrev_b32_e32 v43, 16, v7
	v_bfe_i32 v41, v7, 0, 8
	v_lshrrev_b32_e32 v42, 8, v7
	v_lshrrev_b32_e32 v7, 24, v7
	v_bfe_i32 v35, v35, 0, 16
	v_lshrrev_b32_e32 v46, 16, v8
	v_bfe_i32 v38, v38, 0, 8
	v_bfe_i32 v40, v40, 0, 8
	;; [unrolled: 1-line block ×4, first 2 shown]
	v_cvt_f32_i32_e32 v35, v35
	v_bfe_i32 v44, v8, 0, 8
	v_lshrrev_b32_e32 v45, 8, v8
	v_lshrrev_b32_e32 v8, 24, v8
	s_waitcnt vmcnt(6)
	v_lshrrev_b32_e32 v30, 16, v15
	v_bfe_i32 v42, v42, 0, 8
	v_bfe_i32 v7, v7, 0, 8
	;; [unrolled: 1-line block ×4, first 2 shown]
	v_cvt_f32_i32_e32 v37, v37
	v_bfe_i32 v38, v38, 0, 16
	v_bfe_i32 v40, v40, 0, 16
	;; [unrolled: 1-line block ×4, first 2 shown]
	v_lshrrev_b32_e32 v29, 8, v15
	v_lshrrev_b32_e32 v15, 24, v15
	;; [unrolled: 1-line block ×3, first 2 shown]
	v_bfe_i32 v45, v45, 0, 8
	v_bfe_i32 v8, v8, 0, 8
	;; [unrolled: 1-line block ×3, first 2 shown]
	v_cvt_f32_i32_e32 v41, v41
	v_bfe_i32 v42, v42, 0, 16
	v_bfe_i32 v7, v7, 0, 16
	;; [unrolled: 1-line block ×3, first 2 shown]
	v_cvt_f32_i32_e32 v38, v38
	v_cvt_f32_i32_e32 v40, v40
	;; [unrolled: 1-line block ×3, first 2 shown]
	v_bfe_i32 v31, v16, 0, 8
	v_lshrrev_b32_e32 v32, 8, v16
	v_lshrrev_b32_e32 v16, 24, v16
	;; [unrolled: 1-line block ×3, first 2 shown]
	v_bfe_i32 v44, v44, 0, 16
	v_bfe_i32 v29, v29, 0, 8
	;; [unrolled: 1-line block ×8, first 2 shown]
	v_cvt_f32_i32_e32 v42, v42
	v_cvt_f32_i32_e32 v7, v7
	;; [unrolled: 1-line block ×3, first 2 shown]
	v_bfe_i32 v48, v17, 0, 8
	v_lshrrev_b32_e32 v49, 8, v17
	v_lshrrev_b32_e32 v17, 24, v17
	;; [unrolled: 1-line block ×3, first 2 shown]
	v_bfe_i32 v32, v32, 0, 8
	v_bfe_i32 v16, v16, 0, 8
	;; [unrolled: 1-line block ×3, first 2 shown]
	v_cvt_f32_i32_e32 v44, v44
	v_cvt_f32_i32_e32 v28, v28
	v_bfe_i32 v29, v29, 0, 16
	v_bfe_i32 v15, v15, 0, 16
	v_bfe_i32 v47, v47, 0, 16
	v_cvt_f32_i32_e32 v45, v45
	v_cvt_f32_i32_e32 v8, v8
	;; [unrolled: 1-line block ×3, first 2 shown]
	v_bfe_i32 v51, v18, 0, 8
	v_lshrrev_b32_e32 v52, 8, v18
	v_lshrrev_b32_e32 v18, 24, v18
	s_waitcnt vmcnt(5)
	v_lshrrev_b32_e32 v56, 16, v19
	v_bfe_i32 v49, v49, 0, 8
	v_bfe_i32 v17, v17, 0, 8
	;; [unrolled: 1-line block ×7, first 2 shown]
	v_cvt_f32_i32_e32 v29, v29
	v_cvt_f32_i32_e32 v15, v15
	;; [unrolled: 1-line block ×3, first 2 shown]
	v_lshrrev_b32_e32 v59, 16, v20
	v_bfe_i32 v60, v21, 0, 8
	v_lshrrev_b32_e32 v61, 8, v21
	v_lshrrev_b32_e32 v62, 16, v21
	;; [unrolled: 1-line block ×3, first 2 shown]
	v_bfe_i32 v52, v52, 0, 8
	v_bfe_i32 v18, v18, 0, 8
	;; [unrolled: 1-line block ×4, first 2 shown]
	v_cvt_f32_i32_e32 v31, v31
	v_bfe_i32 v49, v49, 0, 16
	v_bfe_i32 v17, v17, 0, 16
	;; [unrolled: 1-line block ×3, first 2 shown]
	v_cvt_f32_i32_e32 v32, v32
	v_cvt_f32_i32_e32 v16, v16
	;; [unrolled: 1-line block ×3, first 2 shown]
	v_bfe_i32 v51, v51, 0, 16
	v_bfe_i32 v59, v59, 0, 8
	;; [unrolled: 1-line block ×5, first 2 shown]
	v_cvt_f32_i32_e32 v48, v48
	v_bfe_i32 v52, v52, 0, 16
	v_bfe_i32 v18, v18, 0, 16
	;; [unrolled: 1-line block ×3, first 2 shown]
	v_cvt_f32_i32_e32 v49, v49
	v_cvt_f32_i32_e32 v17, v17
	;; [unrolled: 1-line block ×3, first 2 shown]
	v_bfe_i32 v54, v19, 0, 8
	s_waitcnt vmcnt(4)
	v_lshrrev_b32_e32 v68, 16, v23
	v_bfe_i32 v60, v60, 0, 16
	v_cvt_f32_i32_e32 v51, v51
	v_bfe_i32 v59, v59, 0, 16
	v_bfe_i32 v61, v61, 0, 16
	;; [unrolled: 1-line block ×4, first 2 shown]
	v_cvt_f32_i32_e32 v52, v52
	v_cvt_f32_i32_e32 v18, v18
	;; [unrolled: 1-line block ×3, first 2 shown]
	v_lshrrev_b32_e32 v55, 8, v19
	v_lshrrev_b32_e32 v19, 24, v19
	v_bfe_i32 v57, v20, 0, 8
	v_bfe_i32 v66, v23, 0, 8
	v_lshrrev_b32_e32 v67, 8, v23
	v_lshrrev_b32_e32 v23, 24, v23
	v_bfe_i32 v54, v54, 0, 16
	v_bfe_i32 v68, v68, 0, 8
	v_cvt_f32_i32_e32 v60, v60
	v_cvt_f32_i32_e32 v59, v59
	;; [unrolled: 1-line block ×5, first 2 shown]
	v_lshrrev_b32_e32 v58, 8, v20
	v_lshrrev_b32_e32 v20, 24, v20
	v_bfe_i32 v19, v19, 0, 8
	v_bfe_i32 v57, v57, 0, 16
	v_bfe_i32 v23, v23, 0, 8
	v_cvt_f32_i32_e32 v54, v54
	v_bfe_i32 v68, v68, 0, 16
	v_bfe_i32 v20, v20, 0, 8
	;; [unrolled: 1-line block ×3, first 2 shown]
	v_cvt_f32_i32_e32 v57, v57
	v_bfe_i32 v23, v23, 0, 16
	v_cvt_f32_i32_e32 v68, v68
	v_bfe_i32 v55, v55, 0, 8
	v_bfe_i32 v67, v67, 0, 8
	;; [unrolled: 1-line block ×4, first 2 shown]
	v_cvt_f32_i32_e32 v19, v19
	v_cvt_f32_i32_e32 v23, v23
	v_bfe_i32 v58, v58, 0, 8
	v_bfe_i32 v55, v55, 0, 16
	v_cvt_f32_i32_e32 v66, v66
	v_bfe_i32 v67, v67, 0, 16
	v_cvt_f32_i32_e32 v20, v20
	v_bfe_i32 v63, v22, 0, 8
	v_lshrrev_b32_e32 v64, 8, v22
	v_lshrrev_b32_e32 v65, 16, v22
	;; [unrolled: 1-line block ×3, first 2 shown]
	v_bfe_i32 v58, v58, 0, 16
	v_cvt_f32_i32_e32 v55, v55
	v_cvt_f32_i32_e32 v67, v67
	v_bfe_i32 v64, v64, 0, 8
	v_bfe_i32 v65, v65, 0, 8
	;; [unrolled: 1-line block ×3, first 2 shown]
	v_cvt_f32_i32_e32 v58, v58
	v_bfe_i32 v69, v24, 0, 8
	v_lshrrev_b32_e32 v70, 8, v24
	v_lshrrev_b32_e32 v71, 16, v24
	;; [unrolled: 1-line block ×3, first 2 shown]
	v_bfe_i32 v63, v63, 0, 16
	v_bfe_i32 v64, v64, 0, 16
	;; [unrolled: 1-line block ×5, first 2 shown]
	v_lshrrev_b32_e32 v73, 8, v25
	v_lshrrev_b32_e32 v74, 16, v25
	;; [unrolled: 1-line block ×3, first 2 shown]
	v_bfe_i32 v70, v70, 0, 8
	v_bfe_i32 v71, v71, 0, 8
	;; [unrolled: 1-line block ×3, first 2 shown]
	v_cvt_f32_i32_e32 v63, v63
	v_cvt_f32_i32_e32 v64, v64
	;; [unrolled: 1-line block ×4, first 2 shown]
	v_bfe_i32 v75, v26, 0, 8
	v_lshrrev_b32_e32 v76, 8, v26
	v_lshrrev_b32_e32 v77, 16, v26
	;; [unrolled: 1-line block ×3, first 2 shown]
	v_bfe_i32 v73, v73, 0, 8
	v_bfe_i32 v74, v74, 0, 8
	;; [unrolled: 1-line block ×11, first 2 shown]
	v_cvt_f32_i32_e32 v69, v69
	v_bfe_i32 v73, v73, 0, 16
	v_bfe_i32 v74, v74, 0, 16
	;; [unrolled: 1-line block ×3, first 2 shown]
	v_cvt_f32_i32_e32 v70, v70
	v_cvt_f32_i32_e32 v71, v71
	;; [unrolled: 1-line block ×3, first 2 shown]
	v_bfe_i32 v75, v75, 0, 16
	v_cvt_f32_i32_e32 v72, v72
	v_bfe_i32 v76, v76, 0, 16
	v_bfe_i32 v77, v77, 0, 16
	;; [unrolled: 1-line block ×3, first 2 shown]
	v_cvt_f32_i32_e32 v73, v73
	v_cvt_f32_i32_e32 v74, v74
	;; [unrolled: 1-line block ×7, first 2 shown]
	s_waitcnt vmcnt(3)
	v_bfe_i32 v79, v1, 0, 8
	v_lshrrev_b32_e32 v80, 8, v1
	v_lshrrev_b32_e32 v78, 16, v1
	;; [unrolled: 1-line block ×3, first 2 shown]
	s_waitcnt vmcnt(2)
	v_bfe_i32 v82, v5, 0, 8
	v_bfe_i32 v79, v79, 0, 16
	;; [unrolled: 1-line block ×5, first 2 shown]
	v_lshrrev_b32_e32 v83, 8, v5
	v_cvt_f32_i32_e32 v79, v79
	v_bfe_i32 v80, v80, 0, 16
	v_add_nc_u32_e32 v0, 16, v0
	v_bfe_i32 v78, v78, 0, 16
	v_bfe_i32 v1, v1, 0, 16
	v_fmac_f32_e32 v13, v35, v79
	v_fmac_f32_e32 v12, v33, v79
	v_cvt_f32_i32_e32 v33, v80
	v_fmac_f32_e32 v14, v34, v79
	v_fmac_f32_e32 v11, v36, v79
	v_cvt_f32_i32_e32 v34, v78
	v_lshrrev_b32_e32 v81, 16, v5
	v_fmac_f32_e32 v13, v39, v33
	v_fmac_f32_e32 v12, v37, v33
	v_bfe_i32 v83, v83, 0, 8
	v_bfe_i32 v82, v82, 0, 16
	v_cvt_f32_i32_e32 v1, v1
	v_fmac_f32_e32 v13, v43, v34
	v_dual_fmac_f32 v11, v40, v33 :: v_dual_fmac_f32 v12, v41, v34
	v_fmac_f32_e32 v14, v38, v33
	v_lshrrev_b32_e32 v5, 24, v5
	v_bfe_i32 v81, v81, 0, 8
	s_delay_alu instid0(VALU_DEP_4)
	v_fmac_f32_e32 v11, v7, v34
	v_cvt_f32_i32_e32 v82, v82
	v_bfe_i32 v83, v83, 0, 16
	v_fmac_f32_e32 v14, v42, v34
	v_fmac_f32_e32 v13, v46, v1
	v_bfe_i32 v5, v5, 0, 8
	v_bfe_i32 v81, v81, 0, 16
	v_fmac_f32_e32 v12, v44, v1
	v_fmac_f32_e32 v11, v8, v1
	v_dual_fmac_f32 v13, v30, v82 :: v_dual_fmac_f32 v14, v45, v1
	v_cvt_f32_i32_e32 v1, v83
	s_waitcnt vmcnt(1)
	v_lshrrev_b32_e32 v84, 16, v6
	v_fmac_f32_e32 v11, v15, v82
	v_bfe_i32 v85, v6, 0, 8
	v_lshrrev_b32_e32 v86, 8, v6
	v_bfe_i32 v5, v5, 0, 16
	v_fmac_f32_e32 v12, v28, v82
	v_dual_fmac_f32 v14, v29, v82 :: v_dual_fmac_f32 v13, v47, v1
	v_cvt_f32_i32_e32 v8, v81
	v_bfe_i32 v86, v86, 0, 8
	v_bfe_i32 v84, v84, 0, 8
	;; [unrolled: 1-line block ×3, first 2 shown]
	s_delay_alu instid0(VALU_DEP_4)
	v_dual_fmac_f32 v12, v31, v1 :: v_dual_fmac_f32 v13, v50, v8
	v_fmac_f32_e32 v11, v16, v1
	v_fmac_f32_e32 v14, v32, v1
	v_cvt_f32_i32_e32 v1, v5
	v_cvt_f32_i32_e32 v85, v85
	v_bfe_i32 v86, v86, 0, 16
	v_fmac_f32_e32 v11, v17, v8
	v_bfe_i32 v84, v84, 0, 16
	v_dual_fmac_f32 v12, v48, v8 :: v_dual_fmac_f32 v13, v53, v1
	v_fmac_f32_e32 v14, v49, v8
	s_waitcnt vmcnt(0)
	v_bfe_i32 v88, v27, 0, 8
	v_cvt_f32_i32_e32 v8, v84
	v_fmac_f32_e32 v12, v51, v1
	v_fmac_f32_e32 v11, v18, v1
	;; [unrolled: 1-line block ×3, first 2 shown]
	v_cvt_f32_i32_e32 v1, v86
	v_fmac_f32_e32 v13, v56, v85
	v_bfe_i32 v88, v88, 0, 16
	v_lshrrev_b32_e32 v6, 24, v6
	v_lshrrev_b32_e32 v89, 8, v27
	;; [unrolled: 1-line block ×3, first 2 shown]
	v_fmac_f32_e32 v13, v59, v1
	v_cvt_f32_i32_e32 v88, v88
	v_bfe_i32 v6, v6, 0, 8
	v_bfe_i32 v89, v89, 0, 8
	v_lshrrev_b32_e32 v27, 24, v27
	v_fmac_f32_e32 v13, v62, v8
	v_fmac_f32_e32 v12, v54, v85
	v_bfe_i32 v6, v6, 0, 16
	v_bfe_i32 v87, v87, 0, 8
	;; [unrolled: 1-line block ×4, first 2 shown]
	v_fmac_f32_e32 v12, v57, v1
	v_cmp_ge_i32_e32 vcc_lo, v0, v10
	v_bfe_i32 v5, v87, 0, 16
	s_delay_alu instid0(VALU_DEP_3) | instskip(NEXT) | instid1(VALU_DEP_2)
	v_dual_fmac_f32 v12, v60, v8 :: v_dual_fmac_f32 v11, v19, v85
	v_cvt_f32_i32_e32 v5, v5
	s_or_b32 s11, vcc_lo, s11
	s_delay_alu instid0(VALU_DEP_2) | instskip(NEXT) | instid1(VALU_DEP_1)
	v_fmac_f32_e32 v11, v20, v1
	v_dual_fmac_f32 v11, v21, v8 :: v_dual_fmac_f32 v14, v55, v85
	s_delay_alu instid0(VALU_DEP_1) | instskip(SKIP_2) | instid1(VALU_DEP_3)
	v_fmac_f32_e32 v14, v58, v1
	v_cvt_f32_i32_e32 v1, v6
	v_bfe_i32 v6, v27, 0, 16
	v_fmac_f32_e32 v14, v61, v8
	s_delay_alu instid0(VALU_DEP_3) | instskip(SKIP_2) | instid1(VALU_DEP_4)
	v_fmac_f32_e32 v12, v63, v1
	v_fmac_f32_e32 v13, v65, v1
	;; [unrolled: 1-line block ×4, first 2 shown]
	v_cvt_f32_i32_e32 v1, v7
	v_fmac_f32_e32 v12, v66, v88
	v_fmac_f32_e32 v13, v68, v88
	v_fmac_f32_e32 v11, v23, v88
	v_fmac_f32_e32 v14, v67, v88
	s_delay_alu instid0(VALU_DEP_4) | instskip(NEXT) | instid1(VALU_DEP_4)
	v_fmac_f32_e32 v12, v69, v1
	v_fmac_f32_e32 v13, v71, v1
	s_delay_alu instid0(VALU_DEP_4) | instskip(NEXT) | instid1(VALU_DEP_4)
	v_fmac_f32_e32 v11, v24, v1
	v_fmac_f32_e32 v14, v70, v1
	v_cvt_f32_i32_e32 v1, v6
	v_fmac_f32_e32 v12, v72, v5
	v_fmac_f32_e32 v13, v74, v5
	v_fmac_f32_e32 v11, v25, v5
	v_fmac_f32_e32 v14, v73, v5
	s_delay_alu instid0(VALU_DEP_4) | instskip(NEXT) | instid1(VALU_DEP_4)
	v_fmac_f32_e32 v12, v75, v1
	v_fmac_f32_e32 v13, v77, v1
	s_delay_alu instid0(VALU_DEP_4) | instskip(NEXT) | instid1(VALU_DEP_4)
	v_fmac_f32_e32 v11, v26, v1
	v_fmac_f32_e32 v14, v76, v1
	s_and_not1_b32 exec_lo, exec_lo, s11
	s_cbranch_execnz .LBB75_33
; %bb.34:
	s_or_b32 exec_lo, exec_lo, s11
.LBB75_35:
	s_delay_alu instid0(SALU_CYCLE_1)
	s_or_b32 exec_lo, exec_lo, s10
.LBB75_36:
	s_delay_alu instid0(SALU_CYCLE_1)
	s_or_b32 exec_lo, exec_lo, s5
.LBB75_37:
	v_mbcnt_lo_u32_b32 v0, -1, 0
	s_mov_b32 s2, -1
	s_delay_alu instid0(VALU_DEP_1) | instskip(NEXT) | instid1(VALU_DEP_1)
	v_xor_b32_e32 v1, 2, v0
	v_cmp_gt_i32_e32 vcc_lo, 32, v1
	v_cndmask_b32_e32 v1, v0, v1, vcc_lo
	s_delay_alu instid0(VALU_DEP_1)
	v_lshlrev_b32_e32 v1, 2, v1
	ds_bpermute_b32 v2, v1, v12
	ds_bpermute_b32 v3, v1, v14
	;; [unrolled: 1-line block ×4, first 2 shown]
	v_xor_b32_e32 v1, 1, v0
	s_delay_alu instid0(VALU_DEP_1) | instskip(SKIP_3) | instid1(VALU_DEP_2)
	v_cmp_gt_i32_e32 vcc_lo, 32, v1
	v_cndmask_b32_e32 v0, v0, v1, vcc_lo
	v_cmp_eq_u32_e32 vcc_lo, 3, v9
	s_waitcnt lgkmcnt(0)
	v_dual_add_f32 v1, v14, v3 :: v_dual_lshlrev_b32 v8, 2, v0
	v_add_f32_e32 v0, v12, v2
	v_dual_add_f32 v2, v13, v5 :: v_dual_add_f32 v3, v11, v6
	ds_bpermute_b32 v6, v8, v1
	ds_bpermute_b32 v5, v8, v0
	;; [unrolled: 1-line block ×4, first 2 shown]
	s_and_b32 exec_lo, exec_lo, vcc_lo
	s_cbranch_execz .LBB75_10
; %bb.38:
	s_load_b64 s[0:1], s[0:1], 0x50
	s_waitcnt lgkmcnt(0)
	v_dual_add_f32 v0, v0, v5 :: v_dual_add_f32 v1, v1, v6
	v_dual_add_f32 v2, v2, v7 :: v_dual_add_f32 v3, v3, v8
	v_cmp_eq_f32_e64 s3, s12, 0
	s_delay_alu instid0(VALU_DEP_3) | instskip(NEXT) | instid1(VALU_DEP_3)
	v_dual_mul_f32 v0, s16, v0 :: v_dual_mul_f32 v1, s16, v1
	v_dual_mul_f32 v2, s16, v2 :: v_dual_mul_f32 v3, s16, v3
	v_lshlrev_b32_e32 v4, 2, v4
	s_delay_alu instid0(VALU_DEP_4)
	s_and_b32 vcc_lo, exec_lo, s3
	s_cbranch_vccz .LBB75_40
; %bb.39:
	s_delay_alu instid0(VALU_DEP_1) | instskip(SKIP_1) | instid1(VALU_DEP_1)
	v_ashrrev_i32_e32 v5, 31, v4
	s_mov_b32 s2, 0
	v_lshlrev_b64 v[5:6], 2, v[4:5]
	s_delay_alu instid0(VALU_DEP_1) | instskip(NEXT) | instid1(VALU_DEP_2)
	v_add_co_u32 v5, vcc_lo, s0, v5
	v_add_co_ci_u32_e32 v6, vcc_lo, s1, v6, vcc_lo
	global_store_b128 v[5:6], v[0:3], off
.LBB75_40:
	s_and_not1_b32 vcc_lo, exec_lo, s2
	s_cbranch_vccnz .LBB75_10
; %bb.41:
	v_ashrrev_i32_e32 v5, 31, v4
	s_delay_alu instid0(VALU_DEP_1) | instskip(NEXT) | instid1(VALU_DEP_1)
	v_lshlrev_b64 v[4:5], 2, v[4:5]
	v_add_co_u32 v8, vcc_lo, s0, v4
	s_delay_alu instid0(VALU_DEP_2)
	v_add_co_ci_u32_e32 v9, vcc_lo, s1, v5, vcc_lo
	global_load_b128 v[4:7], v[8:9], off
	s_waitcnt vmcnt(0)
	v_dual_fmac_f32 v0, s12, v4 :: v_dual_fmac_f32 v1, s12, v5
	v_dual_fmac_f32 v2, s12, v6 :: v_dual_fmac_f32 v3, s12, v7
	global_store_b128 v[8:9], v[0:3], off
	s_nop 0
	s_sendmsg sendmsg(MSG_DEALLOC_VGPRS)
	s_endpgm
	.section	.rodata,"a",@progbits
	.p2align	6, 0x0
	.amdhsa_kernel _ZN9rocsparseL18bsrxmvn_4x4_kernelILj128ELj4EfiiaafEEvT3_20rocsparse_direction_NS_24const_host_device_scalarIT1_EES1_PKS1_PKT2_SA_S7_PKT4_PKT5_S5_PT6_21rocsparse_index_base_b
		.amdhsa_group_segment_fixed_size 0
		.amdhsa_private_segment_fixed_size 0
		.amdhsa_kernarg_size 96
		.amdhsa_user_sgpr_count 15
		.amdhsa_user_sgpr_dispatch_ptr 0
		.amdhsa_user_sgpr_queue_ptr 0
		.amdhsa_user_sgpr_kernarg_segment_ptr 1
		.amdhsa_user_sgpr_dispatch_id 0
		.amdhsa_user_sgpr_private_segment_size 0
		.amdhsa_wavefront_size32 1
		.amdhsa_uses_dynamic_stack 0
		.amdhsa_enable_private_segment 0
		.amdhsa_system_sgpr_workgroup_id_x 1
		.amdhsa_system_sgpr_workgroup_id_y 0
		.amdhsa_system_sgpr_workgroup_id_z 0
		.amdhsa_system_sgpr_workgroup_info 0
		.amdhsa_system_vgpr_workitem_id 0
		.amdhsa_next_free_vgpr 94
		.amdhsa_next_free_sgpr 20
		.amdhsa_reserve_vcc 1
		.amdhsa_float_round_mode_32 0
		.amdhsa_float_round_mode_16_64 0
		.amdhsa_float_denorm_mode_32 3
		.amdhsa_float_denorm_mode_16_64 3
		.amdhsa_dx10_clamp 1
		.amdhsa_ieee_mode 1
		.amdhsa_fp16_overflow 0
		.amdhsa_workgroup_processor_mode 1
		.amdhsa_memory_ordered 1
		.amdhsa_forward_progress 0
		.amdhsa_shared_vgpr_count 0
		.amdhsa_exception_fp_ieee_invalid_op 0
		.amdhsa_exception_fp_denorm_src 0
		.amdhsa_exception_fp_ieee_div_zero 0
		.amdhsa_exception_fp_ieee_overflow 0
		.amdhsa_exception_fp_ieee_underflow 0
		.amdhsa_exception_fp_ieee_inexact 0
		.amdhsa_exception_int_div_zero 0
	.end_amdhsa_kernel
	.section	.text._ZN9rocsparseL18bsrxmvn_4x4_kernelILj128ELj4EfiiaafEEvT3_20rocsparse_direction_NS_24const_host_device_scalarIT1_EES1_PKS1_PKT2_SA_S7_PKT4_PKT5_S5_PT6_21rocsparse_index_base_b,"axG",@progbits,_ZN9rocsparseL18bsrxmvn_4x4_kernelILj128ELj4EfiiaafEEvT3_20rocsparse_direction_NS_24const_host_device_scalarIT1_EES1_PKS1_PKT2_SA_S7_PKT4_PKT5_S5_PT6_21rocsparse_index_base_b,comdat
.Lfunc_end75:
	.size	_ZN9rocsparseL18bsrxmvn_4x4_kernelILj128ELj4EfiiaafEEvT3_20rocsparse_direction_NS_24const_host_device_scalarIT1_EES1_PKS1_PKT2_SA_S7_PKT4_PKT5_S5_PT6_21rocsparse_index_base_b, .Lfunc_end75-_ZN9rocsparseL18bsrxmvn_4x4_kernelILj128ELj4EfiiaafEEvT3_20rocsparse_direction_NS_24const_host_device_scalarIT1_EES1_PKS1_PKT2_SA_S7_PKT4_PKT5_S5_PT6_21rocsparse_index_base_b
                                        ; -- End function
	.section	.AMDGPU.csdata,"",@progbits
; Kernel info:
; codeLenInByte = 7604
; NumSgprs: 22
; NumVgprs: 94
; ScratchSize: 0
; MemoryBound: 0
; FloatMode: 240
; IeeeMode: 1
; LDSByteSize: 0 bytes/workgroup (compile time only)
; SGPRBlocks: 2
; VGPRBlocks: 11
; NumSGPRsForWavesPerEU: 22
; NumVGPRsForWavesPerEU: 94
; Occupancy: 16
; WaveLimiterHint : 1
; COMPUTE_PGM_RSRC2:SCRATCH_EN: 0
; COMPUTE_PGM_RSRC2:USER_SGPR: 15
; COMPUTE_PGM_RSRC2:TRAP_HANDLER: 0
; COMPUTE_PGM_RSRC2:TGID_X_EN: 1
; COMPUTE_PGM_RSRC2:TGID_Y_EN: 0
; COMPUTE_PGM_RSRC2:TGID_Z_EN: 0
; COMPUTE_PGM_RSRC2:TIDIG_COMP_CNT: 0
	.section	.text._ZN9rocsparseL18bsrxmvn_4x4_kernelILj128ELj8EfiiaafEEvT3_20rocsparse_direction_NS_24const_host_device_scalarIT1_EES1_PKS1_PKT2_SA_S7_PKT4_PKT5_S5_PT6_21rocsparse_index_base_b,"axG",@progbits,_ZN9rocsparseL18bsrxmvn_4x4_kernelILj128ELj8EfiiaafEEvT3_20rocsparse_direction_NS_24const_host_device_scalarIT1_EES1_PKS1_PKT2_SA_S7_PKT4_PKT5_S5_PT6_21rocsparse_index_base_b,comdat
	.globl	_ZN9rocsparseL18bsrxmvn_4x4_kernelILj128ELj8EfiiaafEEvT3_20rocsparse_direction_NS_24const_host_device_scalarIT1_EES1_PKS1_PKT2_SA_S7_PKT4_PKT5_S5_PT6_21rocsparse_index_base_b ; -- Begin function _ZN9rocsparseL18bsrxmvn_4x4_kernelILj128ELj8EfiiaafEEvT3_20rocsparse_direction_NS_24const_host_device_scalarIT1_EES1_PKS1_PKT2_SA_S7_PKT4_PKT5_S5_PT6_21rocsparse_index_base_b
	.p2align	8
	.type	_ZN9rocsparseL18bsrxmvn_4x4_kernelILj128ELj8EfiiaafEEvT3_20rocsparse_direction_NS_24const_host_device_scalarIT1_EES1_PKS1_PKT2_SA_S7_PKT4_PKT5_S5_PT6_21rocsparse_index_base_b,@function
_ZN9rocsparseL18bsrxmvn_4x4_kernelILj128ELj8EfiiaafEEvT3_20rocsparse_direction_NS_24const_host_device_scalarIT1_EES1_PKS1_PKT2_SA_S7_PKT4_PKT5_S5_PT6_21rocsparse_index_base_b: ; @_ZN9rocsparseL18bsrxmvn_4x4_kernelILj128ELj8EfiiaafEEvT3_20rocsparse_direction_NS_24const_host_device_scalarIT1_EES1_PKS1_PKT2_SA_S7_PKT4_PKT5_S5_PT6_21rocsparse_index_base_b
; %bb.0:
	s_clause 0x2
	s_load_b64 s[18:19], s[0:1], 0x58
	s_load_b64 s[16:17], s[0:1], 0x8
	s_load_b64 s[12:13], s[0:1], 0x48
	s_waitcnt lgkmcnt(0)
	s_bitcmp1_b32 s19, 0
	s_cselect_b32 s2, -1, 0
	s_delay_alu instid0(SALU_CYCLE_1)
	s_and_b32 vcc_lo, exec_lo, s2
	s_xor_b32 s2, s2, -1
	s_cbranch_vccnz .LBB76_2
; %bb.1:
	s_load_b32 s16, s[16:17], 0x0
.LBB76_2:
	s_and_not1_b32 vcc_lo, exec_lo, s2
	s_cbranch_vccnz .LBB76_4
; %bb.3:
	s_load_b32 s12, s[12:13], 0x0
.LBB76_4:
	s_waitcnt lgkmcnt(0)
	v_cmp_neq_f32_e64 s2, s16, 0
	v_cmp_neq_f32_e64 s3, s12, 1.0
	s_mov_b32 s6, 0
	s_delay_alu instid0(VALU_DEP_1) | instskip(NEXT) | instid1(SALU_CYCLE_1)
	s_or_b32 s2, s2, s3
	s_and_not1_b32 vcc_lo, exec_lo, s2
	s_cbranch_vccnz .LBB76_10
; %bb.5:
	s_clause 0x1
	s_load_b64 s[4:5], s[0:1], 0x18
	s_load_b64 s[2:3], s[0:1], 0x0
	v_lshrrev_b32_e32 v1, 3, v0
	s_delay_alu instid0(VALU_DEP_1)
	v_lshl_or_b32 v4, s15, 4, v1
	s_waitcnt lgkmcnt(0)
	s_cmp_lg_u64 s[4:5], 0
	s_cbranch_scc0 .LBB76_11
; %bb.6:
	s_load_b32 s6, s[0:1], 0x10
	s_mov_b32 s7, 0
                                        ; implicit-def: $vgpr1
	s_waitcnt lgkmcnt(0)
	v_cmp_gt_i32_e32 vcc_lo, s6, v4
	s_mov_b32 s6, 0
	s_and_saveexec_b32 s8, vcc_lo
	s_delay_alu instid0(SALU_CYCLE_1)
	s_xor_b32 s8, exec_lo, s8
	s_cbranch_execz .LBB76_8
; %bb.7:
	v_ashrrev_i32_e32 v5, 31, v4
	s_mov_b32 s6, exec_lo
	s_delay_alu instid0(VALU_DEP_1) | instskip(NEXT) | instid1(VALU_DEP_1)
	v_lshlrev_b64 v[1:2], 2, v[4:5]
	v_add_co_u32 v1, vcc_lo, s4, v1
	s_delay_alu instid0(VALU_DEP_2)
	v_add_co_ci_u32_e32 v2, vcc_lo, s5, v2, vcc_lo
	global_load_b32 v1, v[1:2], off
	s_waitcnt vmcnt(0)
	v_subrev_nc_u32_e32 v1, s18, v1
.LBB76_8:
	s_or_b32 exec_lo, exec_lo, s8
	s_delay_alu instid0(SALU_CYCLE_1)
	s_and_b32 vcc_lo, exec_lo, s7
	s_cbranch_vccz .LBB76_12
.LBB76_9:
	v_cmp_gt_i32_e32 vcc_lo, s2, v4
	s_and_not1_b32 s2, s6, exec_lo
	s_and_b32 s4, vcc_lo, exec_lo
	s_delay_alu instid0(SALU_CYCLE_1) | instskip(NEXT) | instid1(SALU_CYCLE_1)
	s_or_b32 s6, s2, s4
	s_and_saveexec_b32 s2, s6
	s_cbranch_execnz .LBB76_13
.LBB76_10:
	s_nop 0
	s_sendmsg sendmsg(MSG_DEALLOC_VGPRS)
	s_endpgm
.LBB76_11:
                                        ; implicit-def: $vgpr1
	s_cbranch_execnz .LBB76_9
.LBB76_12:
	s_delay_alu instid0(VALU_DEP_1)
	v_mov_b32_e32 v4, v1
	s_and_saveexec_b32 s2, s6
	s_cbranch_execz .LBB76_10
.LBB76_13:
	s_load_b256 s[4:11], s[0:1], 0x20
	s_delay_alu instid0(VALU_DEP_1) | instskip(SKIP_1) | instid1(VALU_DEP_2)
	v_ashrrev_i32_e32 v5, 31, v4
	v_and_b32_e32 v9, 7, v0
	v_lshlrev_b64 v[1:2], 2, v[4:5]
	s_waitcnt lgkmcnt(0)
	s_delay_alu instid0(VALU_DEP_1) | instskip(NEXT) | instid1(VALU_DEP_2)
	v_add_co_u32 v5, vcc_lo, s4, v1
	v_add_co_ci_u32_e32 v6, vcc_lo, s5, v2, vcc_lo
	v_add_co_u32 v1, vcc_lo, s6, v1
	v_add_co_ci_u32_e32 v2, vcc_lo, s7, v2, vcc_lo
	global_load_b32 v15, v[5:6], off
	v_add_co_u32 v3, vcc_lo, v5, 4
	v_add_co_ci_u32_e32 v5, vcc_lo, 0, v6, vcc_lo
	s_cmp_eq_u64 s[6:7], 0
	s_load_b64 s[6:7], s[0:1], 0x40
	s_cselect_b32 vcc_lo, -1, 0
	s_cmp_eq_u32 s3, 1
	v_dual_cndmask_b32 v2, v2, v5 :: v_dual_cndmask_b32 v1, v1, v3
	global_load_b32 v5, v[1:2], off
	s_waitcnt vmcnt(1)
	v_subrev_nc_u32_e32 v0, s18, v15
	s_delay_alu instid0(VALU_DEP_1) | instskip(NEXT) | instid1(VALU_DEP_1)
	v_add_nc_u32_e32 v0, v0, v9
	v_ashrrev_i32_e32 v1, 31, v0
	s_waitcnt vmcnt(0)
	v_subrev_nc_u32_e32 v11, s18, v5
	s_delay_alu instid0(VALU_DEP_2) | instskip(NEXT) | instid1(VALU_DEP_2)
	v_lshlrev_b64 v[2:3], 4, v[0:1]
	v_cmp_lt_i32_e64 s2, v0, v11
	s_delay_alu instid0(VALU_DEP_2) | instskip(NEXT) | instid1(VALU_DEP_3)
	v_add_co_u32 v2, vcc_lo, s10, v2
	v_add_co_ci_u32_e32 v3, vcc_lo, s11, v3, vcc_lo
	s_cbranch_scc1 .LBB76_25
; %bb.14:
	v_dual_mov_b32 v10, 0 :: v_dual_mov_b32 v13, 0
	v_mov_b32_e32 v14, 0
	v_mov_b32_e32 v12, 0
	s_mov_b32 s10, 0
	s_and_saveexec_b32 s11, s2
	s_cbranch_execz .LBB76_24
; %bb.15:
	v_dual_mov_b32 v12, 0 :: v_dual_add_nc_u32 v1, v15, v9
	v_not_b32_e32 v5, v15
	s_mov_b32 s4, 0
	s_mov_b32 s3, exec_lo
	s_delay_alu instid0(VALU_DEP_2) | instskip(SKIP_3) | instid1(VALU_DEP_4)
	v_subrev_nc_u32_e32 v1, s18, v1
	v_mov_b32_e32 v14, 0
	v_mov_b32_e32 v10, 0
	v_dual_mov_b32 v8, v3 :: v_dual_mov_b32 v13, 0
	v_add_nc_u32_e32 v1, 8, v1
	v_mov_b32_e32 v7, v2
	s_delay_alu instid0(VALU_DEP_2) | instskip(NEXT) | instid1(VALU_DEP_1)
	v_max_i32_e32 v1, v1, v11
	v_add3_u32 v1, v1, s18, v5
	s_delay_alu instid0(VALU_DEP_1) | instskip(NEXT) | instid1(VALU_DEP_1)
	v_sub_nc_u32_e32 v1, v1, v9
	v_lshrrev_b32_e32 v5, 3, v1
	s_delay_alu instid0(VALU_DEP_1) | instskip(NEXT) | instid1(VALU_DEP_1)
	v_add_nc_u32_e32 v5, 1, v5
	v_dual_mov_b32 v5, v0 :: v_dual_and_b32 v6, 3, v5
	s_delay_alu instid0(VALU_DEP_1)
	v_cmpx_ne_u32_e32 0, v6
	s_cbranch_execz .LBB76_19
; %bb.16:
	v_dual_mov_b32 v8, v3 :: v_dual_mov_b32 v13, 0
	v_dual_mov_b32 v7, v2 :: v_dual_lshlrev_b32 v16, 4, v6
	v_dual_mov_b32 v10, 0 :: v_dual_mov_b32 v5, v0
	v_mov_b32_e32 v14, 0
	v_mov_b32_e32 v12, 0
.LBB76_17:                              ; =>This Inner Loop Header: Depth=1
	s_delay_alu instid0(VALU_DEP_3) | instskip(NEXT) | instid1(VALU_DEP_1)
	v_ashrrev_i32_e32 v6, 31, v5
	v_lshlrev_b64 v[17:18], 2, v[5:6]
	s_delay_alu instid0(VALU_DEP_1) | instskip(NEXT) | instid1(VALU_DEP_2)
	v_add_co_u32 v17, vcc_lo, s8, v17
	v_add_co_ci_u32_e32 v18, vcc_lo, s9, v18, vcc_lo
	global_load_b32 v6, v[17:18], off
	global_load_b128 v[17:20], v[7:8], off
	s_waitcnt vmcnt(1)
	v_subrev_nc_u32_e32 v6, s18, v6
	s_waitcnt vmcnt(0)
	v_bfe_i32 v27, v19, 0, 8
	v_lshrrev_b32_e32 v28, 8, v19
	v_lshrrev_b32_e32 v29, 16, v19
	;; [unrolled: 1-line block ×3, first 2 shown]
	v_bfe_i32 v24, v18, 0, 8
	v_bfe_i32 v27, v27, 0, 16
	;; [unrolled: 1-line block ×3, first 2 shown]
	v_lshrrev_b32_e32 v25, 8, v18
	v_bfe_i32 v19, v19, 0, 8
	v_bfe_i32 v30, v20, 0, 8
	v_cvt_f32_i32_e32 v27, v27
	v_lshlrev_b32_e32 v6, 2, v6
	v_lshrrev_b32_e32 v31, 8, v20
	v_bfe_i32 v29, v29, 0, 8
	v_bfe_i32 v24, v24, 0, 16
	;; [unrolled: 1-line block ×3, first 2 shown]
	v_ashrrev_i32_e32 v22, 31, v6
	s_waitcnt lgkmcnt(0)
	v_add_co_u32 v21, vcc_lo, s6, v6
	v_bfe_i32 v19, v19, 0, 16
	v_lshrrev_b32_e32 v23, 16, v17
	v_add_co_ci_u32_e32 v22, vcc_lo, s7, v22, vcc_lo
	v_lshrrev_b32_e32 v26, 16, v18
	v_lshrrev_b32_e32 v32, 16, v20
	v_bfe_i32 v25, v25, 0, 8
	global_load_b32 v6, v[21:22], off
	v_bfe_i32 v21, v17, 0, 8
	v_lshrrev_b32_e32 v22, 8, v17
	v_bfe_i32 v31, v31, 0, 8
	v_bfe_i32 v30, v30, 0, 16
	v_cvt_f32_i32_e32 v24, v24
	v_bfe_i32 v21, v21, 0, 16
	v_bfe_i32 v22, v22, 0, 8
	;; [unrolled: 1-line block ×3, first 2 shown]
	v_cvt_f32_i32_e32 v28, v28
	v_cvt_f32_i32_e32 v19, v19
	;; [unrolled: 1-line block ×3, first 2 shown]
	v_lshrrev_b32_e32 v17, 24, v17
	v_lshrrev_b32_e32 v18, 24, v18
	;; [unrolled: 1-line block ×3, first 2 shown]
	v_bfe_i32 v23, v23, 0, 8
	v_bfe_i32 v26, v26, 0, 8
	;; [unrolled: 1-line block ×5, first 2 shown]
	v_cvt_f32_i32_e32 v30, v30
	v_bfe_i32 v31, v31, 0, 16
	v_cvt_f32_i32_e32 v29, v29
	v_bfe_i32 v17, v17, 0, 8
	v_bfe_i32 v18, v18, 0, 8
	;; [unrolled: 1-line block ×6, first 2 shown]
	v_cvt_f32_i32_e32 v22, v22
	v_cvt_f32_i32_e32 v25, v25
	;; [unrolled: 1-line block ×3, first 2 shown]
	v_bfe_i32 v17, v17, 0, 16
	v_bfe_i32 v18, v18, 0, 16
	;; [unrolled: 1-line block ×3, first 2 shown]
	v_cvt_f32_i32_e32 v23, v23
	v_cvt_f32_i32_e32 v26, v26
	v_cvt_f32_i32_e32 v32, v32
	v_add_co_u32 v7, vcc_lo, 0x80, v7
	v_cvt_f32_i32_e32 v17, v17
	v_cvt_f32_i32_e32 v18, v18
	;; [unrolled: 1-line block ×3, first 2 shown]
	v_add_co_ci_u32_e32 v8, vcc_lo, 0, v8, vcc_lo
	s_waitcnt vmcnt(0)
	v_bfe_i32 v33, v6, 0, 8
	v_lshrrev_b32_e32 v34, 8, v6
	v_lshrrev_b32_e32 v35, 16, v6
	v_lshrrev_b32_e32 v6, 24, v6
	s_delay_alu instid0(VALU_DEP_4) | instskip(NEXT) | instid1(VALU_DEP_4)
	v_bfe_i32 v33, v33, 0, 16
	v_bfe_i32 v34, v34, 0, 8
	s_delay_alu instid0(VALU_DEP_4) | instskip(NEXT) | instid1(VALU_DEP_4)
	v_bfe_i32 v35, v35, 0, 8
	v_bfe_i32 v6, v6, 0, 8
	s_delay_alu instid0(VALU_DEP_4) | instskip(NEXT) | instid1(VALU_DEP_4)
	v_cvt_f32_i32_e32 v33, v33
	v_bfe_i32 v34, v34, 0, 16
	s_delay_alu instid0(VALU_DEP_4) | instskip(NEXT) | instid1(VALU_DEP_4)
	v_bfe_i32 v35, v35, 0, 16
	v_bfe_i32 v6, v6, 0, 16
	s_delay_alu instid0(VALU_DEP_4) | instskip(SKIP_1) | instid1(VALU_DEP_3)
	v_fmac_f32_e32 v13, v27, v33
	v_fmac_f32_e32 v10, v30, v33
	v_cvt_f32_i32_e32 v6, v6
	v_fmac_f32_e32 v12, v21, v33
	v_cvt_f32_i32_e32 v21, v34
	s_delay_alu instid0(VALU_DEP_1) | instskip(SKIP_3) | instid1(VALU_DEP_4)
	v_dual_fmac_f32 v13, v28, v21 :: v_dual_add_nc_u32 v16, -16, v16
	v_fmac_f32_e32 v14, v24, v33
	v_cvt_f32_i32_e32 v24, v35
	v_fmac_f32_e32 v10, v31, v21
	v_cmp_eq_u32_e32 vcc_lo, 0, v16
	s_delay_alu instid0(VALU_DEP_3) | instskip(SKIP_1) | instid1(VALU_DEP_4)
	v_fmac_f32_e32 v13, v29, v24
	v_fmac_f32_e32 v14, v25, v21
	;; [unrolled: 1-line block ×3, first 2 shown]
	s_or_b32 s4, vcc_lo, s4
	s_delay_alu instid0(VALU_DEP_3) | instskip(NEXT) | instid1(VALU_DEP_3)
	v_dual_fmac_f32 v13, v19, v6 :: v_dual_fmac_f32 v12, v22, v21
	v_dual_fmac_f32 v14, v26, v24 :: v_dual_add_nc_u32 v5, 8, v5
	s_delay_alu instid0(VALU_DEP_3) | instskip(NEXT) | instid1(VALU_DEP_3)
	v_fmac_f32_e32 v10, v20, v6
	v_fmac_f32_e32 v12, v23, v24
	s_delay_alu instid0(VALU_DEP_3) | instskip(NEXT) | instid1(VALU_DEP_2)
	v_fmac_f32_e32 v14, v18, v6
	v_fmac_f32_e32 v12, v17, v6
	s_and_not1_b32 exec_lo, exec_lo, s4
	s_cbranch_execnz .LBB76_17
; %bb.18:
	s_or_b32 exec_lo, exec_lo, s4
.LBB76_19:
	s_delay_alu instid0(SALU_CYCLE_1) | instskip(NEXT) | instid1(SALU_CYCLE_1)
	s_or_b32 exec_lo, exec_lo, s3
	s_mov_b32 s13, exec_lo
	v_cmpx_lt_u32_e32 23, v1
	s_cbranch_execz .LBB76_23
; %bb.20:
	s_mov_b32 s14, 0
.LBB76_21:                              ; =>This Inner Loop Header: Depth=1
	v_ashrrev_i32_e32 v6, 31, v5
	s_delay_alu instid0(VALU_DEP_1) | instskip(NEXT) | instid1(VALU_DEP_1)
	v_lshlrev_b64 v[16:17], 2, v[5:6]
	v_add_co_u32 v16, vcc_lo, s8, v16
	s_delay_alu instid0(VALU_DEP_2)
	v_add_co_ci_u32_e32 v17, vcc_lo, s9, v17, vcc_lo
	s_clause 0x3
	global_load_b32 v1, v[16:17], off
	global_load_b32 v6, v[16:17], off offset:32
	global_load_b32 v32, v[16:17], off offset:64
	global_load_b32 v33, v[16:17], off offset:96
	s_clause 0x3
	global_load_b128 v[16:19], v[7:8], off
	global_load_b128 v[20:23], v[7:8], off offset:128
	global_load_b128 v[24:27], v[7:8], off offset:256
	;; [unrolled: 1-line block ×3, first 2 shown]
	v_add_co_u32 v7, vcc_lo, 0x200, v7
	v_add_co_ci_u32_e32 v8, vcc_lo, 0, v8, vcc_lo
	s_waitcnt vmcnt(7)
	v_subrev_nc_u32_e32 v1, s18, v1
	s_waitcnt vmcnt(6)
	v_subrev_nc_u32_e32 v6, s18, v6
	s_waitcnt vmcnt(3)
	v_lshrrev_b32_e32 v47, 8, v18
	v_bfe_i32 v42, v17, 0, 8
	v_bfe_i32 v46, v18, 0, 8
	;; [unrolled: 1-line block ×7, first 2 shown]
	v_lshrrev_b32_e32 v39, 8, v16
	v_lshrrev_b32_e32 v40, 16, v16
	v_lshrrev_b32_e32 v41, 24, v16
	v_subrev_nc_u32_e32 v16, s18, v32
	v_bfe_i32 v47, v47, 0, 16
	v_lshrrev_b32_e32 v43, 8, v17
	v_lshrrev_b32_e32 v44, 16, v17
	;; [unrolled: 1-line block ×3, first 2 shown]
	v_subrev_nc_u32_e32 v17, s18, v33
	v_bfe_i32 v49, v49, 0, 16
	v_cvt_f32_i32_e32 v42, v42
	v_lshlrev_b32_e32 v1, 2, v1
	v_cvt_f32_i32_e32 v46, v46
	v_lshlrev_b32_e32 v6, 2, v6
	;; [unrolled: 2-line block ×4, first 2 shown]
	v_ashrrev_i32_e32 v33, 31, v1
	v_ashrrev_i32_e32 v35, 31, v6
	s_waitcnt lgkmcnt(0)
	v_add_co_u32 v16, vcc_lo, s6, v6
	v_ashrrev_i32_e32 v6, 31, v32
	v_ashrrev_i32_e32 v52, 31, v17
	v_add_co_u32 v36, s5, s6, v1
	v_add_co_u32 v32, s3, s6, v32
	v_add_co_ci_u32_e64 v37, s5, s7, v33, s5
	v_add_co_u32 v34, s4, s6, v17
	v_add_co_ci_u32_e32 v17, vcc_lo, s7, v35, vcc_lo
	v_add_co_ci_u32_e64 v33, vcc_lo, s7, v6, s3
	v_add_co_ci_u32_e64 v35, vcc_lo, s7, v52, s4
	s_clause 0x3
	global_load_b32 v1, v[36:37], off
	global_load_b32 v6, v[16:17], off
	;; [unrolled: 1-line block ×4, first 2 shown]
	v_lshrrev_b32_e32 v48, 16, v18
	v_lshrrev_b32_e32 v50, 8, v19
	v_bfe_i32 v38, v38, 0, 16
	v_lshrrev_b32_e32 v18, 24, v18
	v_lshrrev_b32_e32 v51, 16, v19
	v_bfe_i32 v48, v48, 0, 8
	v_bfe_i32 v50, v50, 0, 8
	v_cvt_f32_i32_e32 v38, v38
	v_lshrrev_b32_e32 v19, 24, v19
	s_waitcnt vmcnt(5)
	v_bfe_i32 v64, v26, 0, 8
	v_lshrrev_b32_e32 v65, 8, v26
	v_lshrrev_b32_e32 v66, 16, v26
	;; [unrolled: 1-line block ×3, first 2 shown]
	v_bfe_i32 v39, v39, 0, 8
	v_bfe_i32 v41, v41, 0, 8
	;; [unrolled: 1-line block ×7, first 2 shown]
	v_lshrrev_b32_e32 v53, 8, v22
	v_bfe_i32 v43, v43, 0, 8
	v_bfe_i32 v19, v19, 0, 8
	;; [unrolled: 1-line block ×8, first 2 shown]
	v_cvt_f32_i32_e32 v48, v48
	v_cvt_f32_i32_e32 v50, v50
	v_lshrrev_b32_e32 v54, 16, v22
	v_lshrrev_b32_e32 v22, 24, v22
	v_bfe_i32 v40, v40, 0, 8
	v_bfe_i32 v44, v44, 0, 8
	;; [unrolled: 1-line block ×6, first 2 shown]
	v_cvt_f32_i32_e32 v64, v64
	v_bfe_i32 v26, v26, 0, 16
	v_cvt_f32_i32_e32 v39, v39
	v_cvt_f32_i32_e32 v41, v41
	;; [unrolled: 1-line block ×4, first 2 shown]
	v_bfe_i32 v45, v45, 0, 8
	v_bfe_i32 v22, v22, 0, 8
	v_bfe_i32 v65, v65, 0, 8
	v_bfe_i32 v40, v40, 0, 16
	v_bfe_i32 v44, v44, 0, 16
	v_cvt_f32_i32_e32 v52, v52
	v_bfe_i32 v53, v53, 0, 16
	v_cvt_f32_i32_e32 v43, v43
	v_cvt_f32_i32_e32 v19, v19
	;; [unrolled: 1-line block ×3, first 2 shown]
	v_bfe_i32 v54, v54, 0, 8
	v_bfe_i32 v45, v45, 0, 16
	;; [unrolled: 1-line block ×4, first 2 shown]
	v_cvt_f32_i32_e32 v40, v40
	v_cvt_f32_i32_e32 v44, v44
	v_cvt_f32_i32_e32 v53, v53
	v_bfe_i32 v32, v20, 0, 8
	v_lshrrev_b32_e32 v33, 8, v20
	v_bfe_i32 v35, v21, 0, 8
	v_lshrrev_b32_e32 v36, 8, v21
	;; [unrolled: 2-line block ×3, first 2 shown]
	s_waitcnt vmcnt(4)
	v_bfe_i32 v76, v30, 0, 8
	v_lshrrev_b32_e32 v77, 8, v30
	v_lshrrev_b32_e32 v78, 16, v30
	;; [unrolled: 1-line block ×3, first 2 shown]
	v_bfe_i32 v54, v54, 0, 16
	v_cvt_f32_i32_e32 v45, v45
	v_cvt_f32_i32_e32 v22, v22
	;; [unrolled: 1-line block ×3, first 2 shown]
	v_lshrrev_b32_e32 v34, 16, v20
	v_lshrrev_b32_e32 v37, 16, v21
	;; [unrolled: 1-line block ×3, first 2 shown]
	v_bfe_i32 v33, v33, 0, 8
	v_bfe_i32 v36, v36, 0, 8
	v_bfe_i32 v56, v56, 0, 8
	v_bfe_i32 v32, v32, 0, 16
	v_bfe_i32 v35, v35, 0, 16
	v_bfe_i32 v55, v55, 0, 16
	v_bfe_i32 v77, v77, 0, 8
	v_bfe_i32 v30, v30, 0, 8
	v_cvt_f32_i32_e32 v54, v54
	v_lshrrev_b32_e32 v20, 24, v20
	v_lshrrev_b32_e32 v21, 24, v21
	;; [unrolled: 1-line block ×3, first 2 shown]
	v_bfe_i32 v34, v34, 0, 8
	v_bfe_i32 v37, v37, 0, 8
	;; [unrolled: 1-line block ×6, first 2 shown]
	v_cvt_f32_i32_e32 v32, v32
	v_bfe_i32 v33, v33, 0, 16
	v_cvt_f32_i32_e32 v35, v35
	v_bfe_i32 v36, v36, 0, 16
	;; [unrolled: 2-line block ×3, first 2 shown]
	v_bfe_i32 v77, v77, 0, 16
	v_bfe_i32 v30, v30, 0, 16
	;; [unrolled: 1-line block ×9, first 2 shown]
	v_cvt_f32_i32_e32 v76, v76
	v_bfe_i32 v78, v78, 0, 16
	v_cvt_f32_i32_e32 v33, v33
	v_cvt_f32_i32_e32 v36, v36
	;; [unrolled: 1-line block ×5, first 2 shown]
	v_bfe_i32 v58, v24, 0, 8
	v_lshrrev_b32_e32 v59, 8, v24
	v_bfe_i32 v61, v25, 0, 8
	v_lshrrev_b32_e32 v62, 8, v25
	;; [unrolled: 2-line block ×3, first 2 shown]
	v_bfe_i32 v20, v20, 0, 16
	v_bfe_i32 v21, v21, 0, 16
	;; [unrolled: 1-line block ×3, first 2 shown]
	v_cvt_f32_i32_e32 v34, v34
	v_cvt_f32_i32_e32 v37, v37
	;; [unrolled: 1-line block ×5, first 2 shown]
	v_lshrrev_b32_e32 v60, 16, v24
	v_lshrrev_b32_e32 v63, 16, v25
	;; [unrolled: 1-line block ×3, first 2 shown]
	v_bfe_i32 v59, v59, 0, 8
	v_bfe_i32 v62, v62, 0, 8
	;; [unrolled: 1-line block ×6, first 2 shown]
	v_cvt_f32_i32_e32 v20, v20
	v_cvt_f32_i32_e32 v21, v21
	;; [unrolled: 1-line block ×3, first 2 shown]
	v_lshrrev_b32_e32 v24, 24, v24
	v_lshrrev_b32_e32 v25, 24, v25
	;; [unrolled: 1-line block ×3, first 2 shown]
	v_bfe_i32 v60, v60, 0, 8
	v_bfe_i32 v63, v63, 0, 8
	;; [unrolled: 1-line block ×3, first 2 shown]
	v_cvt_f32_i32_e32 v58, v58
	v_bfe_i32 v59, v59, 0, 16
	v_cvt_f32_i32_e32 v61, v61
	v_bfe_i32 v62, v62, 0, 16
	;; [unrolled: 2-line block ×3, first 2 shown]
	v_bfe_i32 v24, v24, 0, 8
	v_bfe_i32 v25, v25, 0, 8
	;; [unrolled: 1-line block ×6, first 2 shown]
	v_cvt_f32_i32_e32 v59, v59
	v_cvt_f32_i32_e32 v62, v62
	;; [unrolled: 1-line block ×3, first 2 shown]
	v_bfe_i32 v70, v28, 0, 8
	v_lshrrev_b32_e32 v71, 8, v28
	v_bfe_i32 v73, v29, 0, 8
	v_lshrrev_b32_e32 v74, 8, v29
	;; [unrolled: 2-line block ×3, first 2 shown]
	v_bfe_i32 v24, v24, 0, 16
	v_bfe_i32 v25, v25, 0, 16
	;; [unrolled: 1-line block ×3, first 2 shown]
	v_cvt_f32_i32_e32 v60, v60
	v_cvt_f32_i32_e32 v63, v63
	;; [unrolled: 1-line block ×3, first 2 shown]
	v_lshrrev_b32_e32 v72, 16, v28
	v_lshrrev_b32_e32 v75, 16, v29
	;; [unrolled: 1-line block ×3, first 2 shown]
	v_bfe_i32 v71, v71, 0, 8
	v_bfe_i32 v74, v74, 0, 8
	;; [unrolled: 1-line block ×6, first 2 shown]
	v_cvt_f32_i32_e32 v24, v24
	v_cvt_f32_i32_e32 v25, v25
	;; [unrolled: 1-line block ×3, first 2 shown]
	v_lshrrev_b32_e32 v28, 24, v28
	v_lshrrev_b32_e32 v29, 24, v29
	;; [unrolled: 1-line block ×3, first 2 shown]
	v_bfe_i32 v72, v72, 0, 8
	v_bfe_i32 v75, v75, 0, 8
	;; [unrolled: 1-line block ×3, first 2 shown]
	v_cvt_f32_i32_e32 v70, v70
	v_bfe_i32 v71, v71, 0, 16
	v_cvt_f32_i32_e32 v73, v73
	v_bfe_i32 v74, v74, 0, 16
	;; [unrolled: 2-line block ×3, first 2 shown]
	v_bfe_i32 v28, v28, 0, 8
	v_bfe_i32 v29, v29, 0, 8
	;; [unrolled: 1-line block ×6, first 2 shown]
	v_cvt_f32_i32_e32 v71, v71
	v_cvt_f32_i32_e32 v74, v74
	;; [unrolled: 1-line block ×3, first 2 shown]
	v_bfe_i32 v28, v28, 0, 16
	v_bfe_i32 v29, v29, 0, 16
	;; [unrolled: 1-line block ×3, first 2 shown]
	v_cvt_f32_i32_e32 v72, v72
	v_cvt_f32_i32_e32 v75, v75
	;; [unrolled: 1-line block ×6, first 2 shown]
	s_waitcnt vmcnt(3)
	v_bfe_i32 v83, v1, 0, 8
	v_lshrrev_b32_e32 v84, 8, v1
	v_lshrrev_b32_e32 v82, 16, v1
	;; [unrolled: 1-line block ×3, first 2 shown]
	s_waitcnt vmcnt(1)
	v_bfe_i32 v89, v16, 0, 8
	v_bfe_i32 v83, v83, 0, 16
	;; [unrolled: 1-line block ×6, first 2 shown]
	v_cvt_f32_i32_e32 v83, v83
	v_bfe_i32 v84, v84, 0, 16
	v_add_nc_u32_e32 v5, 32, v5
	v_bfe_i32 v82, v82, 0, 16
	v_bfe_i32 v89, v89, 0, 16
	v_fmac_f32_e32 v12, v38, v83
	v_cvt_f32_i32_e32 v38, v84
	v_fmac_f32_e32 v13, v46, v83
	v_bfe_i32 v1, v1, 0, 16
	v_fmac_f32_e32 v14, v42, v83
	v_fmac_f32_e32 v10, v49, v83
	v_cvt_f32_i32_e32 v42, v82
	v_fmac_f32_e32 v13, v47, v38
	v_bfe_i32 v86, v86, 0, 16
	v_cvt_f32_i32_e32 v89, v89
	v_fmac_f32_e32 v10, v50, v38
	v_cvt_f32_i32_e32 v1, v1
	v_fmac_f32_e32 v13, v48, v42
	v_lshrrev_b32_e32 v85, 16, v6
	v_lshrrev_b32_e32 v87, 8, v6
	v_cvt_f32_i32_e32 v86, v86
	s_delay_alu instid0(VALU_DEP_4) | instskip(SKIP_1) | instid1(VALU_DEP_4)
	v_dual_fmac_f32 v12, v39, v38 :: v_dual_fmac_f32 v13, v18, v1
	v_fmac_f32_e32 v10, v51, v42
	v_bfe_i32 v87, v87, 0, 8
	v_bfe_i32 v85, v85, 0, 8
	s_delay_alu instid0(VALU_DEP_4)
	v_fmac_f32_e32 v12, v40, v42
	v_fmac_f32_e32 v13, v52, v86
	;; [unrolled: 1-line block ×4, first 2 shown]
	v_bfe_i32 v87, v87, 0, 16
	v_bfe_i32 v85, v85, 0, 16
	s_waitcnt vmcnt(0)
	v_bfe_i32 v92, v17, 0, 8
	v_fmac_f32_e32 v14, v44, v42
	v_fmac_f32_e32 v12, v41, v1
	v_lshrrev_b32_e32 v6, 24, v6
	v_cvt_f32_i32_e32 v18, v85
	v_bfe_i32 v92, v92, 0, 16
	v_fmac_f32_e32 v14, v45, v1
	v_cvt_f32_i32_e32 v1, v87
	v_bfe_i32 v6, v6, 0, 8
	v_fmac_f32_e32 v12, v32, v86
	v_cvt_f32_i32_e32 v92, v92
	s_delay_alu instid0(VALU_DEP_4) | instskip(SKIP_3) | instid1(VALU_DEP_4)
	v_dual_fmac_f32 v10, v55, v86 :: v_dual_fmac_f32 v13, v53, v1
	v_lshrrev_b32_e32 v90, 8, v16
	v_bfe_i32 v6, v6, 0, 16
	v_fmac_f32_e32 v12, v33, v1
	v_dual_fmac_f32 v10, v56, v1 :: v_dual_fmac_f32 v13, v54, v18
	v_fmac_f32_e32 v14, v35, v86
	v_lshrrev_b32_e32 v88, 16, v16
	v_bfe_i32 v90, v90, 0, 8
	v_fmac_f32_e32 v12, v34, v18
	v_fmac_f32_e32 v10, v57, v18
	;; [unrolled: 1-line block ×3, first 2 shown]
	v_cvt_f32_i32_e32 v1, v6
	v_lshrrev_b32_e32 v16, 24, v16
	v_bfe_i32 v88, v88, 0, 8
	v_bfe_i32 v90, v90, 0, 16
	v_fmac_f32_e32 v14, v37, v18
	v_fmac_f32_e32 v12, v20, v1
	;; [unrolled: 1-line block ×4, first 2 shown]
	v_bfe_i32 v16, v16, 0, 8
	v_fmac_f32_e32 v14, v21, v1
	v_bfe_i32 v88, v88, 0, 16
	v_cvt_f32_i32_e32 v1, v90
	v_fmac_f32_e32 v12, v58, v89
	v_fmac_f32_e32 v13, v64, v89
	v_fmac_f32_e32 v14, v61, v89
	v_fmac_f32_e32 v10, v67, v89
	v_lshrrev_b32_e32 v93, 8, v17
	v_bfe_i32 v16, v16, 0, 16
	v_cvt_f32_i32_e32 v18, v88
	v_fmac_f32_e32 v12, v59, v1
	v_fmac_f32_e32 v14, v62, v1
	v_fmac_f32_e32 v13, v65, v1
	v_fmac_f32_e32 v10, v68, v1
	v_lshrrev_b32_e32 v91, 16, v17
	v_bfe_i32 v93, v93, 0, 8
	v_cvt_f32_i32_e32 v1, v16
	v_fmac_f32_e32 v12, v60, v18
	v_fmac_f32_e32 v14, v63, v18
	v_fmac_f32_e32 v13, v66, v18
	v_fmac_f32_e32 v10, v69, v18
	v_lshrrev_b32_e32 v17, 24, v17
	v_bfe_i32 v91, v91, 0, 8
	v_bfe_i32 v38, v93, 0, 16
	v_fmac_f32_e32 v12, v24, v1
	v_fmac_f32_e32 v14, v25, v1
	;; [unrolled: 1-line block ×4, first 2 shown]
	v_bfe_i32 v17, v17, 0, 8
	v_bfe_i32 v6, v91, 0, 16
	v_cvt_f32_i32_e32 v1, v38
	v_fmac_f32_e32 v12, v70, v92
	v_fmac_f32_e32 v14, v73, v92
	;; [unrolled: 1-line block ×4, first 2 shown]
	v_bfe_i32 v16, v17, 0, 16
	v_cvt_f32_i32_e32 v6, v6
	v_fmac_f32_e32 v12, v71, v1
	v_fmac_f32_e32 v14, v74, v1
	;; [unrolled: 1-line block ×4, first 2 shown]
	v_cvt_f32_i32_e32 v1, v16
	v_fmac_f32_e32 v12, v72, v6
	v_fmac_f32_e32 v14, v75, v6
	;; [unrolled: 1-line block ×4, first 2 shown]
	v_cmp_ge_i32_e32 vcc_lo, v5, v11
	v_fmac_f32_e32 v12, v28, v1
	v_fmac_f32_e32 v14, v29, v1
	;; [unrolled: 1-line block ×4, first 2 shown]
	s_or_b32 s14, vcc_lo, s14
	s_delay_alu instid0(SALU_CYCLE_1)
	s_and_not1_b32 exec_lo, exec_lo, s14
	s_cbranch_execnz .LBB76_21
; %bb.22:
	s_or_b32 exec_lo, exec_lo, s14
.LBB76_23:
	s_delay_alu instid0(SALU_CYCLE_1)
	s_or_b32 exec_lo, exec_lo, s13
.LBB76_24:
	s_delay_alu instid0(SALU_CYCLE_1) | instskip(NEXT) | instid1(SALU_CYCLE_1)
	s_or_b32 exec_lo, exec_lo, s11
	s_and_not1_b32 vcc_lo, exec_lo, s10
	s_cbranch_vccz .LBB76_26
	s_branch .LBB76_37
.LBB76_25:
                                        ; implicit-def: $vgpr10
                                        ; implicit-def: $vgpr13
                                        ; implicit-def: $vgpr14
                                        ; implicit-def: $vgpr12
.LBB76_26:
	v_dual_mov_b32 v10, 0 :: v_dual_mov_b32 v13, 0
	v_mov_b32_e32 v14, 0
	v_mov_b32_e32 v12, 0
	s_and_saveexec_b32 s5, s2
	s_cbranch_execz .LBB76_36
; %bb.27:
	v_dual_mov_b32 v12, 0 :: v_dual_add_nc_u32 v1, v15, v9
	v_not_b32_e32 v5, v15
	v_mov_b32_e32 v13, 0
	s_mov_b32 s3, 0
	s_delay_alu instid0(VALU_DEP_3) | instskip(SKIP_2) | instid1(VALU_DEP_2)
	v_subrev_nc_u32_e32 v1, s18, v1
	s_mov_b32 s2, exec_lo
	v_mov_b32_e32 v14, 0
	v_dual_mov_b32 v10, 0 :: v_dual_add_nc_u32 v1, 8, v1
	s_delay_alu instid0(VALU_DEP_1) | instskip(NEXT) | instid1(VALU_DEP_1)
	v_max_i32_e32 v1, v1, v11
	v_add3_u32 v1, v1, s18, v5
	s_delay_alu instid0(VALU_DEP_1) | instskip(NEXT) | instid1(VALU_DEP_1)
	v_sub_nc_u32_e32 v5, v1, v9
	v_lshrrev_b32_e32 v1, 3, v5
	s_delay_alu instid0(VALU_DEP_1) | instskip(NEXT) | instid1(VALU_DEP_1)
	v_add_nc_u32_e32 v1, 1, v1
	v_and_b32_e32 v1, 3, v1
	s_delay_alu instid0(VALU_DEP_1)
	v_cmpx_ne_u32_e32 0, v1
	s_cbranch_execz .LBB76_31
; %bb.28:
	v_dual_mov_b32 v13, 0 :: v_dual_lshlrev_b32 v6, 4, v1
	v_mov_b32_e32 v10, 0
	v_mov_b32_e32 v14, 0
	;; [unrolled: 1-line block ×3, first 2 shown]
.LBB76_29:                              ; =>This Inner Loop Header: Depth=1
	v_ashrrev_i32_e32 v1, 31, v0
	s_delay_alu instid0(VALU_DEP_1) | instskip(NEXT) | instid1(VALU_DEP_1)
	v_lshlrev_b64 v[7:8], 2, v[0:1]
	v_add_co_u32 v7, vcc_lo, s8, v7
	s_delay_alu instid0(VALU_DEP_2)
	v_add_co_ci_u32_e32 v8, vcc_lo, s9, v8, vcc_lo
	global_load_b32 v1, v[7:8], off
	global_load_b128 v[15:18], v[2:3], off
	s_waitcnt vmcnt(1)
	v_subrev_nc_u32_e32 v1, s18, v1
	s_waitcnt vmcnt(0)
	v_bfe_i32 v20, v16, 0, 8
	v_lshrrev_b32_e32 v19, 16, v15
	v_lshrrev_b32_e32 v22, 16, v16
	;; [unrolled: 1-line block ×4, first 2 shown]
	v_bfe_i32 v20, v20, 0, 16
	v_bfe_i32 v19, v19, 0, 8
	v_lshrrev_b32_e32 v16, 24, v16
	v_bfe_i32 v22, v22, 0, 8
	v_bfe_i32 v25, v25, 0, 8
	v_cvt_f32_i32_e32 v20, v20
	v_lshlrev_b32_e32 v1, 2, v1
	v_bfe_i32 v19, v19, 0, 16
	v_bfe_i32 v23, v17, 0, 8
	v_lshrrev_b32_e32 v24, 8, v17
	v_lshrrev_b32_e32 v17, 24, v17
	v_ashrrev_i32_e32 v8, 31, v1
	s_waitcnt lgkmcnt(0)
	v_add_co_u32 v7, vcc_lo, s6, v1
	v_lshrrev_b32_e32 v28, 16, v18
	v_bfe_i32 v21, v21, 0, 8
	v_add_co_ci_u32_e32 v8, vcc_lo, s7, v8, vcc_lo
	v_bfe_i32 v16, v16, 0, 8
	v_bfe_i32 v22, v22, 0, 16
	v_bfe_i32 v25, v25, 0, 16
	global_load_b32 v1, v[7:8], off
	v_lshrrev_b32_e32 v8, 8, v15
	v_bfe_i32 v7, v15, 0, 8
	v_lshrrev_b32_e32 v15, 24, v15
	v_cvt_f32_i32_e32 v19, v19
	v_bfe_i32 v26, v18, 0, 8
	v_bfe_i32 v8, v8, 0, 8
	;; [unrolled: 1-line block ×4, first 2 shown]
	v_lshrrev_b32_e32 v27, 8, v18
	v_lshrrev_b32_e32 v18, 24, v18
	v_bfe_i32 v8, v8, 0, 16
	v_cvt_f32_i32_e32 v7, v7
	v_bfe_i32 v15, v15, 0, 16
	v_bfe_i32 v24, v24, 0, 8
	;; [unrolled: 1-line block ×3, first 2 shown]
	v_cvt_f32_i32_e32 v8, v8
	v_bfe_i32 v28, v28, 0, 8
	v_bfe_i32 v21, v21, 0, 16
	;; [unrolled: 1-line block ×3, first 2 shown]
	v_cvt_f32_i32_e32 v15, v15
	v_cvt_f32_i32_e32 v22, v22
	;; [unrolled: 1-line block ×3, first 2 shown]
	v_bfe_i32 v27, v27, 0, 8
	v_bfe_i32 v18, v18, 0, 8
	;; [unrolled: 1-line block ×6, first 2 shown]
	v_cvt_f32_i32_e32 v21, v21
	v_cvt_f32_i32_e32 v16, v16
	v_bfe_i32 v26, v26, 0, 16
	v_cvt_f32_i32_e32 v23, v23
	v_bfe_i32 v27, v27, 0, 16
	v_bfe_i32 v18, v18, 0, 16
	v_cvt_f32_i32_e32 v24, v24
	v_cvt_f32_i32_e32 v17, v17
	;; [unrolled: 1-line block ×3, first 2 shown]
	v_add_co_u32 v2, vcc_lo, 0x80, v2
	v_cvt_f32_i32_e32 v26, v26
	v_cvt_f32_i32_e32 v27, v27
	v_cvt_f32_i32_e32 v18, v18
	v_add_co_ci_u32_e32 v3, vcc_lo, 0, v3, vcc_lo
	s_waitcnt vmcnt(0)
	v_bfe_i32 v29, v1, 0, 8
	v_lshrrev_b32_e32 v30, 8, v1
	v_lshrrev_b32_e32 v31, 16, v1
	;; [unrolled: 1-line block ×3, first 2 shown]
	s_delay_alu instid0(VALU_DEP_4) | instskip(NEXT) | instid1(VALU_DEP_4)
	v_bfe_i32 v29, v29, 0, 16
	v_bfe_i32 v30, v30, 0, 8
	s_delay_alu instid0(VALU_DEP_4) | instskip(NEXT) | instid1(VALU_DEP_4)
	v_bfe_i32 v31, v31, 0, 8
	v_bfe_i32 v1, v1, 0, 8
	s_delay_alu instid0(VALU_DEP_4) | instskip(NEXT) | instid1(VALU_DEP_4)
	v_cvt_f32_i32_e32 v29, v29
	v_bfe_i32 v30, v30, 0, 16
	s_delay_alu instid0(VALU_DEP_4)
	v_bfe_i32 v31, v31, 0, 16
	v_add_nc_u32_e32 v6, -16, v6
	v_bfe_i32 v1, v1, 0, 16
	v_fmac_f32_e32 v13, v19, v29
	v_fmac_f32_e32 v14, v8, v29
	v_cvt_f32_i32_e32 v8, v31
	v_fmac_f32_e32 v12, v7, v29
	v_cvt_f32_i32_e32 v7, v30
	v_add_nc_u32_e32 v0, 8, v0
	v_fmac_f32_e32 v10, v15, v29
	v_cvt_f32_i32_e32 v1, v1
	v_cmp_eq_u32_e32 vcc_lo, 0, v6
	v_fmac_f32_e32 v13, v22, v7
	s_delay_alu instid0(VALU_DEP_4) | instskip(SKIP_1) | instid1(VALU_DEP_2)
	v_fmac_f32_e32 v10, v16, v7
	s_or_b32 s3, vcc_lo, s3
	v_dual_fmac_f32 v13, v25, v8 :: v_dual_fmac_f32 v12, v20, v7
	v_fmac_f32_e32 v14, v21, v7
	s_delay_alu instid0(VALU_DEP_2) | instskip(NEXT) | instid1(VALU_DEP_3)
	v_dual_fmac_f32 v10, v17, v8 :: v_dual_fmac_f32 v13, v28, v1
	v_fmac_f32_e32 v12, v23, v8
	s_delay_alu instid0(VALU_DEP_3) | instskip(NEXT) | instid1(VALU_DEP_3)
	v_fmac_f32_e32 v14, v24, v8
	v_fmac_f32_e32 v10, v18, v1
	s_delay_alu instid0(VALU_DEP_3) | instskip(NEXT) | instid1(VALU_DEP_3)
	v_fmac_f32_e32 v12, v26, v1
	v_fmac_f32_e32 v14, v27, v1
	s_and_not1_b32 exec_lo, exec_lo, s3
	s_cbranch_execnz .LBB76_29
; %bb.30:
	s_or_b32 exec_lo, exec_lo, s3
.LBB76_31:
	s_delay_alu instid0(SALU_CYCLE_1) | instskip(NEXT) | instid1(SALU_CYCLE_1)
	s_or_b32 exec_lo, exec_lo, s2
	s_mov_b32 s10, exec_lo
	v_cmpx_lt_u32_e32 23, v5
	s_cbranch_execz .LBB76_35
; %bb.32:
	s_mov_b32 s11, 0
.LBB76_33:                              ; =>This Inner Loop Header: Depth=1
	v_ashrrev_i32_e32 v1, 31, v0
	s_delay_alu instid0(VALU_DEP_1) | instskip(NEXT) | instid1(VALU_DEP_1)
	v_lshlrev_b64 v[5:6], 2, v[0:1]
	v_add_co_u32 v5, vcc_lo, s8, v5
	s_delay_alu instid0(VALU_DEP_2)
	v_add_co_ci_u32_e32 v6, vcc_lo, s9, v6, vcc_lo
	s_clause 0x3
	global_load_b32 v1, v[5:6], off
	global_load_b32 v27, v[5:6], off offset:32
	global_load_b32 v28, v[5:6], off offset:64
	global_load_b32 v29, v[5:6], off offset:96
	s_clause 0x3
	global_load_b128 v[5:8], v[2:3], off
	global_load_b128 v[15:18], v[2:3], off offset:128
	global_load_b128 v[19:22], v[2:3], off offset:256
	;; [unrolled: 1-line block ×3, first 2 shown]
	v_add_co_u32 v2, vcc_lo, 0x200, v2
	v_add_co_ci_u32_e32 v3, vcc_lo, 0, v3, vcc_lo
	s_waitcnt vmcnt(7)
	v_subrev_nc_u32_e32 v1, s18, v1
	s_waitcnt vmcnt(3)
	v_lshrrev_b32_e32 v34, 8, v5
	v_lshrrev_b32_e32 v39, 16, v6
	;; [unrolled: 1-line block ×3, first 2 shown]
	v_bfe_i32 v33, v5, 0, 8
	v_lshrrev_b32_e32 v35, 16, v5
	v_bfe_i32 v34, v34, 0, 8
	v_bfe_i32 v39, v39, 0, 8
	;; [unrolled: 1-line block ×4, first 2 shown]
	v_lshrrev_b32_e32 v36, 24, v5
	v_subrev_nc_u32_e32 v5, s18, v27
	v_bfe_i32 v34, v34, 0, 16
	v_bfe_i32 v37, v6, 0, 8
	v_lshrrev_b32_e32 v38, 8, v6
	v_lshrrev_b32_e32 v40, 24, v6
	v_subrev_nc_u32_e32 v6, s18, v28
	v_bfe_i32 v39, v39, 0, 16
	v_subrev_nc_u32_e32 v27, s18, v29
	v_bfe_i32 v43, v43, 0, 16
	v_cvt_f32_i32_e32 v33, v33
	v_lshlrev_b32_e32 v1, 2, v1
	v_cvt_f32_i32_e32 v34, v34
	v_lshlrev_b32_e32 v5, 2, v5
	;; [unrolled: 2-line block ×4, first 2 shown]
	v_ashrrev_i32_e32 v30, 31, v1
	v_ashrrev_i32_e32 v47, 31, v5
	;; [unrolled: 1-line block ×3, first 2 shown]
	s_waitcnt lgkmcnt(0)
	v_add_co_u32 v31, s4, s6, v1
	v_ashrrev_i32_e32 v49, 31, v28
	v_add_co_u32 v5, vcc_lo, s6, v5
	v_add_co_u32 v27, s2, s6, v6
	v_add_co_ci_u32_e64 v32, s4, s7, v30, s4
	v_add_co_u32 v29, s3, s6, v28
	v_add_co_ci_u32_e32 v6, vcc_lo, s7, v47, vcc_lo
	v_add_co_ci_u32_e64 v28, vcc_lo, s7, v48, s2
	v_add_co_ci_u32_e64 v30, vcc_lo, s7, v49, s3
	s_clause 0x3
	global_load_b32 v1, v[31:32], off
	global_load_b32 v5, v[5:6], off
	;; [unrolled: 1-line block ×4, first 2 shown]
	v_bfe_i32 v35, v35, 0, 8
	v_lshrrev_b32_e32 v46, 16, v8
	v_bfe_i32 v36, v36, 0, 8
	v_bfe_i32 v41, v7, 0, 8
	v_lshrrev_b32_e32 v42, 8, v7
	v_bfe_i32 v35, v35, 0, 16
	v_lshrrev_b32_e32 v7, 24, v7
	s_waitcnt vmcnt(6)
	v_lshrrev_b32_e32 v30, 16, v15
	v_lshrrev_b32_e32 v50, 16, v17
	s_waitcnt vmcnt(4)
	v_lshrrev_b32_e32 v68, 16, v23
	v_cvt_f32_i32_e32 v35, v35
	v_bfe_i32 v38, v38, 0, 8
	v_bfe_i32 v40, v40, 0, 8
	;; [unrolled: 1-line block ×5, first 2 shown]
	v_lshrrev_b32_e32 v45, 8, v8
	v_lshrrev_b32_e32 v8, 24, v8
	;; [unrolled: 1-line block ×5, first 2 shown]
	v_bfe_i32 v42, v42, 0, 8
	v_bfe_i32 v7, v7, 0, 8
	;; [unrolled: 1-line block ×9, first 2 shown]
	v_cvt_f32_i32_e32 v36, v36
	v_bfe_i32 v28, v15, 0, 8
	v_lshrrev_b32_e32 v29, 8, v15
	v_lshrrev_b32_e32 v15, 24, v15
	v_lshrrev_b32_e32 v62, 16, v21
	v_bfe_i32 v45, v45, 0, 8
	v_bfe_i32 v8, v8, 0, 8
	;; [unrolled: 1-line block ×6, first 2 shown]
	v_cvt_f32_i32_e32 v37, v37
	v_bfe_i32 v42, v42, 0, 16
	v_bfe_i32 v7, v7, 0, 16
	;; [unrolled: 1-line block ×5, first 2 shown]
	v_cvt_f32_i32_e32 v38, v38
	v_cvt_f32_i32_e32 v40, v40
	;; [unrolled: 1-line block ×3, first 2 shown]
	v_bfe_i32 v31, v16, 0, 8
	v_lshrrev_b32_e32 v32, 8, v16
	v_lshrrev_b32_e32 v16, 24, v16
	;; [unrolled: 1-line block ×5, first 2 shown]
	v_bfe_i32 v44, v44, 0, 16
	v_bfe_i32 v29, v29, 0, 8
	;; [unrolled: 1-line block ×4, first 2 shown]
	v_cvt_f32_i32_e32 v41, v41
	v_bfe_i32 v45, v45, 0, 16
	v_bfe_i32 v8, v8, 0, 16
	v_bfe_i32 v47, v47, 0, 16
	v_bfe_i32 v53, v53, 0, 16
	v_bfe_i32 v56, v56, 0, 16
	v_cvt_f32_i32_e32 v42, v42
	v_cvt_f32_i32_e32 v7, v7
	;; [unrolled: 1-line block ×5, first 2 shown]
	v_bfe_i32 v48, v17, 0, 8
	v_lshrrev_b32_e32 v49, 8, v17
	v_lshrrev_b32_e32 v17, 24, v17
	v_bfe_i32 v32, v32, 0, 8
	v_bfe_i32 v16, v16, 0, 8
	;; [unrolled: 1-line block ×6, first 2 shown]
	v_cvt_f32_i32_e32 v44, v44
	v_bfe_i32 v29, v29, 0, 16
	v_bfe_i32 v15, v15, 0, 16
	;; [unrolled: 1-line block ×3, first 2 shown]
	v_cvt_f32_i32_e32 v45, v45
	v_cvt_f32_i32_e32 v8, v8
	;; [unrolled: 1-line block ×5, first 2 shown]
	v_bfe_i32 v51, v18, 0, 8
	v_lshrrev_b32_e32 v52, 8, v18
	v_lshrrev_b32_e32 v18, 24, v18
	;; [unrolled: 1-line block ×3, first 2 shown]
	v_bfe_i32 v49, v49, 0, 8
	v_bfe_i32 v17, v17, 0, 8
	;; [unrolled: 1-line block ×3, first 2 shown]
	v_cvt_f32_i32_e32 v28, v28
	v_bfe_i32 v32, v32, 0, 16
	v_bfe_i32 v16, v16, 0, 16
	;; [unrolled: 1-line block ×5, first 2 shown]
	v_cvt_f32_i32_e32 v29, v29
	v_cvt_f32_i32_e32 v15, v15
	;; [unrolled: 1-line block ×3, first 2 shown]
	v_bfe_i32 v54, v19, 0, 8
	v_lshrrev_b32_e32 v55, 8, v19
	v_lshrrev_b32_e32 v19, 24, v19
	v_bfe_i32 v52, v52, 0, 8
	v_bfe_i32 v18, v18, 0, 8
	;; [unrolled: 1-line block ×4, first 2 shown]
	v_cvt_f32_i32_e32 v31, v31
	v_bfe_i32 v49, v49, 0, 16
	v_bfe_i32 v17, v17, 0, 16
	v_cvt_f32_i32_e32 v32, v32
	v_cvt_f32_i32_e32 v16, v16
	;; [unrolled: 1-line block ×5, first 2 shown]
	v_bfe_i32 v57, v20, 0, 8
	v_lshrrev_b32_e32 v58, 8, v20
	v_lshrrev_b32_e32 v20, 24, v20
	v_bfe_i32 v51, v51, 0, 16
	v_bfe_i32 v55, v55, 0, 8
	;; [unrolled: 1-line block ×3, first 2 shown]
	v_cvt_f32_i32_e32 v48, v48
	v_bfe_i32 v52, v52, 0, 16
	v_bfe_i32 v18, v18, 0, 16
	;; [unrolled: 1-line block ×3, first 2 shown]
	v_cvt_f32_i32_e32 v49, v49
	v_cvt_f32_i32_e32 v17, v17
	v_bfe_i32 v60, v21, 0, 8
	v_lshrrev_b32_e32 v61, 8, v21
	v_lshrrev_b32_e32 v21, 24, v21
	v_bfe_i32 v58, v58, 0, 8
	v_bfe_i32 v20, v20, 0, 8
	;; [unrolled: 1-line block ×3, first 2 shown]
	v_cvt_f32_i32_e32 v51, v51
	v_bfe_i32 v55, v55, 0, 16
	v_bfe_i32 v19, v19, 0, 16
	v_cvt_f32_i32_e32 v52, v52
	v_cvt_f32_i32_e32 v18, v18
	v_cvt_f32_i32_e32 v74, v74
	v_bfe_i32 v63, v22, 0, 8
	v_lshrrev_b32_e32 v64, 8, v22
	v_lshrrev_b32_e32 v22, 24, v22
	;; [unrolled: 1-line block ×3, first 2 shown]
	v_bfe_i32 v61, v61, 0, 8
	v_bfe_i32 v21, v21, 0, 8
	;; [unrolled: 1-line block ×3, first 2 shown]
	v_cvt_f32_i32_e32 v54, v54
	v_bfe_i32 v58, v58, 0, 16
	v_bfe_i32 v20, v20, 0, 16
	v_cvt_f32_i32_e32 v55, v55
	v_cvt_f32_i32_e32 v19, v19
	v_bfe_i32 v66, v23, 0, 8
	v_lshrrev_b32_e32 v67, 8, v23
	v_lshrrev_b32_e32 v23, 24, v23
	v_bfe_i32 v64, v64, 0, 8
	v_bfe_i32 v22, v22, 0, 8
	v_bfe_i32 v60, v60, 0, 16
	v_bfe_i32 v77, v77, 0, 8
	v_cvt_f32_i32_e32 v57, v57
	v_bfe_i32 v61, v61, 0, 16
	v_bfe_i32 v21, v21, 0, 16
	v_cvt_f32_i32_e32 v58, v58
	v_cvt_f32_i32_e32 v20, v20
	v_bfe_i32 v69, v24, 0, 8
	v_lshrrev_b32_e32 v70, 8, v24
	v_lshrrev_b32_e32 v24, 24, v24
	v_bfe_i32 v63, v63, 0, 16
	v_bfe_i32 v67, v67, 0, 8
	;; [unrolled: 1-line block ×3, first 2 shown]
	v_cvt_f32_i32_e32 v60, v60
	v_bfe_i32 v64, v64, 0, 16
	v_bfe_i32 v22, v22, 0, 16
	v_bfe_i32 v77, v77, 0, 16
	v_cvt_f32_i32_e32 v61, v61
	v_cvt_f32_i32_e32 v21, v21
	v_bfe_i32 v72, v25, 0, 8
	v_lshrrev_b32_e32 v73, 8, v25
	v_lshrrev_b32_e32 v25, 24, v25
	v_bfe_i32 v70, v70, 0, 8
	v_bfe_i32 v24, v24, 0, 8
	;; [unrolled: 1-line block ×3, first 2 shown]
	v_cvt_f32_i32_e32 v63, v63
	v_bfe_i32 v67, v67, 0, 16
	v_bfe_i32 v23, v23, 0, 16
	v_cvt_f32_i32_e32 v64, v64
	v_cvt_f32_i32_e32 v22, v22
	;; [unrolled: 1-line block ×3, first 2 shown]
	v_bfe_i32 v75, v26, 0, 8
	v_lshrrev_b32_e32 v76, 8, v26
	v_lshrrev_b32_e32 v26, 24, v26
	v_bfe_i32 v73, v73, 0, 8
	v_bfe_i32 v25, v25, 0, 8
	v_bfe_i32 v69, v69, 0, 16
	v_cvt_f32_i32_e32 v66, v66
	v_bfe_i32 v70, v70, 0, 16
	v_bfe_i32 v24, v24, 0, 16
	v_cvt_f32_i32_e32 v67, v67
	v_cvt_f32_i32_e32 v23, v23
	v_bfe_i32 v76, v76, 0, 8
	v_bfe_i32 v26, v26, 0, 8
	;; [unrolled: 1-line block ×3, first 2 shown]
	v_cvt_f32_i32_e32 v69, v69
	v_bfe_i32 v73, v73, 0, 16
	v_bfe_i32 v25, v25, 0, 16
	v_cvt_f32_i32_e32 v70, v70
	v_cvt_f32_i32_e32 v24, v24
	v_bfe_i32 v75, v75, 0, 16
	v_cvt_f32_i32_e32 v72, v72
	v_bfe_i32 v76, v76, 0, 16
	v_bfe_i32 v26, v26, 0, 16
	v_cvt_f32_i32_e32 v73, v73
	v_cvt_f32_i32_e32 v25, v25
	;; [unrolled: 1-line block ×5, first 2 shown]
	s_waitcnt vmcnt(3)
	v_bfe_i32 v79, v1, 0, 8
	v_lshrrev_b32_e32 v80, 8, v1
	v_lshrrev_b32_e32 v78, 16, v1
	v_lshrrev_b32_e32 v1, 24, v1
	s_waitcnt vmcnt(2)
	v_bfe_i32 v82, v5, 0, 8
	v_bfe_i32 v79, v79, 0, 16
	;; [unrolled: 1-line block ×5, first 2 shown]
	s_waitcnt vmcnt(0)
	v_bfe_i32 v88, v27, 0, 8
	v_cvt_f32_i32_e32 v79, v79
	v_bfe_i32 v80, v80, 0, 16
	v_add_nc_u32_e32 v0, 32, v0
	v_bfe_i32 v78, v78, 0, 16
	v_bfe_i32 v1, v1, 0, 16
	v_fmac_f32_e32 v13, v35, v79
	v_fmac_f32_e32 v12, v33, v79
	v_cvt_f32_i32_e32 v33, v80
	v_fmac_f32_e32 v14, v34, v79
	v_cvt_f32_i32_e32 v34, v78
	v_bfe_i32 v85, v6, 0, 8
	v_bfe_i32 v82, v82, 0, 16
	v_fmac_f32_e32 v13, v39, v33
	v_bfe_i32 v88, v88, 0, 16
	v_cvt_f32_i32_e32 v1, v1
	v_lshrrev_b32_e32 v83, 8, v5
	v_bfe_i32 v85, v85, 0, 16
	v_dual_fmac_f32 v13, v43, v34 :: v_dual_fmac_f32 v10, v36, v79
	v_cvt_f32_i32_e32 v82, v82
	v_cvt_f32_i32_e32 v88, v88
	v_fmac_f32_e32 v14, v38, v33
	s_delay_alu instid0(VALU_DEP_4)
	v_fmac_f32_e32 v13, v46, v1
	v_fmac_f32_e32 v12, v37, v33
	;; [unrolled: 1-line block ×3, first 2 shown]
	v_lshrrev_b32_e32 v81, 16, v5
	v_lshrrev_b32_e32 v5, 24, v5
	v_bfe_i32 v83, v83, 0, 8
	v_cvt_f32_i32_e32 v85, v85
	v_fmac_f32_e32 v14, v42, v34
	v_fmac_f32_e32 v10, v7, v34
	;; [unrolled: 1-line block ×4, first 2 shown]
	v_lshrrev_b32_e32 v87, 16, v27
	v_bfe_i32 v81, v81, 0, 8
	v_bfe_i32 v5, v5, 0, 8
	;; [unrolled: 1-line block ×3, first 2 shown]
	v_fmac_f32_e32 v12, v44, v1
	v_fmac_f32_e32 v14, v45, v1
	;; [unrolled: 1-line block ×3, first 2 shown]
	v_bfe_i32 v87, v87, 0, 8
	v_bfe_i32 v81, v81, 0, 16
	;; [unrolled: 1-line block ×3, first 2 shown]
	v_cvt_f32_i32_e32 v1, v83
	v_fmac_f32_e32 v12, v28, v82
	v_fmac_f32_e32 v14, v29, v82
	;; [unrolled: 1-line block ×3, first 2 shown]
	v_lshrrev_b32_e32 v86, 8, v6
	v_cvt_f32_i32_e32 v8, v81
	v_fmac_f32_e32 v12, v31, v1
	v_fmac_f32_e32 v14, v32, v1
	;; [unrolled: 1-line block ×4, first 2 shown]
	v_cvt_f32_i32_e32 v1, v5
	v_bfe_i32 v5, v87, 0, 16
	v_lshrrev_b32_e32 v84, 16, v6
	v_bfe_i32 v86, v86, 0, 8
	v_fmac_f32_e32 v14, v49, v8
	v_fmac_f32_e32 v13, v50, v8
	;; [unrolled: 1-line block ×3, first 2 shown]
	v_cvt_f32_i32_e32 v5, v5
	v_fmac_f32_e32 v12, v48, v8
	v_lshrrev_b32_e32 v6, 24, v6
	v_bfe_i32 v84, v84, 0, 8
	v_bfe_i32 v86, v86, 0, 16
	v_fmac_f32_e32 v14, v52, v1
	v_fmac_f32_e32 v12, v51, v1
	;; [unrolled: 1-line block ×4, first 2 shown]
	v_bfe_i32 v6, v6, 0, 8
	v_bfe_i32 v84, v84, 0, 16
	v_cvt_f32_i32_e32 v1, v86
	v_fmac_f32_e32 v12, v54, v85
	v_fmac_f32_e32 v14, v55, v85
	;; [unrolled: 1-line block ×4, first 2 shown]
	v_lshrrev_b32_e32 v89, 8, v27
	v_bfe_i32 v6, v6, 0, 16
	v_cvt_f32_i32_e32 v8, v84
	v_fmac_f32_e32 v12, v57, v1
	v_fmac_f32_e32 v14, v58, v1
	;; [unrolled: 1-line block ×4, first 2 shown]
	v_bfe_i32 v89, v89, 0, 8
	v_cvt_f32_i32_e32 v1, v6
	v_fmac_f32_e32 v12, v60, v8
	v_fmac_f32_e32 v14, v61, v8
	;; [unrolled: 1-line block ×4, first 2 shown]
	v_lshrrev_b32_e32 v27, 24, v27
	v_bfe_i32 v7, v89, 0, 16
	v_fmac_f32_e32 v12, v63, v1
	v_fmac_f32_e32 v14, v64, v1
	;; [unrolled: 1-line block ×4, first 2 shown]
	v_bfe_i32 v27, v27, 0, 8
	v_cvt_f32_i32_e32 v1, v7
	v_fmac_f32_e32 v12, v66, v88
	v_fmac_f32_e32 v14, v67, v88
	;; [unrolled: 1-line block ×4, first 2 shown]
	v_bfe_i32 v6, v27, 0, 16
	v_fmac_f32_e32 v12, v69, v1
	v_fmac_f32_e32 v14, v70, v1
	;; [unrolled: 1-line block ×4, first 2 shown]
	v_cvt_f32_i32_e32 v1, v6
	v_fmac_f32_e32 v12, v72, v5
	v_fmac_f32_e32 v14, v73, v5
	;; [unrolled: 1-line block ×4, first 2 shown]
	v_cmp_ge_i32_e32 vcc_lo, v0, v11
	v_fmac_f32_e32 v12, v75, v1
	v_fmac_f32_e32 v14, v76, v1
	;; [unrolled: 1-line block ×4, first 2 shown]
	s_or_b32 s11, vcc_lo, s11
	s_delay_alu instid0(SALU_CYCLE_1)
	s_and_not1_b32 exec_lo, exec_lo, s11
	s_cbranch_execnz .LBB76_33
; %bb.34:
	s_or_b32 exec_lo, exec_lo, s11
.LBB76_35:
	s_delay_alu instid0(SALU_CYCLE_1)
	s_or_b32 exec_lo, exec_lo, s10
.LBB76_36:
	s_delay_alu instid0(SALU_CYCLE_1)
	s_or_b32 exec_lo, exec_lo, s5
.LBB76_37:
	v_mbcnt_lo_u32_b32 v0, -1, 0
	s_mov_b32 s2, -1
	s_delay_alu instid0(VALU_DEP_1) | instskip(SKIP_2) | instid1(VALU_DEP_3)
	v_xor_b32_e32 v1, 4, v0
	v_xor_b32_e32 v6, 2, v0
	v_xor_b32_e32 v11, 1, v0
	v_cmp_gt_i32_e32 vcc_lo, 32, v1
	v_cndmask_b32_e32 v1, v0, v1, vcc_lo
	s_delay_alu instid0(VALU_DEP_4) | instskip(SKIP_2) | instid1(VALU_DEP_2)
	v_cmp_gt_i32_e32 vcc_lo, 32, v6
	v_cndmask_b32_e32 v6, v0, v6, vcc_lo
	v_cmp_gt_i32_e32 vcc_lo, 32, v11
	v_lshlrev_b32_e32 v6, 2, v6
	v_dual_cndmask_b32 v0, v0, v11 :: v_dual_lshlrev_b32 v1, 2, v1
	v_cmp_eq_u32_e32 vcc_lo, 7, v9
	ds_bpermute_b32 v2, v1, v12
	s_waitcnt lgkmcnt(0)
	v_add_f32_e32 v2, v12, v2
	ds_bpermute_b32 v5, v1, v13
	ds_bpermute_b32 v3, v1, v14
	;; [unrolled: 1-line block ×3, first 2 shown]
	s_waitcnt lgkmcnt(2)
	v_add_f32_e32 v5, v13, v5
	s_waitcnt lgkmcnt(1)
	v_add_f32_e32 v3, v14, v3
	;; [unrolled: 2-line block ×3, first 2 shown]
	ds_bpermute_b32 v1, v6, v2
	v_lshlrev_b32_e32 v11, 2, v0
	ds_bpermute_b32 v10, v6, v5
	ds_bpermute_b32 v8, v6, v3
	s_waitcnt lgkmcnt(2)
	v_add_f32_e32 v0, v2, v1
	s_waitcnt lgkmcnt(1)
	v_add_f32_e32 v2, v5, v10
	ds_bpermute_b32 v6, v6, v7
	s_waitcnt lgkmcnt(1)
	v_add_f32_e32 v1, v3, v8
	ds_bpermute_b32 v5, v11, v0
	;; [unrolled: 3-line block ×3, first 2 shown]
	ds_bpermute_b32 v7, v11, v2
	ds_bpermute_b32 v8, v11, v3
	s_and_b32 exec_lo, exec_lo, vcc_lo
	s_cbranch_execz .LBB76_10
; %bb.38:
	s_load_b64 s[0:1], s[0:1], 0x50
	s_waitcnt lgkmcnt(0)
	v_dual_add_f32 v0, v0, v5 :: v_dual_add_f32 v1, v1, v6
	v_dual_add_f32 v2, v2, v7 :: v_dual_add_f32 v3, v3, v8
	v_cmp_eq_f32_e64 s3, s12, 0
	s_delay_alu instid0(VALU_DEP_3) | instskip(NEXT) | instid1(VALU_DEP_3)
	v_dual_mul_f32 v0, s16, v0 :: v_dual_mul_f32 v1, s16, v1
	v_dual_mul_f32 v2, s16, v2 :: v_dual_mul_f32 v3, s16, v3
	v_lshlrev_b32_e32 v4, 2, v4
	s_delay_alu instid0(VALU_DEP_4)
	s_and_b32 vcc_lo, exec_lo, s3
	s_cbranch_vccz .LBB76_40
; %bb.39:
	s_delay_alu instid0(VALU_DEP_1) | instskip(SKIP_1) | instid1(VALU_DEP_1)
	v_ashrrev_i32_e32 v5, 31, v4
	s_mov_b32 s2, 0
	v_lshlrev_b64 v[5:6], 2, v[4:5]
	s_delay_alu instid0(VALU_DEP_1) | instskip(NEXT) | instid1(VALU_DEP_2)
	v_add_co_u32 v5, vcc_lo, s0, v5
	v_add_co_ci_u32_e32 v6, vcc_lo, s1, v6, vcc_lo
	global_store_b128 v[5:6], v[0:3], off
.LBB76_40:
	s_and_not1_b32 vcc_lo, exec_lo, s2
	s_cbranch_vccnz .LBB76_10
; %bb.41:
	v_ashrrev_i32_e32 v5, 31, v4
	s_delay_alu instid0(VALU_DEP_1) | instskip(NEXT) | instid1(VALU_DEP_1)
	v_lshlrev_b64 v[4:5], 2, v[4:5]
	v_add_co_u32 v8, vcc_lo, s0, v4
	s_delay_alu instid0(VALU_DEP_2)
	v_add_co_ci_u32_e32 v9, vcc_lo, s1, v5, vcc_lo
	global_load_b128 v[4:7], v[8:9], off
	s_waitcnt vmcnt(0)
	v_dual_fmac_f32 v0, s12, v4 :: v_dual_fmac_f32 v1, s12, v5
	v_dual_fmac_f32 v2, s12, v6 :: v_dual_fmac_f32 v3, s12, v7
	global_store_b128 v[8:9], v[0:3], off
	s_nop 0
	s_sendmsg sendmsg(MSG_DEALLOC_VGPRS)
	s_endpgm
	.section	.rodata,"a",@progbits
	.p2align	6, 0x0
	.amdhsa_kernel _ZN9rocsparseL18bsrxmvn_4x4_kernelILj128ELj8EfiiaafEEvT3_20rocsparse_direction_NS_24const_host_device_scalarIT1_EES1_PKS1_PKT2_SA_S7_PKT4_PKT5_S5_PT6_21rocsparse_index_base_b
		.amdhsa_group_segment_fixed_size 0
		.amdhsa_private_segment_fixed_size 0
		.amdhsa_kernarg_size 96
		.amdhsa_user_sgpr_count 15
		.amdhsa_user_sgpr_dispatch_ptr 0
		.amdhsa_user_sgpr_queue_ptr 0
		.amdhsa_user_sgpr_kernarg_segment_ptr 1
		.amdhsa_user_sgpr_dispatch_id 0
		.amdhsa_user_sgpr_private_segment_size 0
		.amdhsa_wavefront_size32 1
		.amdhsa_uses_dynamic_stack 0
		.amdhsa_enable_private_segment 0
		.amdhsa_system_sgpr_workgroup_id_x 1
		.amdhsa_system_sgpr_workgroup_id_y 0
		.amdhsa_system_sgpr_workgroup_id_z 0
		.amdhsa_system_sgpr_workgroup_info 0
		.amdhsa_system_vgpr_workitem_id 0
		.amdhsa_next_free_vgpr 94
		.amdhsa_next_free_sgpr 20
		.amdhsa_reserve_vcc 1
		.amdhsa_float_round_mode_32 0
		.amdhsa_float_round_mode_16_64 0
		.amdhsa_float_denorm_mode_32 3
		.amdhsa_float_denorm_mode_16_64 3
		.amdhsa_dx10_clamp 1
		.amdhsa_ieee_mode 1
		.amdhsa_fp16_overflow 0
		.amdhsa_workgroup_processor_mode 1
		.amdhsa_memory_ordered 1
		.amdhsa_forward_progress 0
		.amdhsa_shared_vgpr_count 0
		.amdhsa_exception_fp_ieee_invalid_op 0
		.amdhsa_exception_fp_denorm_src 0
		.amdhsa_exception_fp_ieee_div_zero 0
		.amdhsa_exception_fp_ieee_overflow 0
		.amdhsa_exception_fp_ieee_underflow 0
		.amdhsa_exception_fp_ieee_inexact 0
		.amdhsa_exception_int_div_zero 0
	.end_amdhsa_kernel
	.section	.text._ZN9rocsparseL18bsrxmvn_4x4_kernelILj128ELj8EfiiaafEEvT3_20rocsparse_direction_NS_24const_host_device_scalarIT1_EES1_PKS1_PKT2_SA_S7_PKT4_PKT5_S5_PT6_21rocsparse_index_base_b,"axG",@progbits,_ZN9rocsparseL18bsrxmvn_4x4_kernelILj128ELj8EfiiaafEEvT3_20rocsparse_direction_NS_24const_host_device_scalarIT1_EES1_PKS1_PKT2_SA_S7_PKT4_PKT5_S5_PT6_21rocsparse_index_base_b,comdat
.Lfunc_end76:
	.size	_ZN9rocsparseL18bsrxmvn_4x4_kernelILj128ELj8EfiiaafEEvT3_20rocsparse_direction_NS_24const_host_device_scalarIT1_EES1_PKS1_PKT2_SA_S7_PKT4_PKT5_S5_PT6_21rocsparse_index_base_b, .Lfunc_end76-_ZN9rocsparseL18bsrxmvn_4x4_kernelILj128ELj8EfiiaafEEvT3_20rocsparse_direction_NS_24const_host_device_scalarIT1_EES1_PKS1_PKT2_SA_S7_PKT4_PKT5_S5_PT6_21rocsparse_index_base_b
                                        ; -- End function
	.section	.AMDGPU.csdata,"",@progbits
; Kernel info:
; codeLenInByte = 7624
; NumSgprs: 22
; NumVgprs: 94
; ScratchSize: 0
; MemoryBound: 0
; FloatMode: 240
; IeeeMode: 1
; LDSByteSize: 0 bytes/workgroup (compile time only)
; SGPRBlocks: 2
; VGPRBlocks: 11
; NumSGPRsForWavesPerEU: 22
; NumVGPRsForWavesPerEU: 94
; Occupancy: 16
; WaveLimiterHint : 1
; COMPUTE_PGM_RSRC2:SCRATCH_EN: 0
; COMPUTE_PGM_RSRC2:USER_SGPR: 15
; COMPUTE_PGM_RSRC2:TRAP_HANDLER: 0
; COMPUTE_PGM_RSRC2:TGID_X_EN: 1
; COMPUTE_PGM_RSRC2:TGID_Y_EN: 0
; COMPUTE_PGM_RSRC2:TGID_Z_EN: 0
; COMPUTE_PGM_RSRC2:TIDIG_COMP_CNT: 0
	.section	.text._ZN9rocsparseL18bsrxmvn_4x4_kernelILj128ELj16EfiiaafEEvT3_20rocsparse_direction_NS_24const_host_device_scalarIT1_EES1_PKS1_PKT2_SA_S7_PKT4_PKT5_S5_PT6_21rocsparse_index_base_b,"axG",@progbits,_ZN9rocsparseL18bsrxmvn_4x4_kernelILj128ELj16EfiiaafEEvT3_20rocsparse_direction_NS_24const_host_device_scalarIT1_EES1_PKS1_PKT2_SA_S7_PKT4_PKT5_S5_PT6_21rocsparse_index_base_b,comdat
	.globl	_ZN9rocsparseL18bsrxmvn_4x4_kernelILj128ELj16EfiiaafEEvT3_20rocsparse_direction_NS_24const_host_device_scalarIT1_EES1_PKS1_PKT2_SA_S7_PKT4_PKT5_S5_PT6_21rocsparse_index_base_b ; -- Begin function _ZN9rocsparseL18bsrxmvn_4x4_kernelILj128ELj16EfiiaafEEvT3_20rocsparse_direction_NS_24const_host_device_scalarIT1_EES1_PKS1_PKT2_SA_S7_PKT4_PKT5_S5_PT6_21rocsparse_index_base_b
	.p2align	8
	.type	_ZN9rocsparseL18bsrxmvn_4x4_kernelILj128ELj16EfiiaafEEvT3_20rocsparse_direction_NS_24const_host_device_scalarIT1_EES1_PKS1_PKT2_SA_S7_PKT4_PKT5_S5_PT6_21rocsparse_index_base_b,@function
_ZN9rocsparseL18bsrxmvn_4x4_kernelILj128ELj16EfiiaafEEvT3_20rocsparse_direction_NS_24const_host_device_scalarIT1_EES1_PKS1_PKT2_SA_S7_PKT4_PKT5_S5_PT6_21rocsparse_index_base_b: ; @_ZN9rocsparseL18bsrxmvn_4x4_kernelILj128ELj16EfiiaafEEvT3_20rocsparse_direction_NS_24const_host_device_scalarIT1_EES1_PKS1_PKT2_SA_S7_PKT4_PKT5_S5_PT6_21rocsparse_index_base_b
; %bb.0:
	s_clause 0x2
	s_load_b64 s[18:19], s[0:1], 0x58
	s_load_b64 s[16:17], s[0:1], 0x8
	;; [unrolled: 1-line block ×3, first 2 shown]
	s_waitcnt lgkmcnt(0)
	s_bitcmp1_b32 s19, 0
	s_cselect_b32 s2, -1, 0
	s_delay_alu instid0(SALU_CYCLE_1)
	s_and_b32 vcc_lo, exec_lo, s2
	s_xor_b32 s2, s2, -1
	s_cbranch_vccnz .LBB77_2
; %bb.1:
	s_load_b32 s16, s[16:17], 0x0
.LBB77_2:
	s_and_not1_b32 vcc_lo, exec_lo, s2
	s_cbranch_vccnz .LBB77_4
; %bb.3:
	s_load_b32 s12, s[12:13], 0x0
.LBB77_4:
	s_waitcnt lgkmcnt(0)
	v_cmp_neq_f32_e64 s2, s16, 0
	v_cmp_neq_f32_e64 s3, s12, 1.0
	s_mov_b32 s6, 0
	s_delay_alu instid0(VALU_DEP_1) | instskip(NEXT) | instid1(SALU_CYCLE_1)
	s_or_b32 s2, s2, s3
	s_and_not1_b32 vcc_lo, exec_lo, s2
	s_cbranch_vccnz .LBB77_10
; %bb.5:
	s_clause 0x1
	s_load_b64 s[4:5], s[0:1], 0x18
	s_load_b64 s[2:3], s[0:1], 0x0
	v_lshrrev_b32_e32 v1, 4, v0
	s_delay_alu instid0(VALU_DEP_1)
	v_lshl_or_b32 v4, s15, 3, v1
	s_waitcnt lgkmcnt(0)
	s_cmp_lg_u64 s[4:5], 0
	s_cbranch_scc0 .LBB77_11
; %bb.6:
	s_load_b32 s6, s[0:1], 0x10
	s_mov_b32 s7, 0
                                        ; implicit-def: $vgpr1
	s_waitcnt lgkmcnt(0)
	v_cmp_gt_i32_e32 vcc_lo, s6, v4
	s_mov_b32 s6, 0
	s_and_saveexec_b32 s8, vcc_lo
	s_delay_alu instid0(SALU_CYCLE_1)
	s_xor_b32 s8, exec_lo, s8
	s_cbranch_execz .LBB77_8
; %bb.7:
	v_ashrrev_i32_e32 v5, 31, v4
	s_mov_b32 s6, exec_lo
	s_delay_alu instid0(VALU_DEP_1) | instskip(NEXT) | instid1(VALU_DEP_1)
	v_lshlrev_b64 v[1:2], 2, v[4:5]
	v_add_co_u32 v1, vcc_lo, s4, v1
	s_delay_alu instid0(VALU_DEP_2)
	v_add_co_ci_u32_e32 v2, vcc_lo, s5, v2, vcc_lo
	global_load_b32 v1, v[1:2], off
	s_waitcnt vmcnt(0)
	v_subrev_nc_u32_e32 v1, s18, v1
.LBB77_8:
	s_or_b32 exec_lo, exec_lo, s8
	s_delay_alu instid0(SALU_CYCLE_1)
	s_and_b32 vcc_lo, exec_lo, s7
	s_cbranch_vccz .LBB77_12
.LBB77_9:
	v_cmp_gt_i32_e32 vcc_lo, s2, v4
	s_and_not1_b32 s2, s6, exec_lo
	s_and_b32 s4, vcc_lo, exec_lo
	s_delay_alu instid0(SALU_CYCLE_1) | instskip(NEXT) | instid1(SALU_CYCLE_1)
	s_or_b32 s6, s2, s4
	s_and_saveexec_b32 s2, s6
	s_cbranch_execnz .LBB77_13
.LBB77_10:
	s_nop 0
	s_sendmsg sendmsg(MSG_DEALLOC_VGPRS)
	s_endpgm
.LBB77_11:
                                        ; implicit-def: $vgpr1
	s_cbranch_execnz .LBB77_9
.LBB77_12:
	s_delay_alu instid0(VALU_DEP_1)
	v_mov_b32_e32 v4, v1
	s_and_saveexec_b32 s2, s6
	s_cbranch_execz .LBB77_10
.LBB77_13:
	s_load_b256 s[4:11], s[0:1], 0x20
	s_delay_alu instid0(VALU_DEP_1) | instskip(SKIP_1) | instid1(VALU_DEP_2)
	v_ashrrev_i32_e32 v5, 31, v4
	v_and_b32_e32 v9, 15, v0
	v_lshlrev_b64 v[1:2], 2, v[4:5]
	s_waitcnt lgkmcnt(0)
	s_delay_alu instid0(VALU_DEP_1) | instskip(NEXT) | instid1(VALU_DEP_2)
	v_add_co_u32 v5, vcc_lo, s4, v1
	v_add_co_ci_u32_e32 v6, vcc_lo, s5, v2, vcc_lo
	v_add_co_u32 v1, vcc_lo, s6, v1
	v_add_co_ci_u32_e32 v2, vcc_lo, s7, v2, vcc_lo
	global_load_b32 v15, v[5:6], off
	v_add_co_u32 v3, vcc_lo, v5, 4
	v_add_co_ci_u32_e32 v5, vcc_lo, 0, v6, vcc_lo
	s_cmp_eq_u64 s[6:7], 0
	s_load_b64 s[6:7], s[0:1], 0x40
	s_cselect_b32 vcc_lo, -1, 0
	s_cmp_eq_u32 s3, 1
	v_dual_cndmask_b32 v2, v2, v5 :: v_dual_cndmask_b32 v1, v1, v3
	global_load_b32 v5, v[1:2], off
	s_waitcnt vmcnt(1)
	v_subrev_nc_u32_e32 v0, s18, v15
	s_delay_alu instid0(VALU_DEP_1) | instskip(NEXT) | instid1(VALU_DEP_1)
	v_add_nc_u32_e32 v0, v0, v9
	v_ashrrev_i32_e32 v1, 31, v0
	s_waitcnt vmcnt(0)
	v_subrev_nc_u32_e32 v13, s18, v5
	s_delay_alu instid0(VALU_DEP_2) | instskip(NEXT) | instid1(VALU_DEP_2)
	v_lshlrev_b64 v[2:3], 4, v[0:1]
	v_cmp_lt_i32_e64 s2, v0, v13
	s_delay_alu instid0(VALU_DEP_2) | instskip(NEXT) | instid1(VALU_DEP_3)
	v_add_co_u32 v2, vcc_lo, s10, v2
	v_add_co_ci_u32_e32 v3, vcc_lo, s11, v3, vcc_lo
	s_cbranch_scc1 .LBB77_25
; %bb.14:
	v_dual_mov_b32 v10, 0 :: v_dual_mov_b32 v11, 0
	v_mov_b32_e32 v12, 0
	v_mov_b32_e32 v14, 0
	s_mov_b32 s10, 0
	s_and_saveexec_b32 s11, s2
	s_cbranch_execz .LBB77_24
; %bb.15:
	v_dual_mov_b32 v14, 0 :: v_dual_add_nc_u32 v1, v15, v9
	v_not_b32_e32 v5, v15
	s_mov_b32 s4, 0
	s_mov_b32 s3, exec_lo
	s_delay_alu instid0(VALU_DEP_2) | instskip(SKIP_3) | instid1(VALU_DEP_4)
	v_subrev_nc_u32_e32 v1, s18, v1
	v_mov_b32_e32 v12, 0
	v_mov_b32_e32 v10, 0
	v_dual_mov_b32 v8, v3 :: v_dual_mov_b32 v7, v2
	v_add_nc_u32_e32 v1, 16, v1
	s_delay_alu instid0(VALU_DEP_1) | instskip(NEXT) | instid1(VALU_DEP_1)
	v_max_i32_e32 v1, v1, v13
	v_add3_u32 v1, v1, s18, v5
	s_delay_alu instid0(VALU_DEP_1) | instskip(NEXT) | instid1(VALU_DEP_1)
	v_sub_nc_u32_e32 v1, v1, v9
	v_lshrrev_b32_e32 v5, 4, v1
	s_delay_alu instid0(VALU_DEP_1) | instskip(NEXT) | instid1(VALU_DEP_1)
	v_add_nc_u32_e32 v5, 1, v5
	v_dual_mov_b32 v11, 0 :: v_dual_and_b32 v6, 3, v5
	v_mov_b32_e32 v5, v0
	s_delay_alu instid0(VALU_DEP_2)
	v_cmpx_ne_u32_e32 0, v6
	s_cbranch_execz .LBB77_19
; %bb.16:
	v_dual_mov_b32 v8, v3 :: v_dual_mov_b32 v11, 0
	v_dual_mov_b32 v7, v2 :: v_dual_lshlrev_b32 v16, 4, v6
	v_dual_mov_b32 v10, 0 :: v_dual_mov_b32 v5, v0
	v_mov_b32_e32 v12, 0
	v_mov_b32_e32 v14, 0
.LBB77_17:                              ; =>This Inner Loop Header: Depth=1
	s_delay_alu instid0(VALU_DEP_3) | instskip(NEXT) | instid1(VALU_DEP_1)
	v_ashrrev_i32_e32 v6, 31, v5
	v_lshlrev_b64 v[17:18], 2, v[5:6]
	s_delay_alu instid0(VALU_DEP_1) | instskip(NEXT) | instid1(VALU_DEP_2)
	v_add_co_u32 v17, vcc_lo, s8, v17
	v_add_co_ci_u32_e32 v18, vcc_lo, s9, v18, vcc_lo
	global_load_b32 v6, v[17:18], off
	global_load_b128 v[17:20], v[7:8], off
	s_waitcnt vmcnt(1)
	v_subrev_nc_u32_e32 v6, s18, v6
	s_waitcnt vmcnt(0)
	v_lshrrev_b32_e32 v23, 16, v17
	v_bfe_i32 v24, v18, 0, 8
	v_lshrrev_b32_e32 v25, 8, v18
	v_bfe_i32 v27, v19, 0, 8
	v_lshlrev_b32_e32 v6, 2, v6
	v_lshrrev_b32_e32 v28, 8, v19
	v_bfe_i32 v30, v20, 0, 8
	v_lshrrev_b32_e32 v31, 8, v20
	v_bfe_i32 v23, v23, 0, 8
	v_ashrrev_i32_e32 v22, 31, v6
	s_waitcnt lgkmcnt(0)
	v_add_co_u32 v21, vcc_lo, s6, v6
	v_bfe_i32 v24, v24, 0, 16
	v_lshrrev_b32_e32 v26, 16, v18
	v_add_co_ci_u32_e32 v22, vcc_lo, s7, v22, vcc_lo
	v_lshrrev_b32_e32 v29, 16, v19
	v_lshrrev_b32_e32 v32, 16, v20
	v_bfe_i32 v25, v25, 0, 8
	global_load_b32 v6, v[21:22], off
	v_bfe_i32 v21, v17, 0, 8
	v_lshrrev_b32_e32 v22, 8, v17
	v_lshrrev_b32_e32 v17, 24, v17
	v_bfe_i32 v28, v28, 0, 8
	v_bfe_i32 v31, v31, 0, 8
	;; [unrolled: 1-line block ×7, first 2 shown]
	v_cvt_f32_i32_e32 v21, v21
	v_bfe_i32 v22, v22, 0, 16
	v_bfe_i32 v23, v23, 0, 16
	v_cvt_f32_i32_e32 v24, v24
	v_lshrrev_b32_e32 v18, 24, v18
	v_lshrrev_b32_e32 v19, 24, v19
	v_cvt_f32_i32_e32 v22, v22
	v_lshrrev_b32_e32 v20, 24, v20
	v_bfe_i32 v26, v26, 0, 8
	v_bfe_i32 v29, v29, 0, 8
	;; [unrolled: 1-line block ×5, first 2 shown]
	v_cvt_f32_i32_e32 v27, v27
	v_bfe_i32 v28, v28, 0, 16
	v_cvt_f32_i32_e32 v30, v30
	v_bfe_i32 v31, v31, 0, 16
	;; [unrolled: 2-line block ×3, first 2 shown]
	v_bfe_i32 v19, v19, 0, 8
	v_bfe_i32 v20, v20, 0, 8
	v_bfe_i32 v26, v26, 0, 16
	v_bfe_i32 v29, v29, 0, 16
	v_bfe_i32 v32, v32, 0, 16
	v_cvt_f32_i32_e32 v17, v17
	v_cvt_f32_i32_e32 v25, v25
	;; [unrolled: 1-line block ×4, first 2 shown]
	v_bfe_i32 v18, v18, 0, 16
	v_bfe_i32 v19, v19, 0, 16
	v_bfe_i32 v20, v20, 0, 16
	v_cvt_f32_i32_e32 v26, v26
	v_cvt_f32_i32_e32 v29, v29
	;; [unrolled: 1-line block ×3, first 2 shown]
	v_add_co_u32 v7, vcc_lo, 0x100, v7
	v_cvt_f32_i32_e32 v18, v18
	v_cvt_f32_i32_e32 v19, v19
	v_cvt_f32_i32_e32 v20, v20
	v_add_co_ci_u32_e32 v8, vcc_lo, 0, v8, vcc_lo
	s_waitcnt vmcnt(0)
	v_bfe_i32 v33, v6, 0, 8
	v_lshrrev_b32_e32 v34, 8, v6
	v_lshrrev_b32_e32 v35, 16, v6
	;; [unrolled: 1-line block ×3, first 2 shown]
	s_delay_alu instid0(VALU_DEP_4) | instskip(NEXT) | instid1(VALU_DEP_4)
	v_bfe_i32 v33, v33, 0, 16
	v_bfe_i32 v34, v34, 0, 8
	s_delay_alu instid0(VALU_DEP_4) | instskip(NEXT) | instid1(VALU_DEP_4)
	v_bfe_i32 v35, v35, 0, 8
	v_bfe_i32 v6, v6, 0, 8
	s_delay_alu instid0(VALU_DEP_4) | instskip(NEXT) | instid1(VALU_DEP_4)
	v_cvt_f32_i32_e32 v33, v33
	v_bfe_i32 v34, v34, 0, 16
	s_delay_alu instid0(VALU_DEP_4) | instskip(NEXT) | instid1(VALU_DEP_4)
	v_bfe_i32 v35, v35, 0, 16
	v_bfe_i32 v6, v6, 0, 16
	s_delay_alu instid0(VALU_DEP_4) | instskip(NEXT) | instid1(VALU_DEP_4)
	v_fmac_f32_e32 v11, v21, v33
	v_cvt_f32_i32_e32 v21, v34
	v_add_nc_u32_e32 v16, -16, v16
	v_fmac_f32_e32 v10, v30, v33
	v_cvt_f32_i32_e32 v6, v6
	s_delay_alu instid0(VALU_DEP_4) | instskip(SKIP_4) | instid1(VALU_DEP_3)
	v_fmac_f32_e32 v11, v22, v21
	v_fmac_f32_e32 v14, v24, v33
	v_cvt_f32_i32_e32 v24, v35
	v_fmac_f32_e32 v10, v31, v21
	v_cmp_eq_u32_e32 vcc_lo, 0, v16
	v_fmac_f32_e32 v11, v23, v24
	v_fmac_f32_e32 v12, v27, v33
	;; [unrolled: 1-line block ×3, first 2 shown]
	v_dual_fmac_f32 v10, v32, v24 :: v_dual_add_nc_u32 v5, 16, v5
	s_delay_alu instid0(VALU_DEP_3) | instskip(NEXT) | instid1(VALU_DEP_3)
	v_dual_fmac_f32 v11, v17, v6 :: v_dual_fmac_f32 v12, v28, v21
	v_fmac_f32_e32 v14, v26, v24
	s_or_b32 s4, vcc_lo, s4
	s_delay_alu instid0(VALU_DEP_3) | instskip(NEXT) | instid1(VALU_DEP_3)
	v_fmac_f32_e32 v10, v20, v6
	v_fmac_f32_e32 v12, v29, v24
	s_delay_alu instid0(VALU_DEP_3) | instskip(NEXT) | instid1(VALU_DEP_2)
	v_fmac_f32_e32 v14, v18, v6
	v_fmac_f32_e32 v12, v19, v6
	s_and_not1_b32 exec_lo, exec_lo, s4
	s_cbranch_execnz .LBB77_17
; %bb.18:
	s_or_b32 exec_lo, exec_lo, s4
.LBB77_19:
	s_delay_alu instid0(SALU_CYCLE_1) | instskip(NEXT) | instid1(SALU_CYCLE_1)
	s_or_b32 exec_lo, exec_lo, s3
	s_mov_b32 s13, exec_lo
	v_cmpx_lt_u32_e32 47, v1
	s_cbranch_execz .LBB77_23
; %bb.20:
	s_mov_b32 s14, 0
.LBB77_21:                              ; =>This Inner Loop Header: Depth=1
	v_ashrrev_i32_e32 v6, 31, v5
	s_delay_alu instid0(VALU_DEP_1) | instskip(NEXT) | instid1(VALU_DEP_1)
	v_lshlrev_b64 v[16:17], 2, v[5:6]
	v_add_co_u32 v16, vcc_lo, s8, v16
	s_delay_alu instid0(VALU_DEP_2)
	v_add_co_ci_u32_e32 v17, vcc_lo, s9, v17, vcc_lo
	s_clause 0x3
	global_load_b32 v1, v[16:17], off
	global_load_b32 v6, v[16:17], off offset:64
	global_load_b32 v32, v[16:17], off offset:128
	;; [unrolled: 1-line block ×3, first 2 shown]
	s_clause 0x3
	global_load_b128 v[16:19], v[7:8], off
	global_load_b128 v[20:23], v[7:8], off offset:256
	global_load_b128 v[24:27], v[7:8], off offset:512
	;; [unrolled: 1-line block ×3, first 2 shown]
	v_add_co_u32 v7, vcc_lo, 0x400, v7
	v_add_co_ci_u32_e32 v8, vcc_lo, 0, v8, vcc_lo
	s_waitcnt vmcnt(7)
	v_subrev_nc_u32_e32 v1, s18, v1
	s_waitcnt vmcnt(6)
	v_subrev_nc_u32_e32 v6, s18, v6
	s_waitcnt vmcnt(3)
	v_lshrrev_b32_e32 v39, 8, v16
	v_bfe_i32 v46, v18, 0, 8
	v_bfe_i32 v38, v16, 0, 8
	v_bfe_i32 v49, v19, 0, 8
	v_lshrrev_b32_e32 v40, 16, v16
	v_bfe_i32 v39, v39, 0, 8
	v_bfe_i32 v46, v46, 0, 16
	;; [unrolled: 1-line block ×3, first 2 shown]
	v_lshrrev_b32_e32 v41, 24, v16
	v_subrev_nc_u32_e32 v16, s18, v32
	v_bfe_i32 v39, v39, 0, 16
	v_bfe_i32 v42, v17, 0, 8
	v_lshrrev_b32_e32 v43, 8, v17
	v_lshrrev_b32_e32 v44, 16, v17
	;; [unrolled: 1-line block ×3, first 2 shown]
	v_subrev_nc_u32_e32 v17, s18, v33
	v_bfe_i32 v49, v49, 0, 16
	v_cvt_f32_i32_e32 v46, v46
	v_lshlrev_b32_e32 v1, 2, v1
	v_cvt_f32_i32_e32 v38, v38
	v_lshlrev_b32_e32 v6, 2, v6
	;; [unrolled: 2-line block ×4, first 2 shown]
	v_ashrrev_i32_e32 v33, 31, v1
	v_ashrrev_i32_e32 v35, 31, v6
	s_waitcnt lgkmcnt(0)
	v_add_co_u32 v16, vcc_lo, s6, v6
	v_ashrrev_i32_e32 v6, 31, v32
	v_ashrrev_i32_e32 v52, 31, v17
	v_add_co_u32 v36, s5, s6, v1
	v_add_co_u32 v32, s3, s6, v32
	v_add_co_ci_u32_e64 v37, s5, s7, v33, s5
	v_add_co_u32 v34, s4, s6, v17
	v_add_co_ci_u32_e32 v17, vcc_lo, s7, v35, vcc_lo
	v_add_co_ci_u32_e64 v33, vcc_lo, s7, v6, s3
	v_add_co_ci_u32_e64 v35, vcc_lo, s7, v52, s4
	s_clause 0x3
	global_load_b32 v1, v[36:37], off
	global_load_b32 v6, v[16:17], off
	;; [unrolled: 1-line block ×4, first 2 shown]
	v_lshrrev_b32_e32 v50, 8, v19
	v_lshrrev_b32_e32 v51, 16, v19
	s_waitcnt vmcnt(6)
	v_bfe_i32 v32, v20, 0, 8
	v_lshrrev_b32_e32 v33, 8, v20
	v_lshrrev_b32_e32 v34, 16, v20
	;; [unrolled: 1-line block ×3, first 2 shown]
	v_bfe_i32 v40, v40, 0, 8
	v_bfe_i32 v50, v50, 0, 8
	;; [unrolled: 1-line block ×3, first 2 shown]
	v_lshrrev_b32_e32 v47, 8, v18
	v_lshrrev_b32_e32 v19, 24, v19
	s_waitcnt vmcnt(5)
	v_bfe_i32 v58, v24, 0, 8
	v_lshrrev_b32_e32 v59, 8, v24
	v_lshrrev_b32_e32 v60, 16, v24
	;; [unrolled: 1-line block ×3, first 2 shown]
	v_bfe_i32 v41, v41, 0, 8
	v_bfe_i32 v43, v43, 0, 8
	;; [unrolled: 1-line block ×6, first 2 shown]
	v_cvt_f32_i32_e32 v42, v42
	v_bfe_i32 v50, v50, 0, 16
	v_lshrrev_b32_e32 v48, 16, v18
	v_bfe_i32 v47, v47, 0, 8
	v_bfe_i32 v19, v19, 0, 8
	;; [unrolled: 1-line block ×8, first 2 shown]
	v_cvt_f32_i32_e32 v40, v40
	v_cvt_f32_i32_e32 v50, v50
	v_lshrrev_b32_e32 v18, 24, v18
	v_bfe_i32 v44, v44, 0, 8
	v_bfe_i32 v48, v48, 0, 8
	;; [unrolled: 1-line block ×7, first 2 shown]
	v_cvt_f32_i32_e32 v41, v41
	v_cvt_f32_i32_e32 v43, v43
	;; [unrolled: 1-line block ×5, first 2 shown]
	v_bfe_i32 v18, v18, 0, 8
	v_bfe_i32 v59, v59, 0, 8
	;; [unrolled: 1-line block ×4, first 2 shown]
	v_cvt_f32_i32_e32 v32, v32
	v_bfe_i32 v33, v33, 0, 16
	v_cvt_f32_i32_e32 v47, v47
	v_cvt_f32_i32_e32 v19, v19
	;; [unrolled: 1-line block ×3, first 2 shown]
	v_bfe_i32 v35, v21, 0, 8
	v_lshrrev_b32_e32 v36, 8, v21
	v_bfe_i32 v52, v22, 0, 8
	v_lshrrev_b32_e32 v53, 8, v22
	;; [unrolled: 2-line block ×3, first 2 shown]
	s_waitcnt vmcnt(4)
	v_bfe_i32 v70, v28, 0, 8
	v_lshrrev_b32_e32 v71, 8, v28
	v_lshrrev_b32_e32 v72, 16, v28
	;; [unrolled: 1-line block ×3, first 2 shown]
	v_bfe_i32 v60, v60, 0, 8
	v_bfe_i32 v58, v58, 0, 16
	;; [unrolled: 1-line block ×4, first 2 shown]
	v_cvt_f32_i32_e32 v44, v44
	v_cvt_f32_i32_e32 v48, v48
	;; [unrolled: 1-line block ×3, first 2 shown]
	v_lshrrev_b32_e32 v37, 16, v21
	v_lshrrev_b32_e32 v54, 16, v22
	;; [unrolled: 1-line block ×3, first 2 shown]
	v_bfe_i32 v36, v36, 0, 8
	v_bfe_i32 v53, v53, 0, 8
	;; [unrolled: 1-line block ×8, first 2 shown]
	v_cvt_f32_i32_e32 v58, v58
	v_bfe_i32 v60, v60, 0, 16
	v_cvt_f32_i32_e32 v18, v18
	v_cvt_f32_i32_e32 v59, v59
	v_lshrrev_b32_e32 v21, 24, v21
	v_lshrrev_b32_e32 v22, 24, v22
	;; [unrolled: 1-line block ×3, first 2 shown]
	v_bfe_i32 v34, v34, 0, 8
	v_bfe_i32 v37, v37, 0, 8
	;; [unrolled: 1-line block ×6, first 2 shown]
	v_cvt_f32_i32_e32 v35, v35
	v_bfe_i32 v36, v36, 0, 16
	v_cvt_f32_i32_e32 v52, v52
	v_bfe_i32 v53, v53, 0, 16
	;; [unrolled: 2-line block ×3, first 2 shown]
	v_bfe_i32 v71, v71, 0, 16
	v_bfe_i32 v28, v28, 0, 16
	v_cvt_f32_i32_e32 v60, v60
	v_bfe_i32 v21, v21, 0, 8
	v_bfe_i32 v22, v22, 0, 8
	;; [unrolled: 1-line block ×7, first 2 shown]
	v_cvt_f32_i32_e32 v70, v70
	v_bfe_i32 v72, v72, 0, 16
	v_cvt_f32_i32_e32 v36, v36
	v_cvt_f32_i32_e32 v53, v53
	;; [unrolled: 1-line block ×5, first 2 shown]
	v_bfe_i32 v61, v25, 0, 8
	v_lshrrev_b32_e32 v62, 8, v25
	v_bfe_i32 v64, v26, 0, 8
	v_lshrrev_b32_e32 v65, 8, v26
	;; [unrolled: 2-line block ×3, first 2 shown]
	v_bfe_i32 v21, v21, 0, 16
	v_bfe_i32 v22, v22, 0, 16
	;; [unrolled: 1-line block ×3, first 2 shown]
	v_cvt_f32_i32_e32 v34, v34
	v_cvt_f32_i32_e32 v37, v37
	;; [unrolled: 1-line block ×5, first 2 shown]
	v_lshrrev_b32_e32 v63, 16, v25
	v_lshrrev_b32_e32 v66, 16, v26
	;; [unrolled: 1-line block ×3, first 2 shown]
	v_bfe_i32 v62, v62, 0, 8
	v_bfe_i32 v65, v65, 0, 8
	;; [unrolled: 1-line block ×6, first 2 shown]
	v_cvt_f32_i32_e32 v21, v21
	v_cvt_f32_i32_e32 v22, v22
	;; [unrolled: 1-line block ×3, first 2 shown]
	v_lshrrev_b32_e32 v25, 24, v25
	v_lshrrev_b32_e32 v26, 24, v26
	;; [unrolled: 1-line block ×3, first 2 shown]
	v_bfe_i32 v63, v63, 0, 8
	v_bfe_i32 v66, v66, 0, 8
	;; [unrolled: 1-line block ×3, first 2 shown]
	v_cvt_f32_i32_e32 v61, v61
	v_bfe_i32 v62, v62, 0, 16
	v_cvt_f32_i32_e32 v64, v64
	v_bfe_i32 v65, v65, 0, 16
	v_cvt_f32_i32_e32 v67, v67
	v_bfe_i32 v68, v68, 0, 16
	v_bfe_i32 v25, v25, 0, 8
	v_bfe_i32 v26, v26, 0, 8
	;; [unrolled: 1-line block ×6, first 2 shown]
	v_cvt_f32_i32_e32 v62, v62
	v_cvt_f32_i32_e32 v65, v65
	v_cvt_f32_i32_e32 v68, v68
	v_bfe_i32 v73, v29, 0, 8
	v_lshrrev_b32_e32 v74, 8, v29
	v_bfe_i32 v76, v30, 0, 8
	v_lshrrev_b32_e32 v77, 8, v30
	;; [unrolled: 2-line block ×3, first 2 shown]
	v_bfe_i32 v25, v25, 0, 16
	v_bfe_i32 v26, v26, 0, 16
	;; [unrolled: 1-line block ×3, first 2 shown]
	v_cvt_f32_i32_e32 v63, v63
	v_cvt_f32_i32_e32 v66, v66
	v_cvt_f32_i32_e32 v69, v69
	v_lshrrev_b32_e32 v75, 16, v29
	v_lshrrev_b32_e32 v78, 16, v30
	;; [unrolled: 1-line block ×3, first 2 shown]
	v_bfe_i32 v74, v74, 0, 8
	v_bfe_i32 v77, v77, 0, 8
	;; [unrolled: 1-line block ×6, first 2 shown]
	v_cvt_f32_i32_e32 v25, v25
	v_cvt_f32_i32_e32 v26, v26
	;; [unrolled: 1-line block ×3, first 2 shown]
	v_lshrrev_b32_e32 v29, 24, v29
	v_lshrrev_b32_e32 v30, 24, v30
	v_lshrrev_b32_e32 v31, 24, v31
	v_bfe_i32 v75, v75, 0, 8
	v_bfe_i32 v78, v78, 0, 8
	;; [unrolled: 1-line block ×3, first 2 shown]
	v_cvt_f32_i32_e32 v73, v73
	v_bfe_i32 v74, v74, 0, 16
	v_cvt_f32_i32_e32 v76, v76
	v_bfe_i32 v77, v77, 0, 16
	;; [unrolled: 2-line block ×3, first 2 shown]
	v_bfe_i32 v29, v29, 0, 8
	v_bfe_i32 v30, v30, 0, 8
	;; [unrolled: 1-line block ×6, first 2 shown]
	v_cvt_f32_i32_e32 v74, v74
	v_cvt_f32_i32_e32 v77, v77
	;; [unrolled: 1-line block ×3, first 2 shown]
	v_bfe_i32 v29, v29, 0, 16
	v_bfe_i32 v30, v30, 0, 16
	;; [unrolled: 1-line block ×3, first 2 shown]
	v_cvt_f32_i32_e32 v75, v75
	v_cvt_f32_i32_e32 v78, v78
	;; [unrolled: 1-line block ×6, first 2 shown]
	s_waitcnt vmcnt(3)
	v_bfe_i32 v83, v1, 0, 8
	v_lshrrev_b32_e32 v84, 8, v1
	v_lshrrev_b32_e32 v82, 16, v1
	;; [unrolled: 1-line block ×3, first 2 shown]
	s_waitcnt vmcnt(2)
	v_bfe_i32 v86, v6, 0, 8
	v_bfe_i32 v83, v83, 0, 16
	;; [unrolled: 1-line block ×6, first 2 shown]
	v_cvt_f32_i32_e32 v83, v83
	v_bfe_i32 v84, v84, 0, 16
	v_bfe_i32 v82, v82, 0, 16
	v_add_nc_u32_e32 v5, 64, v5
	v_bfe_i32 v1, v1, 0, 16
	v_fmac_f32_e32 v14, v42, v83
	v_fmac_f32_e32 v11, v38, v83
	v_cvt_f32_i32_e32 v38, v84
	v_fmac_f32_e32 v10, v49, v83
	v_cvt_f32_i32_e32 v42, v82
	v_cvt_f32_i32_e32 v1, v1
	s_waitcnt vmcnt(1)
	v_bfe_i32 v89, v16, 0, 8
	v_fmac_f32_e32 v11, v39, v38
	v_fmac_f32_e32 v10, v50, v38
	v_cvt_f32_i32_e32 v86, v86
	v_fmac_f32_e32 v12, v46, v83
	v_lshrrev_b32_e32 v87, 8, v6
	v_fmac_f32_e32 v11, v40, v42
	v_fmac_f32_e32 v14, v43, v38
	v_fmac_f32_e32 v10, v51, v42
	v_bfe_i32 v89, v89, 0, 16
	v_lshrrev_b32_e32 v85, 16, v6
	v_fmac_f32_e32 v11, v41, v1
	s_waitcnt vmcnt(0)
	v_bfe_i32 v92, v17, 0, 8
	v_fmac_f32_e32 v10, v19, v1
	v_bfe_i32 v87, v87, 0, 8
	v_cvt_f32_i32_e32 v89, v89
	v_fmac_f32_e32 v11, v32, v86
	v_fmac_f32_e32 v12, v47, v38
	;; [unrolled: 1-line block ×3, first 2 shown]
	v_lshrrev_b32_e32 v6, 24, v6
	v_bfe_i32 v85, v85, 0, 8
	v_bfe_i32 v92, v92, 0, 16
	v_fmac_f32_e32 v12, v48, v42
	v_bfe_i32 v87, v87, 0, 16
	v_fmac_f32_e32 v14, v45, v1
	v_bfe_i32 v6, v6, 0, 8
	v_bfe_i32 v85, v85, 0, 16
	v_fmac_f32_e32 v12, v18, v1
	v_cvt_f32_i32_e32 v92, v92
	v_cvt_f32_i32_e32 v1, v87
	v_fmac_f32_e32 v14, v35, v86
	v_fmac_f32_e32 v10, v55, v86
	;; [unrolled: 1-line block ×3, first 2 shown]
	v_lshrrev_b32_e32 v90, 8, v16
	v_bfe_i32 v6, v6, 0, 16
	v_cvt_f32_i32_e32 v18, v85
	v_fmac_f32_e32 v11, v33, v1
	v_fmac_f32_e32 v14, v36, v1
	;; [unrolled: 1-line block ×4, first 2 shown]
	v_lshrrev_b32_e32 v88, 16, v16
	v_bfe_i32 v90, v90, 0, 8
	v_cvt_f32_i32_e32 v1, v6
	v_fmac_f32_e32 v11, v34, v18
	v_fmac_f32_e32 v14, v37, v18
	;; [unrolled: 1-line block ×4, first 2 shown]
	v_lshrrev_b32_e32 v16, 24, v16
	v_bfe_i32 v88, v88, 0, 8
	v_bfe_i32 v90, v90, 0, 16
	v_fmac_f32_e32 v11, v20, v1
	v_fmac_f32_e32 v14, v21, v1
	;; [unrolled: 1-line block ×4, first 2 shown]
	v_bfe_i32 v16, v16, 0, 8
	v_bfe_i32 v88, v88, 0, 16
	v_cvt_f32_i32_e32 v1, v90
	v_fmac_f32_e32 v11, v58, v89
	v_fmac_f32_e32 v14, v61, v89
	v_fmac_f32_e32 v12, v64, v89
	v_fmac_f32_e32 v10, v67, v89
	v_lshrrev_b32_e32 v93, 8, v17
	v_bfe_i32 v16, v16, 0, 16
	v_cvt_f32_i32_e32 v18, v88
	v_fmac_f32_e32 v11, v59, v1
	v_fmac_f32_e32 v14, v62, v1
	v_fmac_f32_e32 v12, v65, v1
	v_fmac_f32_e32 v10, v68, v1
	v_lshrrev_b32_e32 v91, 16, v17
	;; [unrolled: 7-line block ×3, first 2 shown]
	v_bfe_i32 v91, v91, 0, 8
	v_bfe_i32 v38, v93, 0, 16
	v_fmac_f32_e32 v11, v24, v1
	v_fmac_f32_e32 v14, v25, v1
	;; [unrolled: 1-line block ×4, first 2 shown]
	v_bfe_i32 v17, v17, 0, 8
	v_bfe_i32 v6, v91, 0, 16
	v_cvt_f32_i32_e32 v1, v38
	v_fmac_f32_e32 v11, v70, v92
	v_fmac_f32_e32 v14, v73, v92
	;; [unrolled: 1-line block ×4, first 2 shown]
	v_bfe_i32 v16, v17, 0, 16
	v_cvt_f32_i32_e32 v6, v6
	v_fmac_f32_e32 v11, v71, v1
	v_fmac_f32_e32 v14, v74, v1
	;; [unrolled: 1-line block ×4, first 2 shown]
	v_cvt_f32_i32_e32 v1, v16
	v_fmac_f32_e32 v11, v72, v6
	v_fmac_f32_e32 v14, v75, v6
	;; [unrolled: 1-line block ×4, first 2 shown]
	v_cmp_ge_i32_e32 vcc_lo, v5, v13
	v_fmac_f32_e32 v11, v28, v1
	v_fmac_f32_e32 v14, v29, v1
	;; [unrolled: 1-line block ×4, first 2 shown]
	s_or_b32 s14, vcc_lo, s14
	s_delay_alu instid0(SALU_CYCLE_1)
	s_and_not1_b32 exec_lo, exec_lo, s14
	s_cbranch_execnz .LBB77_21
; %bb.22:
	s_or_b32 exec_lo, exec_lo, s14
.LBB77_23:
	s_delay_alu instid0(SALU_CYCLE_1)
	s_or_b32 exec_lo, exec_lo, s13
.LBB77_24:
	s_delay_alu instid0(SALU_CYCLE_1) | instskip(NEXT) | instid1(SALU_CYCLE_1)
	s_or_b32 exec_lo, exec_lo, s11
	s_and_not1_b32 vcc_lo, exec_lo, s10
	s_cbranch_vccz .LBB77_26
	s_branch .LBB77_37
.LBB77_25:
                                        ; implicit-def: $vgpr10
                                        ; implicit-def: $vgpr12
                                        ; implicit-def: $vgpr14
                                        ; implicit-def: $vgpr11
.LBB77_26:
	v_dual_mov_b32 v10, 0 :: v_dual_mov_b32 v11, 0
	v_mov_b32_e32 v12, 0
	v_mov_b32_e32 v14, 0
	s_and_saveexec_b32 s5, s2
	s_cbranch_execz .LBB77_36
; %bb.27:
	v_dual_mov_b32 v14, 0 :: v_dual_add_nc_u32 v1, v15, v9
	v_not_b32_e32 v5, v15
	v_mov_b32_e32 v11, 0
	s_mov_b32 s3, 0
	s_delay_alu instid0(VALU_DEP_3) | instskip(SKIP_2) | instid1(VALU_DEP_2)
	v_subrev_nc_u32_e32 v1, s18, v1
	s_mov_b32 s2, exec_lo
	v_mov_b32_e32 v12, 0
	v_dual_mov_b32 v10, 0 :: v_dual_add_nc_u32 v1, 16, v1
	s_delay_alu instid0(VALU_DEP_1) | instskip(NEXT) | instid1(VALU_DEP_1)
	v_max_i32_e32 v1, v1, v13
	v_add3_u32 v1, v1, s18, v5
	s_delay_alu instid0(VALU_DEP_1) | instskip(NEXT) | instid1(VALU_DEP_1)
	v_sub_nc_u32_e32 v5, v1, v9
	v_lshrrev_b32_e32 v1, 4, v5
	s_delay_alu instid0(VALU_DEP_1) | instskip(NEXT) | instid1(VALU_DEP_1)
	v_add_nc_u32_e32 v1, 1, v1
	v_and_b32_e32 v1, 3, v1
	s_delay_alu instid0(VALU_DEP_1)
	v_cmpx_ne_u32_e32 0, v1
	s_cbranch_execz .LBB77_31
; %bb.28:
	v_dual_mov_b32 v11, 0 :: v_dual_lshlrev_b32 v6, 4, v1
	v_mov_b32_e32 v10, 0
	v_mov_b32_e32 v12, 0
	;; [unrolled: 1-line block ×3, first 2 shown]
.LBB77_29:                              ; =>This Inner Loop Header: Depth=1
	v_ashrrev_i32_e32 v1, 31, v0
	s_delay_alu instid0(VALU_DEP_1) | instskip(NEXT) | instid1(VALU_DEP_1)
	v_lshlrev_b64 v[7:8], 2, v[0:1]
	v_add_co_u32 v7, vcc_lo, s8, v7
	s_delay_alu instid0(VALU_DEP_2)
	v_add_co_ci_u32_e32 v8, vcc_lo, s9, v8, vcc_lo
	global_load_b32 v1, v[7:8], off
	global_load_b128 v[15:18], v[2:3], off
	s_waitcnt vmcnt(1)
	v_subrev_nc_u32_e32 v1, s18, v1
	s_waitcnt vmcnt(0)
	v_lshrrev_b32_e32 v21, 8, v16
	v_lshrrev_b32_e32 v19, 16, v15
	v_bfe_i32 v20, v16, 0, 8
	v_lshrrev_b32_e32 v22, 16, v16
	v_lshrrev_b32_e32 v16, 24, v16
	v_bfe_i32 v21, v21, 0, 8
	v_bfe_i32 v19, v19, 0, 8
	;; [unrolled: 1-line block ×3, first 2 shown]
	v_lshrrev_b32_e32 v24, 8, v17
	v_lshrrev_b32_e32 v25, 16, v17
	v_bfe_i32 v21, v21, 0, 16
	v_lshrrev_b32_e32 v17, 24, v17
	v_bfe_i32 v22, v22, 0, 8
	v_bfe_i32 v16, v16, 0, 8
	;; [unrolled: 1-line block ×3, first 2 shown]
	v_cvt_f32_i32_e32 v21, v21
	v_lshlrev_b32_e32 v1, 2, v1
	v_bfe_i32 v19, v19, 0, 16
	v_bfe_i32 v26, v18, 0, 8
	v_lshrrev_b32_e32 v27, 8, v18
	v_lshrrev_b32_e32 v28, 16, v18
	v_ashrrev_i32_e32 v8, 31, v1
	s_waitcnt lgkmcnt(0)
	v_add_co_u32 v7, vcc_lo, s6, v1
	v_lshrrev_b32_e32 v18, 24, v18
	v_bfe_i32 v24, v24, 0, 8
	v_add_co_ci_u32_e32 v8, vcc_lo, s7, v8, vcc_lo
	v_bfe_i32 v25, v25, 0, 8
	v_bfe_i32 v17, v17, 0, 8
	;; [unrolled: 1-line block ×3, first 2 shown]
	global_load_b32 v1, v[7:8], off
	v_bfe_i32 v7, v15, 0, 8
	v_lshrrev_b32_e32 v8, 8, v15
	v_lshrrev_b32_e32 v15, 24, v15
	v_cvt_f32_i32_e32 v20, v20
	v_bfe_i32 v22, v22, 0, 16
	v_bfe_i32 v7, v7, 0, 16
	;; [unrolled: 1-line block ×5, first 2 shown]
	v_cvt_f32_i32_e32 v19, v19
	v_cvt_f32_i32_e32 v7, v7
	v_bfe_i32 v8, v8, 0, 16
	v_bfe_i32 v15, v15, 0, 16
	v_bfe_i32 v27, v27, 0, 8
	v_bfe_i32 v28, v28, 0, 8
	v_bfe_i32 v18, v18, 0, 8
	v_cvt_f32_i32_e32 v8, v8
	v_cvt_f32_i32_e32 v15, v15
	v_bfe_i32 v26, v26, 0, 16
	v_cvt_f32_i32_e32 v23, v23
	v_bfe_i32 v24, v24, 0, 16
	v_bfe_i32 v25, v25, 0, 16
	;; [unrolled: 1-line block ×3, first 2 shown]
	v_cvt_f32_i32_e32 v22, v22
	v_cvt_f32_i32_e32 v16, v16
	v_cvt_f32_i32_e32 v26, v26
	v_bfe_i32 v27, v27, 0, 16
	v_bfe_i32 v28, v28, 0, 16
	;; [unrolled: 1-line block ×3, first 2 shown]
	v_cvt_f32_i32_e32 v24, v24
	v_cvt_f32_i32_e32 v25, v25
	;; [unrolled: 1-line block ×3, first 2 shown]
	v_add_co_u32 v2, vcc_lo, 0x100, v2
	v_cvt_f32_i32_e32 v27, v27
	v_cvt_f32_i32_e32 v28, v28
	;; [unrolled: 1-line block ×3, first 2 shown]
	v_add_co_ci_u32_e32 v3, vcc_lo, 0, v3, vcc_lo
	s_waitcnt vmcnt(0)
	v_bfe_i32 v29, v1, 0, 8
	v_lshrrev_b32_e32 v30, 8, v1
	v_lshrrev_b32_e32 v31, 16, v1
	;; [unrolled: 1-line block ×3, first 2 shown]
	s_delay_alu instid0(VALU_DEP_4) | instskip(NEXT) | instid1(VALU_DEP_4)
	v_bfe_i32 v29, v29, 0, 16
	v_bfe_i32 v30, v30, 0, 8
	s_delay_alu instid0(VALU_DEP_4) | instskip(NEXT) | instid1(VALU_DEP_4)
	v_bfe_i32 v31, v31, 0, 8
	v_bfe_i32 v1, v1, 0, 8
	s_delay_alu instid0(VALU_DEP_4) | instskip(NEXT) | instid1(VALU_DEP_4)
	v_cvt_f32_i32_e32 v29, v29
	v_bfe_i32 v30, v30, 0, 16
	v_add_nc_u32_e32 v6, -16, v6
	v_bfe_i32 v31, v31, 0, 16
	v_bfe_i32 v1, v1, 0, 16
	v_fmac_f32_e32 v11, v7, v29
	v_cvt_f32_i32_e32 v7, v30
	v_add_nc_u32_e32 v0, 16, v0
	v_fmac_f32_e32 v12, v19, v29
	v_fmac_f32_e32 v10, v15, v29
	v_cvt_f32_i32_e32 v1, v1
	v_fmac_f32_e32 v11, v20, v7
	v_fmac_f32_e32 v14, v8, v29
	v_cvt_f32_i32_e32 v8, v31
	v_fmac_f32_e32 v12, v22, v7
	v_cmp_eq_u32_e32 vcc_lo, 0, v6
	s_delay_alu instid0(VALU_DEP_3) | instskip(SKIP_1) | instid1(VALU_DEP_4)
	v_dual_fmac_f32 v11, v23, v8 :: v_dual_fmac_f32 v14, v21, v7
	v_fmac_f32_e32 v10, v16, v7
	v_fmac_f32_e32 v12, v25, v8
	s_or_b32 s3, vcc_lo, s3
	s_delay_alu instid0(VALU_DEP_3) | instskip(NEXT) | instid1(VALU_DEP_3)
	v_dual_fmac_f32 v11, v26, v1 :: v_dual_fmac_f32 v14, v24, v8
	v_fmac_f32_e32 v10, v17, v8
	s_delay_alu instid0(VALU_DEP_3) | instskip(NEXT) | instid1(VALU_DEP_3)
	v_fmac_f32_e32 v12, v28, v1
	v_fmac_f32_e32 v14, v27, v1
	s_delay_alu instid0(VALU_DEP_3)
	v_fmac_f32_e32 v10, v18, v1
	s_and_not1_b32 exec_lo, exec_lo, s3
	s_cbranch_execnz .LBB77_29
; %bb.30:
	s_or_b32 exec_lo, exec_lo, s3
.LBB77_31:
	s_delay_alu instid0(SALU_CYCLE_1) | instskip(NEXT) | instid1(SALU_CYCLE_1)
	s_or_b32 exec_lo, exec_lo, s2
	s_mov_b32 s10, exec_lo
	v_cmpx_lt_u32_e32 47, v5
	s_cbranch_execz .LBB77_35
; %bb.32:
	s_mov_b32 s11, 0
.LBB77_33:                              ; =>This Inner Loop Header: Depth=1
	v_ashrrev_i32_e32 v1, 31, v0
	s_delay_alu instid0(VALU_DEP_1) | instskip(NEXT) | instid1(VALU_DEP_1)
	v_lshlrev_b64 v[5:6], 2, v[0:1]
	v_add_co_u32 v5, vcc_lo, s8, v5
	s_delay_alu instid0(VALU_DEP_2)
	v_add_co_ci_u32_e32 v6, vcc_lo, s9, v6, vcc_lo
	s_clause 0x3
	global_load_b32 v1, v[5:6], off
	global_load_b32 v27, v[5:6], off offset:64
	global_load_b32 v28, v[5:6], off offset:128
	;; [unrolled: 1-line block ×3, first 2 shown]
	s_clause 0x3
	global_load_b128 v[5:8], v[2:3], off
	global_load_b128 v[15:18], v[2:3], off offset:256
	global_load_b128 v[19:22], v[2:3], off offset:512
	;; [unrolled: 1-line block ×3, first 2 shown]
	v_add_co_u32 v2, vcc_lo, 0x400, v2
	v_add_co_ci_u32_e32 v3, vcc_lo, 0, v3, vcc_lo
	s_waitcnt vmcnt(7)
	v_subrev_nc_u32_e32 v1, s18, v1
	s_waitcnt vmcnt(3)
	v_lshrrev_b32_e32 v34, 8, v5
	v_lshrrev_b32_e32 v35, 16, v5
	v_bfe_i32 v37, v6, 0, 8
	v_bfe_i32 v41, v7, 0, 8
	;; [unrolled: 1-line block ×5, first 2 shown]
	v_lshrrev_b32_e32 v36, 24, v5
	v_subrev_nc_u32_e32 v5, s18, v27
	v_lshrrev_b32_e32 v38, 8, v6
	v_bfe_i32 v34, v34, 0, 16
	v_bfe_i32 v35, v35, 0, 16
	v_lshrrev_b32_e32 v39, 16, v6
	v_lshrrev_b32_e32 v40, 24, v6
	v_subrev_nc_u32_e32 v6, s18, v28
	v_bfe_i32 v37, v37, 0, 16
	v_subrev_nc_u32_e32 v27, s18, v29
	v_bfe_i32 v41, v41, 0, 16
	v_cvt_f32_i32_e32 v34, v34
	v_lshlrev_b32_e32 v1, 2, v1
	v_cvt_f32_i32_e32 v35, v35
	v_lshlrev_b32_e32 v5, 2, v5
	;; [unrolled: 2-line block ×4, first 2 shown]
	v_ashrrev_i32_e32 v30, 31, v1
	v_ashrrev_i32_e32 v47, 31, v5
	;; [unrolled: 1-line block ×3, first 2 shown]
	s_waitcnt lgkmcnt(0)
	v_add_co_u32 v31, s4, s6, v1
	v_ashrrev_i32_e32 v49, 31, v28
	v_add_co_u32 v5, vcc_lo, s6, v5
	v_add_co_u32 v27, s2, s6, v6
	v_add_co_ci_u32_e64 v32, s4, s7, v30, s4
	v_add_co_u32 v29, s3, s6, v28
	v_add_co_ci_u32_e32 v6, vcc_lo, s7, v47, vcc_lo
	v_add_co_ci_u32_e64 v28, vcc_lo, s7, v48, s2
	v_add_co_ci_u32_e64 v30, vcc_lo, s7, v49, s3
	s_clause 0x3
	global_load_b32 v1, v[31:32], off
	global_load_b32 v5, v[5:6], off
	;; [unrolled: 1-line block ×4, first 2 shown]
	v_bfe_i32 v33, v33, 0, 16
	v_bfe_i32 v44, v8, 0, 8
	s_waitcnt vmcnt(6)
	v_lshrrev_b32_e32 v29, 8, v15
	v_bfe_i32 v28, v15, 0, 8
	v_bfe_i32 v36, v36, 0, 8
	v_cvt_f32_i32_e32 v33, v33
	v_bfe_i32 v38, v38, 0, 8
	v_bfe_i32 v44, v44, 0, 16
	;; [unrolled: 1-line block ×3, first 2 shown]
	v_lshrrev_b32_e32 v42, 8, v7
	v_lshrrev_b32_e32 v43, 16, v7
	;; [unrolled: 1-line block ×3, first 2 shown]
	v_bfe_i32 v31, v16, 0, 8
	v_bfe_i32 v40, v40, 0, 8
	;; [unrolled: 1-line block ×5, first 2 shown]
	v_cvt_f32_i32_e32 v44, v44
	v_bfe_i32 v29, v29, 0, 16
	v_lshrrev_b32_e32 v45, 8, v8
	v_lshrrev_b32_e32 v46, 16, v8
	;; [unrolled: 1-line block ×3, first 2 shown]
	s_waitcnt vmcnt(4)
	v_bfe_i32 v66, v23, 0, 8
	v_bfe_i32 v7, v7, 0, 8
	;; [unrolled: 1-line block ×4, first 2 shown]
	v_cvt_f32_i32_e32 v28, v28
	v_cvt_f32_i32_e32 v36, v36
	;; [unrolled: 1-line block ×4, first 2 shown]
	v_bfe_i32 v57, v20, 0, 8
	v_bfe_i32 v39, v39, 0, 8
	;; [unrolled: 1-line block ×5, first 2 shown]
	v_cvt_f32_i32_e32 v31, v31
	v_cvt_f32_i32_e32 v40, v40
	v_bfe_i32 v48, v17, 0, 8
	v_bfe_i32 v42, v42, 0, 8
	;; [unrolled: 1-line block ×6, first 2 shown]
	v_cvt_f32_i32_e32 v66, v66
	v_cvt_f32_i32_e32 v7, v7
	v_lshrrev_b32_e32 v30, 16, v15
	v_lshrrev_b32_e32 v15, 24, v15
	v_bfe_i32 v51, v18, 0, 8
	v_bfe_i32 v54, v19, 0, 8
	;; [unrolled: 1-line block ×7, first 2 shown]
	v_cvt_f32_i32_e32 v57, v57
	v_cvt_f32_i32_e32 v39, v39
	;; [unrolled: 1-line block ×3, first 2 shown]
	v_lshrrev_b32_e32 v32, 8, v16
	v_lshrrev_b32_e32 v47, 16, v16
	;; [unrolled: 1-line block ×3, first 2 shown]
	v_bfe_i32 v60, v21, 0, 8
	v_bfe_i32 v30, v30, 0, 8
	;; [unrolled: 1-line block ×7, first 2 shown]
	v_cvt_f32_i32_e32 v48, v48
	v_cvt_f32_i32_e32 v42, v42
	;; [unrolled: 1-line block ×3, first 2 shown]
	v_lshrrev_b32_e32 v49, 8, v17
	v_lshrrev_b32_e32 v50, 16, v17
	;; [unrolled: 1-line block ×3, first 2 shown]
	v_bfe_i32 v63, v22, 0, 8
	v_bfe_i32 v69, v24, 0, 8
	;; [unrolled: 1-line block ×8, first 2 shown]
	v_cvt_f32_i32_e32 v51, v51
	v_cvt_f32_i32_e32 v54, v54
	;; [unrolled: 1-line block ×4, first 2 shown]
	v_lshrrev_b32_e32 v52, 8, v18
	v_lshrrev_b32_e32 v53, 16, v18
	;; [unrolled: 1-line block ×3, first 2 shown]
	v_bfe_i32 v49, v49, 0, 8
	v_bfe_i32 v50, v50, 0, 8
	;; [unrolled: 1-line block ×8, first 2 shown]
	v_cvt_f32_i32_e32 v60, v60
	v_cvt_f32_i32_e32 v30, v30
	v_cvt_f32_i32_e32 v15, v15
	v_lshrrev_b32_e32 v55, 8, v19
	v_lshrrev_b32_e32 v56, 16, v19
	;; [unrolled: 1-line block ×3, first 2 shown]
	v_bfe_i32 v72, v25, 0, 8
	v_bfe_i32 v75, v26, 0, 8
	;; [unrolled: 1-line block ×8, first 2 shown]
	v_cvt_f32_i32_e32 v63, v63
	v_cvt_f32_i32_e32 v69, v69
	;; [unrolled: 1-line block ×5, first 2 shown]
	v_lshrrev_b32_e32 v58, 8, v20
	v_lshrrev_b32_e32 v59, 16, v20
	;; [unrolled: 1-line block ×3, first 2 shown]
	v_bfe_i32 v55, v55, 0, 8
	v_bfe_i32 v56, v56, 0, 8
	;; [unrolled: 1-line block ×8, first 2 shown]
	v_cvt_f32_i32_e32 v49, v49
	v_cvt_f32_i32_e32 v50, v50
	;; [unrolled: 1-line block ×3, first 2 shown]
	v_lshrrev_b32_e32 v61, 8, v21
	v_lshrrev_b32_e32 v62, 16, v21
	;; [unrolled: 1-line block ×3, first 2 shown]
	v_bfe_i32 v58, v58, 0, 8
	v_bfe_i32 v59, v59, 0, 8
	;; [unrolled: 1-line block ×6, first 2 shown]
	v_cvt_f32_i32_e32 v72, v72
	v_cvt_f32_i32_e32 v75, v75
	;; [unrolled: 1-line block ×5, first 2 shown]
	v_lshrrev_b32_e32 v64, 8, v22
	v_lshrrev_b32_e32 v65, 16, v22
	v_lshrrev_b32_e32 v22, 24, v22
	v_bfe_i32 v61, v61, 0, 8
	v_bfe_i32 v62, v62, 0, 8
	v_bfe_i32 v21, v21, 0, 8
	v_bfe_i32 v58, v58, 0, 16
	v_bfe_i32 v59, v59, 0, 16
	v_bfe_i32 v20, v20, 0, 16
	v_cvt_f32_i32_e32 v55, v55
	v_cvt_f32_i32_e32 v56, v56
	v_cvt_f32_i32_e32 v19, v19
	v_lshrrev_b32_e32 v67, 8, v23
	v_lshrrev_b32_e32 v68, 16, v23
	v_lshrrev_b32_e32 v23, 24, v23
	v_bfe_i32 v64, v64, 0, 8
	v_bfe_i32 v65, v65, 0, 8
	v_bfe_i32 v22, v22, 0, 8
	v_bfe_i32 v61, v61, 0, 16
	v_bfe_i32 v62, v62, 0, 16
	v_bfe_i32 v21, v21, 0, 16
	v_cvt_f32_i32_e32 v58, v58
	v_cvt_f32_i32_e32 v59, v59
	v_cvt_f32_i32_e32 v20, v20
	;; [unrolled: 12-line block ×5, first 2 shown]
	v_bfe_i32 v76, v76, 0, 8
	v_bfe_i32 v77, v77, 0, 8
	;; [unrolled: 1-line block ×6, first 2 shown]
	v_cvt_f32_i32_e32 v70, v70
	v_cvt_f32_i32_e32 v71, v71
	;; [unrolled: 1-line block ×3, first 2 shown]
	v_bfe_i32 v76, v76, 0, 16
	v_bfe_i32 v77, v77, 0, 16
	v_bfe_i32 v26, v26, 0, 16
	v_cvt_f32_i32_e32 v73, v73
	v_cvt_f32_i32_e32 v74, v74
	;; [unrolled: 1-line block ×6, first 2 shown]
	s_waitcnt vmcnt(3)
	v_bfe_i32 v79, v1, 0, 8
	v_lshrrev_b32_e32 v80, 8, v1
	v_lshrrev_b32_e32 v78, 16, v1
	;; [unrolled: 1-line block ×3, first 2 shown]
	s_waitcnt vmcnt(2)
	v_bfe_i32 v82, v5, 0, 8
	v_bfe_i32 v79, v79, 0, 16
	;; [unrolled: 1-line block ×6, first 2 shown]
	v_cvt_f32_i32_e32 v79, v79
	v_bfe_i32 v80, v80, 0, 16
	v_add_nc_u32_e32 v0, 64, v0
	v_bfe_i32 v78, v78, 0, 16
	v_bfe_i32 v1, v1, 0, 16
	v_fmac_f32_e32 v11, v33, v79
	v_cvt_f32_i32_e32 v33, v80
	v_fmac_f32_e32 v14, v34, v79
	v_cvt_f32_i32_e32 v34, v78
	v_cvt_f32_i32_e32 v1, v1
	s_waitcnt vmcnt(0)
	v_bfe_i32 v88, v27, 0, 8
	v_fmac_f32_e32 v11, v37, v33
	v_cvt_f32_i32_e32 v82, v82
	v_lshrrev_b32_e32 v81, 16, v5
	v_bfe_i32 v85, v6, 0, 8
	v_bfe_i32 v88, v88, 0, 16
	v_dual_fmac_f32 v11, v41, v34 :: v_dual_fmac_f32 v12, v35, v79
	s_delay_alu instid0(VALU_DEP_4) | instskip(SKIP_1) | instid1(VALU_DEP_4)
	v_bfe_i32 v81, v81, 0, 8
	v_lshrrev_b32_e32 v83, 8, v5
	v_cvt_f32_i32_e32 v88, v88
	s_delay_alu instid0(VALU_DEP_4)
	v_fmac_f32_e32 v11, v44, v1
	v_fmac_f32_e32 v14, v38, v33
	v_bfe_i32 v81, v81, 0, 16
	v_bfe_i32 v85, v85, 0, 16
	v_lshrrev_b32_e32 v5, 24, v5
	v_fmac_f32_e32 v11, v28, v82
	v_fmac_f32_e32 v10, v36, v79
	v_bfe_i32 v83, v83, 0, 8
	v_cvt_f32_i32_e32 v85, v85
	v_fmac_f32_e32 v14, v42, v34
	v_lshrrev_b32_e32 v87, 16, v27
	v_fmac_f32_e32 v10, v40, v33
	v_bfe_i32 v5, v5, 0, 8
	v_bfe_i32 v83, v83, 0, 16
	v_fmac_f32_e32 v14, v45, v1
	v_bfe_i32 v87, v87, 0, 8
	v_fmac_f32_e32 v10, v7, v34
	v_bfe_i32 v5, v5, 0, 16
	v_lshrrev_b32_e32 v86, 8, v6
	v_fmac_f32_e32 v14, v29, v82
	v_lshrrev_b32_e32 v84, 16, v6
	v_fmac_f32_e32 v10, v8, v1
	v_cvt_f32_i32_e32 v8, v81
	v_fmac_f32_e32 v12, v39, v33
	v_bfe_i32 v86, v86, 0, 8
	v_lshrrev_b32_e32 v6, 24, v6
	v_fmac_f32_e32 v10, v15, v82
	v_bfe_i32 v84, v84, 0, 8
	v_fmac_f32_e32 v12, v43, v34
	v_bfe_i32 v86, v86, 0, 16
	v_bfe_i32 v6, v6, 0, 8
	v_lshrrev_b32_e32 v89, 8, v27
	v_bfe_i32 v84, v84, 0, 16
	v_fmac_f32_e32 v12, v46, v1
	v_cvt_f32_i32_e32 v1, v83
	v_bfe_i32 v6, v6, 0, 16
	v_bfe_i32 v89, v89, 0, 8
	v_lshrrev_b32_e32 v27, 24, v27
	s_delay_alu instid0(VALU_DEP_4) | instskip(SKIP_3) | instid1(VALU_DEP_4)
	v_dual_fmac_f32 v12, v30, v82 :: v_dual_fmac_f32 v11, v31, v1
	v_fmac_f32_e32 v14, v32, v1
	v_fmac_f32_e32 v10, v16, v1
	v_bfe_i32 v7, v89, 0, 16
	v_fmac_f32_e32 v12, v47, v1
	v_cvt_f32_i32_e32 v1, v5
	v_bfe_i32 v5, v87, 0, 16
	v_fmac_f32_e32 v11, v48, v8
	v_fmac_f32_e32 v10, v17, v8
	;; [unrolled: 1-line block ×3, first 2 shown]
	v_bfe_i32 v27, v27, 0, 8
	v_cvt_f32_i32_e32 v5, v5
	v_dual_fmac_f32 v14, v49, v8 :: v_dual_fmac_f32 v11, v51, v1
	s_delay_alu instid0(VALU_DEP_4) | instskip(SKIP_2) | instid1(VALU_DEP_4)
	v_fmac_f32_e32 v12, v53, v1
	v_fmac_f32_e32 v10, v18, v1
	v_cvt_f32_i32_e32 v8, v84
	v_fmac_f32_e32 v14, v52, v1
	v_cvt_f32_i32_e32 v1, v86
	v_fmac_f32_e32 v11, v54, v85
	v_fmac_f32_e32 v12, v56, v85
	;; [unrolled: 1-line block ×4, first 2 shown]
	v_cmp_ge_i32_e32 vcc_lo, v0, v13
	v_fmac_f32_e32 v11, v57, v1
	v_fmac_f32_e32 v12, v59, v1
	;; [unrolled: 1-line block ×4, first 2 shown]
	v_cvt_f32_i32_e32 v1, v6
	v_fmac_f32_e32 v11, v60, v8
	v_fmac_f32_e32 v12, v62, v8
	;; [unrolled: 1-line block ×4, first 2 shown]
	v_bfe_i32 v6, v27, 0, 16
	v_fmac_f32_e32 v11, v63, v1
	v_fmac_f32_e32 v12, v65, v1
	v_fmac_f32_e32 v10, v22, v1
	v_fmac_f32_e32 v14, v64, v1
	v_cvt_f32_i32_e32 v1, v7
	v_fmac_f32_e32 v11, v66, v88
	v_fmac_f32_e32 v12, v68, v88
	v_fmac_f32_e32 v10, v23, v88
	v_fmac_f32_e32 v14, v67, v88
	s_or_b32 s11, vcc_lo, s11
	v_fmac_f32_e32 v11, v69, v1
	v_fmac_f32_e32 v12, v71, v1
	;; [unrolled: 1-line block ×4, first 2 shown]
	v_cvt_f32_i32_e32 v1, v6
	v_fmac_f32_e32 v11, v72, v5
	v_fmac_f32_e32 v12, v74, v5
	;; [unrolled: 1-line block ×4, first 2 shown]
	s_delay_alu instid0(VALU_DEP_4) | instskip(NEXT) | instid1(VALU_DEP_4)
	v_fmac_f32_e32 v11, v75, v1
	v_fmac_f32_e32 v12, v77, v1
	s_delay_alu instid0(VALU_DEP_4) | instskip(NEXT) | instid1(VALU_DEP_4)
	v_fmac_f32_e32 v10, v26, v1
	v_fmac_f32_e32 v14, v76, v1
	s_and_not1_b32 exec_lo, exec_lo, s11
	s_cbranch_execnz .LBB77_33
; %bb.34:
	s_or_b32 exec_lo, exec_lo, s11
.LBB77_35:
	s_delay_alu instid0(SALU_CYCLE_1)
	s_or_b32 exec_lo, exec_lo, s10
.LBB77_36:
	s_delay_alu instid0(SALU_CYCLE_1)
	s_or_b32 exec_lo, exec_lo, s5
.LBB77_37:
	v_mbcnt_lo_u32_b32 v0, -1, 0
	s_mov_b32 s2, -1
	s_delay_alu instid0(VALU_DEP_1) | instskip(SKIP_1) | instid1(VALU_DEP_2)
	v_xor_b32_e32 v1, 8, v0
	v_xor_b32_e32 v6, 4, v0
	v_cmp_gt_i32_e32 vcc_lo, 32, v1
	v_cndmask_b32_e32 v1, v0, v1, vcc_lo
	s_delay_alu instid0(VALU_DEP_3) | instskip(SKIP_1) | instid1(VALU_DEP_1)
	v_cmp_gt_i32_e32 vcc_lo, 32, v6
	v_cndmask_b32_e32 v6, v0, v6, vcc_lo
	v_lshlrev_b32_e32 v6, 2, v6
	s_delay_alu instid0(VALU_DEP_4)
	v_lshlrev_b32_e32 v1, 2, v1
	ds_bpermute_b32 v2, v1, v11
	s_waitcnt lgkmcnt(0)
	v_add_f32_e32 v2, v11, v2
	ds_bpermute_b32 v3, v1, v14
	ds_bpermute_b32 v5, v1, v12
	;; [unrolled: 1-line block ×3, first 2 shown]
	v_xor_b32_e32 v11, 2, v0
	ds_bpermute_b32 v7, v6, v2
	v_cmp_gt_i32_e32 vcc_lo, 32, v11
	s_waitcnt lgkmcnt(3)
	v_add_f32_e32 v3, v14, v3
	s_waitcnt lgkmcnt(2)
	v_add_f32_e32 v5, v12, v5
	s_waitcnt lgkmcnt(1)
	v_add_f32_e32 v1, v10, v1
	s_waitcnt lgkmcnt(0)
	v_add_f32_e32 v2, v2, v7
	ds_bpermute_b32 v8, v6, v3
	ds_bpermute_b32 v10, v6, v5
	;; [unrolled: 1-line block ×3, first 2 shown]
	v_cndmask_b32_e32 v11, v0, v11, vcc_lo
	s_waitcnt lgkmcnt(2)
	v_add_f32_e32 v3, v3, v8
	s_waitcnt lgkmcnt(1)
	v_add_f32_e32 v5, v5, v10
	s_waitcnt lgkmcnt(0)
	v_dual_add_f32 v6, v1, v6 :: v_dual_lshlrev_b32 v11, 2, v11
	ds_bpermute_b32 v1, v11, v2
	ds_bpermute_b32 v7, v11, v3
	;; [unrolled: 1-line block ×4, first 2 shown]
	v_xor_b32_e32 v11, 1, v0
	s_delay_alu instid0(VALU_DEP_1) | instskip(SKIP_3) | instid1(VALU_DEP_2)
	v_cmp_gt_i32_e32 vcc_lo, 32, v11
	v_cndmask_b32_e32 v0, v0, v11, vcc_lo
	v_cmp_eq_u32_e32 vcc_lo, 15, v9
	s_waitcnt lgkmcnt(3)
	v_dual_add_f32 v0, v2, v1 :: v_dual_lshlrev_b32 v11, 2, v0
	s_waitcnt lgkmcnt(1)
	v_dual_add_f32 v1, v3, v7 :: v_dual_add_f32 v2, v5, v8
	s_waitcnt lgkmcnt(0)
	v_add_f32_e32 v3, v6, v10
	ds_bpermute_b32 v5, v11, v0
	ds_bpermute_b32 v6, v11, v1
	;; [unrolled: 1-line block ×4, first 2 shown]
	s_and_b32 exec_lo, exec_lo, vcc_lo
	s_cbranch_execz .LBB77_10
; %bb.38:
	s_load_b64 s[0:1], s[0:1], 0x50
	s_waitcnt lgkmcnt(0)
	v_dual_add_f32 v0, v0, v5 :: v_dual_add_f32 v1, v1, v6
	v_dual_add_f32 v2, v2, v7 :: v_dual_add_f32 v3, v3, v8
	v_cmp_eq_f32_e64 s3, s12, 0
	s_delay_alu instid0(VALU_DEP_3) | instskip(NEXT) | instid1(VALU_DEP_3)
	v_dual_mul_f32 v0, s16, v0 :: v_dual_mul_f32 v1, s16, v1
	v_dual_mul_f32 v2, s16, v2 :: v_dual_mul_f32 v3, s16, v3
	v_lshlrev_b32_e32 v4, 2, v4
	s_delay_alu instid0(VALU_DEP_4)
	s_and_b32 vcc_lo, exec_lo, s3
	s_cbranch_vccz .LBB77_40
; %bb.39:
	s_delay_alu instid0(VALU_DEP_1) | instskip(SKIP_1) | instid1(VALU_DEP_1)
	v_ashrrev_i32_e32 v5, 31, v4
	s_mov_b32 s2, 0
	v_lshlrev_b64 v[5:6], 2, v[4:5]
	s_delay_alu instid0(VALU_DEP_1) | instskip(NEXT) | instid1(VALU_DEP_2)
	v_add_co_u32 v5, vcc_lo, s0, v5
	v_add_co_ci_u32_e32 v6, vcc_lo, s1, v6, vcc_lo
	global_store_b128 v[5:6], v[0:3], off
.LBB77_40:
	s_and_not1_b32 vcc_lo, exec_lo, s2
	s_cbranch_vccnz .LBB77_10
; %bb.41:
	v_ashrrev_i32_e32 v5, 31, v4
	s_delay_alu instid0(VALU_DEP_1) | instskip(NEXT) | instid1(VALU_DEP_1)
	v_lshlrev_b64 v[4:5], 2, v[4:5]
	v_add_co_u32 v8, vcc_lo, s0, v4
	s_delay_alu instid0(VALU_DEP_2)
	v_add_co_ci_u32_e32 v9, vcc_lo, s1, v5, vcc_lo
	global_load_b128 v[4:7], v[8:9], off
	s_waitcnt vmcnt(0)
	v_dual_fmac_f32 v0, s12, v4 :: v_dual_fmac_f32 v1, s12, v5
	v_dual_fmac_f32 v2, s12, v6 :: v_dual_fmac_f32 v3, s12, v7
	global_store_b128 v[8:9], v[0:3], off
	s_nop 0
	s_sendmsg sendmsg(MSG_DEALLOC_VGPRS)
	s_endpgm
	.section	.rodata,"a",@progbits
	.p2align	6, 0x0
	.amdhsa_kernel _ZN9rocsparseL18bsrxmvn_4x4_kernelILj128ELj16EfiiaafEEvT3_20rocsparse_direction_NS_24const_host_device_scalarIT1_EES1_PKS1_PKT2_SA_S7_PKT4_PKT5_S5_PT6_21rocsparse_index_base_b
		.amdhsa_group_segment_fixed_size 0
		.amdhsa_private_segment_fixed_size 0
		.amdhsa_kernarg_size 96
		.amdhsa_user_sgpr_count 15
		.amdhsa_user_sgpr_dispatch_ptr 0
		.amdhsa_user_sgpr_queue_ptr 0
		.amdhsa_user_sgpr_kernarg_segment_ptr 1
		.amdhsa_user_sgpr_dispatch_id 0
		.amdhsa_user_sgpr_private_segment_size 0
		.amdhsa_wavefront_size32 1
		.amdhsa_uses_dynamic_stack 0
		.amdhsa_enable_private_segment 0
		.amdhsa_system_sgpr_workgroup_id_x 1
		.amdhsa_system_sgpr_workgroup_id_y 0
		.amdhsa_system_sgpr_workgroup_id_z 0
		.amdhsa_system_sgpr_workgroup_info 0
		.amdhsa_system_vgpr_workitem_id 0
		.amdhsa_next_free_vgpr 94
		.amdhsa_next_free_sgpr 20
		.amdhsa_reserve_vcc 1
		.amdhsa_float_round_mode_32 0
		.amdhsa_float_round_mode_16_64 0
		.amdhsa_float_denorm_mode_32 3
		.amdhsa_float_denorm_mode_16_64 3
		.amdhsa_dx10_clamp 1
		.amdhsa_ieee_mode 1
		.amdhsa_fp16_overflow 0
		.amdhsa_workgroup_processor_mode 1
		.amdhsa_memory_ordered 1
		.amdhsa_forward_progress 0
		.amdhsa_shared_vgpr_count 0
		.amdhsa_exception_fp_ieee_invalid_op 0
		.amdhsa_exception_fp_denorm_src 0
		.amdhsa_exception_fp_ieee_div_zero 0
		.amdhsa_exception_fp_ieee_overflow 0
		.amdhsa_exception_fp_ieee_underflow 0
		.amdhsa_exception_fp_ieee_inexact 0
		.amdhsa_exception_int_div_zero 0
	.end_amdhsa_kernel
	.section	.text._ZN9rocsparseL18bsrxmvn_4x4_kernelILj128ELj16EfiiaafEEvT3_20rocsparse_direction_NS_24const_host_device_scalarIT1_EES1_PKS1_PKT2_SA_S7_PKT4_PKT5_S5_PT6_21rocsparse_index_base_b,"axG",@progbits,_ZN9rocsparseL18bsrxmvn_4x4_kernelILj128ELj16EfiiaafEEvT3_20rocsparse_direction_NS_24const_host_device_scalarIT1_EES1_PKS1_PKT2_SA_S7_PKT4_PKT5_S5_PT6_21rocsparse_index_base_b,comdat
.Lfunc_end77:
	.size	_ZN9rocsparseL18bsrxmvn_4x4_kernelILj128ELj16EfiiaafEEvT3_20rocsparse_direction_NS_24const_host_device_scalarIT1_EES1_PKS1_PKT2_SA_S7_PKT4_PKT5_S5_PT6_21rocsparse_index_base_b, .Lfunc_end77-_ZN9rocsparseL18bsrxmvn_4x4_kernelILj128ELj16EfiiaafEEvT3_20rocsparse_direction_NS_24const_host_device_scalarIT1_EES1_PKS1_PKT2_SA_S7_PKT4_PKT5_S5_PT6_21rocsparse_index_base_b
                                        ; -- End function
	.section	.AMDGPU.csdata,"",@progbits
; Kernel info:
; codeLenInByte = 7712
; NumSgprs: 22
; NumVgprs: 94
; ScratchSize: 0
; MemoryBound: 0
; FloatMode: 240
; IeeeMode: 1
; LDSByteSize: 0 bytes/workgroup (compile time only)
; SGPRBlocks: 2
; VGPRBlocks: 11
; NumSGPRsForWavesPerEU: 22
; NumVGPRsForWavesPerEU: 94
; Occupancy: 16
; WaveLimiterHint : 1
; COMPUTE_PGM_RSRC2:SCRATCH_EN: 0
; COMPUTE_PGM_RSRC2:USER_SGPR: 15
; COMPUTE_PGM_RSRC2:TRAP_HANDLER: 0
; COMPUTE_PGM_RSRC2:TGID_X_EN: 1
; COMPUTE_PGM_RSRC2:TGID_Y_EN: 0
; COMPUTE_PGM_RSRC2:TGID_Z_EN: 0
; COMPUTE_PGM_RSRC2:TIDIG_COMP_CNT: 0
	.section	.text._ZN9rocsparseL18bsrxmvn_4x4_kernelILj128ELj32EfiiaafEEvT3_20rocsparse_direction_NS_24const_host_device_scalarIT1_EES1_PKS1_PKT2_SA_S7_PKT4_PKT5_S5_PT6_21rocsparse_index_base_b,"axG",@progbits,_ZN9rocsparseL18bsrxmvn_4x4_kernelILj128ELj32EfiiaafEEvT3_20rocsparse_direction_NS_24const_host_device_scalarIT1_EES1_PKS1_PKT2_SA_S7_PKT4_PKT5_S5_PT6_21rocsparse_index_base_b,comdat
	.globl	_ZN9rocsparseL18bsrxmvn_4x4_kernelILj128ELj32EfiiaafEEvT3_20rocsparse_direction_NS_24const_host_device_scalarIT1_EES1_PKS1_PKT2_SA_S7_PKT4_PKT5_S5_PT6_21rocsparse_index_base_b ; -- Begin function _ZN9rocsparseL18bsrxmvn_4x4_kernelILj128ELj32EfiiaafEEvT3_20rocsparse_direction_NS_24const_host_device_scalarIT1_EES1_PKS1_PKT2_SA_S7_PKT4_PKT5_S5_PT6_21rocsparse_index_base_b
	.p2align	8
	.type	_ZN9rocsparseL18bsrxmvn_4x4_kernelILj128ELj32EfiiaafEEvT3_20rocsparse_direction_NS_24const_host_device_scalarIT1_EES1_PKS1_PKT2_SA_S7_PKT4_PKT5_S5_PT6_21rocsparse_index_base_b,@function
_ZN9rocsparseL18bsrxmvn_4x4_kernelILj128ELj32EfiiaafEEvT3_20rocsparse_direction_NS_24const_host_device_scalarIT1_EES1_PKS1_PKT2_SA_S7_PKT4_PKT5_S5_PT6_21rocsparse_index_base_b: ; @_ZN9rocsparseL18bsrxmvn_4x4_kernelILj128ELj32EfiiaafEEvT3_20rocsparse_direction_NS_24const_host_device_scalarIT1_EES1_PKS1_PKT2_SA_S7_PKT4_PKT5_S5_PT6_21rocsparse_index_base_b
; %bb.0:
	s_clause 0x2
	s_load_b64 s[18:19], s[0:1], 0x58
	s_load_b64 s[16:17], s[0:1], 0x8
	;; [unrolled: 1-line block ×3, first 2 shown]
	s_waitcnt lgkmcnt(0)
	s_bitcmp1_b32 s19, 0
	s_cselect_b32 s2, -1, 0
	s_delay_alu instid0(SALU_CYCLE_1)
	s_and_b32 vcc_lo, exec_lo, s2
	s_xor_b32 s2, s2, -1
	s_cbranch_vccnz .LBB78_2
; %bb.1:
	s_load_b32 s16, s[16:17], 0x0
.LBB78_2:
	s_and_not1_b32 vcc_lo, exec_lo, s2
	s_cbranch_vccnz .LBB78_4
; %bb.3:
	s_load_b32 s12, s[12:13], 0x0
.LBB78_4:
	s_waitcnt lgkmcnt(0)
	v_cmp_neq_f32_e64 s2, s16, 0
	v_cmp_neq_f32_e64 s3, s12, 1.0
	s_mov_b32 s6, 0
	s_delay_alu instid0(VALU_DEP_1) | instskip(NEXT) | instid1(SALU_CYCLE_1)
	s_or_b32 s2, s2, s3
	s_and_not1_b32 vcc_lo, exec_lo, s2
	s_cbranch_vccnz .LBB78_10
; %bb.5:
	s_clause 0x1
	s_load_b64 s[4:5], s[0:1], 0x18
	s_load_b64 s[2:3], s[0:1], 0x0
	v_lshrrev_b32_e32 v1, 5, v0
	s_delay_alu instid0(VALU_DEP_1)
	v_lshl_or_b32 v4, s15, 2, v1
	s_waitcnt lgkmcnt(0)
	s_cmp_lg_u64 s[4:5], 0
	s_cbranch_scc0 .LBB78_11
; %bb.6:
	s_load_b32 s6, s[0:1], 0x10
	s_mov_b32 s7, 0
                                        ; implicit-def: $vgpr1
	s_waitcnt lgkmcnt(0)
	v_cmp_gt_i32_e32 vcc_lo, s6, v4
	s_mov_b32 s6, 0
	s_and_saveexec_b32 s8, vcc_lo
	s_delay_alu instid0(SALU_CYCLE_1)
	s_xor_b32 s8, exec_lo, s8
	s_cbranch_execz .LBB78_8
; %bb.7:
	v_ashrrev_i32_e32 v5, 31, v4
	s_mov_b32 s6, exec_lo
	s_delay_alu instid0(VALU_DEP_1) | instskip(NEXT) | instid1(VALU_DEP_1)
	v_lshlrev_b64 v[1:2], 2, v[4:5]
	v_add_co_u32 v1, vcc_lo, s4, v1
	s_delay_alu instid0(VALU_DEP_2)
	v_add_co_ci_u32_e32 v2, vcc_lo, s5, v2, vcc_lo
	global_load_b32 v1, v[1:2], off
	s_waitcnt vmcnt(0)
	v_subrev_nc_u32_e32 v1, s18, v1
.LBB78_8:
	s_or_b32 exec_lo, exec_lo, s8
	s_delay_alu instid0(SALU_CYCLE_1)
	s_and_b32 vcc_lo, exec_lo, s7
	s_cbranch_vccz .LBB78_12
.LBB78_9:
	v_cmp_gt_i32_e32 vcc_lo, s2, v4
	s_and_not1_b32 s2, s6, exec_lo
	s_and_b32 s4, vcc_lo, exec_lo
	s_delay_alu instid0(SALU_CYCLE_1) | instskip(NEXT) | instid1(SALU_CYCLE_1)
	s_or_b32 s6, s2, s4
	s_and_saveexec_b32 s2, s6
	s_cbranch_execnz .LBB78_13
.LBB78_10:
	s_nop 0
	s_sendmsg sendmsg(MSG_DEALLOC_VGPRS)
	s_endpgm
.LBB78_11:
                                        ; implicit-def: $vgpr1
	s_cbranch_execnz .LBB78_9
.LBB78_12:
	s_delay_alu instid0(VALU_DEP_1)
	v_mov_b32_e32 v4, v1
	s_and_saveexec_b32 s2, s6
	s_cbranch_execz .LBB78_10
.LBB78_13:
	s_load_b256 s[4:11], s[0:1], 0x20
	s_delay_alu instid0(VALU_DEP_1) | instskip(SKIP_1) | instid1(VALU_DEP_2)
	v_ashrrev_i32_e32 v5, 31, v4
	v_and_b32_e32 v9, 31, v0
	v_lshlrev_b64 v[1:2], 2, v[4:5]
	s_waitcnt lgkmcnt(0)
	s_delay_alu instid0(VALU_DEP_1) | instskip(NEXT) | instid1(VALU_DEP_2)
	v_add_co_u32 v5, vcc_lo, s4, v1
	v_add_co_ci_u32_e32 v6, vcc_lo, s5, v2, vcc_lo
	v_add_co_u32 v1, vcc_lo, s6, v1
	v_add_co_ci_u32_e32 v2, vcc_lo, s7, v2, vcc_lo
	global_load_b32 v15, v[5:6], off
	v_add_co_u32 v3, vcc_lo, v5, 4
	v_add_co_ci_u32_e32 v5, vcc_lo, 0, v6, vcc_lo
	s_cmp_eq_u64 s[6:7], 0
	s_load_b64 s[6:7], s[0:1], 0x40
	s_cselect_b32 vcc_lo, -1, 0
	s_cmp_eq_u32 s3, 1
	v_dual_cndmask_b32 v2, v2, v5 :: v_dual_cndmask_b32 v1, v1, v3
	global_load_b32 v5, v[1:2], off
	s_waitcnt vmcnt(1)
	v_subrev_nc_u32_e32 v0, s18, v15
	s_delay_alu instid0(VALU_DEP_1) | instskip(NEXT) | instid1(VALU_DEP_1)
	v_add_nc_u32_e32 v0, v0, v9
	v_ashrrev_i32_e32 v1, 31, v0
	s_waitcnt vmcnt(0)
	v_subrev_nc_u32_e32 v14, s18, v5
	s_delay_alu instid0(VALU_DEP_2) | instskip(NEXT) | instid1(VALU_DEP_2)
	v_lshlrev_b64 v[2:3], 4, v[0:1]
	v_cmp_lt_i32_e64 s2, v0, v14
	s_delay_alu instid0(VALU_DEP_2) | instskip(NEXT) | instid1(VALU_DEP_3)
	v_add_co_u32 v2, vcc_lo, s10, v2
	v_add_co_ci_u32_e32 v3, vcc_lo, s11, v3, vcc_lo
	s_cbranch_scc1 .LBB78_25
; %bb.14:
	v_dual_mov_b32 v10, 0 :: v_dual_mov_b32 v13, 0
	v_dual_mov_b32 v12, 0 :: v_dual_mov_b32 v11, 0
	s_mov_b32 s10, 0
	s_and_saveexec_b32 s11, s2
	s_cbranch_execz .LBB78_24
; %bb.15:
	v_dual_mov_b32 v12, 0 :: v_dual_add_nc_u32 v1, v15, v9
	v_not_b32_e32 v5, v15
	v_mov_b32_e32 v13, 0
	s_mov_b32 s4, 0
	s_delay_alu instid0(VALU_DEP_3) | instskip(SKIP_3) | instid1(VALU_DEP_3)
	v_subrev_nc_u32_e32 v1, s18, v1
	s_mov_b32 s3, exec_lo
	v_mov_b32_e32 v10, 0
	v_dual_mov_b32 v8, v3 :: v_dual_mov_b32 v7, v2
	v_add_nc_u32_e32 v1, 32, v1
	s_delay_alu instid0(VALU_DEP_1) | instskip(NEXT) | instid1(VALU_DEP_1)
	v_max_i32_e32 v1, v1, v14
	v_add3_u32 v1, v1, s18, v5
	s_delay_alu instid0(VALU_DEP_1) | instskip(NEXT) | instid1(VALU_DEP_1)
	v_sub_nc_u32_e32 v1, v1, v9
	v_lshrrev_b32_e32 v5, 5, v1
	s_delay_alu instid0(VALU_DEP_1) | instskip(NEXT) | instid1(VALU_DEP_1)
	v_add_nc_u32_e32 v5, 1, v5
	v_dual_mov_b32 v11, 0 :: v_dual_and_b32 v6, 3, v5
	v_mov_b32_e32 v5, v0
	s_delay_alu instid0(VALU_DEP_2)
	v_cmpx_ne_u32_e32 0, v6
	s_cbranch_execz .LBB78_19
; %bb.16:
	v_dual_mov_b32 v8, v3 :: v_dual_mov_b32 v13, 0
	v_dual_mov_b32 v7, v2 :: v_dual_lshlrev_b32 v16, 4, v6
	v_dual_mov_b32 v10, 0 :: v_dual_mov_b32 v5, v0
	v_dual_mov_b32 v12, 0 :: v_dual_mov_b32 v11, 0
.LBB78_17:                              ; =>This Inner Loop Header: Depth=1
	s_delay_alu instid0(VALU_DEP_2) | instskip(NEXT) | instid1(VALU_DEP_1)
	v_ashrrev_i32_e32 v6, 31, v5
	v_lshlrev_b64 v[17:18], 2, v[5:6]
	s_delay_alu instid0(VALU_DEP_1) | instskip(NEXT) | instid1(VALU_DEP_2)
	v_add_co_u32 v17, vcc_lo, s8, v17
	v_add_co_ci_u32_e32 v18, vcc_lo, s9, v18, vcc_lo
	global_load_b32 v6, v[17:18], off
	global_load_b128 v[17:20], v[7:8], off
	s_waitcnt vmcnt(1)
	v_subrev_nc_u32_e32 v6, s18, v6
	s_waitcnt vmcnt(0)
	v_bfe_i32 v24, v18, 0, 8
	v_lshrrev_b32_e32 v25, 8, v18
	v_lshrrev_b32_e32 v23, 16, v17
	;; [unrolled: 1-line block ×3, first 2 shown]
	v_lshlrev_b32_e32 v6, 2, v6
	v_bfe_i32 v27, v19, 0, 8
	v_lshrrev_b32_e32 v28, 8, v19
	v_lshrrev_b32_e32 v29, 16, v19
	v_lshrrev_b32_e32 v19, 24, v19
	v_ashrrev_i32_e32 v22, 31, v6
	s_waitcnt lgkmcnt(0)
	v_add_co_u32 v21, vcc_lo, s6, v6
	v_bfe_i32 v30, v20, 0, 8
	v_lshrrev_b32_e32 v31, 8, v20
	v_add_co_ci_u32_e32 v22, vcc_lo, s7, v22, vcc_lo
	v_lshrrev_b32_e32 v32, 16, v20
	v_bfe_i32 v25, v25, 0, 8
	v_bfe_i32 v24, v24, 0, 16
	global_load_b32 v6, v[21:22], off
	v_bfe_i32 v21, v17, 0, 8
	v_lshrrev_b32_e32 v22, 8, v17
	v_lshrrev_b32_e32 v17, 24, v17
	;; [unrolled: 1-line block ×3, first 2 shown]
	v_bfe_i32 v23, v23, 0, 8
	v_bfe_i32 v21, v21, 0, 16
	;; [unrolled: 1-line block ×10, first 2 shown]
	v_cvt_f32_i32_e32 v21, v21
	v_bfe_i32 v22, v22, 0, 16
	v_cvt_f32_i32_e32 v24, v24
	v_bfe_i32 v25, v25, 0, 16
	v_lshrrev_b32_e32 v20, 24, v20
	v_bfe_i32 v17, v17, 0, 8
	v_bfe_i32 v18, v18, 0, 8
	;; [unrolled: 1-line block ×5, first 2 shown]
	v_cvt_f32_i32_e32 v27, v27
	v_bfe_i32 v28, v28, 0, 16
	v_bfe_i32 v19, v19, 0, 16
	v_cvt_f32_i32_e32 v30, v30
	v_bfe_i32 v31, v31, 0, 16
	v_bfe_i32 v32, v32, 0, 16
	v_cvt_f32_i32_e32 v22, v22
	v_cvt_f32_i32_e32 v25, v25
	v_bfe_i32 v20, v20, 0, 8
	v_bfe_i32 v17, v17, 0, 16
	;; [unrolled: 1-line block ×4, first 2 shown]
	v_cvt_f32_i32_e32 v23, v23
	v_cvt_f32_i32_e32 v26, v26
	;; [unrolled: 1-line block ×6, first 2 shown]
	v_bfe_i32 v20, v20, 0, 16
	v_cvt_f32_i32_e32 v17, v17
	v_cvt_f32_i32_e32 v18, v18
	;; [unrolled: 1-line block ×3, first 2 shown]
	v_add_co_u32 v7, vcc_lo, 0x200, v7
	v_cvt_f32_i32_e32 v20, v20
	v_add_co_ci_u32_e32 v8, vcc_lo, 0, v8, vcc_lo
	s_waitcnt vmcnt(0)
	v_bfe_i32 v33, v6, 0, 8
	v_lshrrev_b32_e32 v34, 8, v6
	v_lshrrev_b32_e32 v35, 16, v6
	v_lshrrev_b32_e32 v6, 24, v6
	s_delay_alu instid0(VALU_DEP_4) | instskip(NEXT) | instid1(VALU_DEP_4)
	v_bfe_i32 v33, v33, 0, 16
	v_bfe_i32 v34, v34, 0, 8
	s_delay_alu instid0(VALU_DEP_4) | instskip(NEXT) | instid1(VALU_DEP_4)
	v_bfe_i32 v35, v35, 0, 8
	v_bfe_i32 v6, v6, 0, 8
	s_delay_alu instid0(VALU_DEP_4) | instskip(NEXT) | instid1(VALU_DEP_4)
	v_cvt_f32_i32_e32 v33, v33
	v_bfe_i32 v34, v34, 0, 16
	v_add_nc_u32_e32 v16, -16, v16
	v_bfe_i32 v35, v35, 0, 16
	v_bfe_i32 v6, v6, 0, 16
	v_fmac_f32_e32 v13, v24, v33
	v_fmac_f32_e32 v11, v21, v33
	v_cvt_f32_i32_e32 v21, v34
	v_cvt_f32_i32_e32 v24, v35
	;; [unrolled: 1-line block ×3, first 2 shown]
	v_cmp_eq_u32_e32 vcc_lo, 0, v16
	s_delay_alu instid0(VALU_DEP_4)
	v_fmac_f32_e32 v11, v22, v21
	v_fmac_f32_e32 v10, v30, v33
	;; [unrolled: 1-line block ×4, first 2 shown]
	s_or_b32 s4, vcc_lo, s4
	v_fmac_f32_e32 v11, v23, v24
	s_delay_alu instid0(VALU_DEP_2) | instskip(NEXT) | instid1(VALU_DEP_2)
	v_dual_fmac_f32 v13, v26, v24 :: v_dual_fmac_f32 v12, v28, v21
	v_dual_fmac_f32 v10, v31, v21 :: v_dual_fmac_f32 v11, v17, v6
	v_add_nc_u32_e32 v5, 32, v5
	s_delay_alu instid0(VALU_DEP_3) | instskip(NEXT) | instid1(VALU_DEP_3)
	v_dual_fmac_f32 v13, v18, v6 :: v_dual_fmac_f32 v12, v29, v24
	v_fmac_f32_e32 v10, v32, v24
	s_delay_alu instid0(VALU_DEP_2) | instskip(NEXT) | instid1(VALU_DEP_2)
	v_fmac_f32_e32 v12, v19, v6
	v_fmac_f32_e32 v10, v20, v6
	s_and_not1_b32 exec_lo, exec_lo, s4
	s_cbranch_execnz .LBB78_17
; %bb.18:
	s_or_b32 exec_lo, exec_lo, s4
.LBB78_19:
	s_delay_alu instid0(SALU_CYCLE_1) | instskip(NEXT) | instid1(SALU_CYCLE_1)
	s_or_b32 exec_lo, exec_lo, s3
	s_mov_b32 s13, exec_lo
	v_cmpx_lt_u32_e32 0x5f, v1
	s_cbranch_execz .LBB78_23
; %bb.20:
	s_mov_b32 s14, 0
.LBB78_21:                              ; =>This Inner Loop Header: Depth=1
	v_ashrrev_i32_e32 v6, 31, v5
	s_delay_alu instid0(VALU_DEP_1) | instskip(NEXT) | instid1(VALU_DEP_1)
	v_lshlrev_b64 v[16:17], 2, v[5:6]
	v_add_co_u32 v16, vcc_lo, s8, v16
	s_delay_alu instid0(VALU_DEP_2)
	v_add_co_ci_u32_e32 v17, vcc_lo, s9, v17, vcc_lo
	s_clause 0x3
	global_load_b32 v1, v[16:17], off
	global_load_b32 v6, v[16:17], off offset:128
	global_load_b32 v32, v[16:17], off offset:256
	;; [unrolled: 1-line block ×3, first 2 shown]
	s_clause 0x3
	global_load_b128 v[16:19], v[7:8], off
	global_load_b128 v[20:23], v[7:8], off offset:512
	global_load_b128 v[24:27], v[7:8], off offset:1024
	;; [unrolled: 1-line block ×3, first 2 shown]
	v_add_co_u32 v7, vcc_lo, 0x800, v7
	v_add_co_ci_u32_e32 v8, vcc_lo, 0, v8, vcc_lo
	s_waitcnt vmcnt(7)
	v_subrev_nc_u32_e32 v1, s18, v1
	s_waitcnt vmcnt(6)
	v_subrev_nc_u32_e32 v6, s18, v6
	s_waitcnt vmcnt(3)
	v_lshrrev_b32_e32 v47, 8, v18
	v_bfe_i32 v49, v19, 0, 8
	v_bfe_i32 v38, v16, 0, 8
	;; [unrolled: 1-line block ×3, first 2 shown]
	v_lshrrev_b32_e32 v39, 8, v16
	v_bfe_i32 v47, v47, 0, 8
	v_bfe_i32 v49, v49, 0, 16
	;; [unrolled: 1-line block ×3, first 2 shown]
	v_lshrrev_b32_e32 v40, 16, v16
	v_lshrrev_b32_e32 v41, 24, v16
	v_subrev_nc_u32_e32 v16, s18, v32
	v_bfe_i32 v42, v42, 0, 16
	v_lshrrev_b32_e32 v43, 8, v17
	v_lshrrev_b32_e32 v44, 16, v17
	;; [unrolled: 1-line block ×3, first 2 shown]
	v_subrev_nc_u32_e32 v17, s18, v33
	v_bfe_i32 v47, v47, 0, 16
	v_cvt_f32_i32_e32 v49, v49
	v_lshlrev_b32_e32 v1, 2, v1
	v_cvt_f32_i32_e32 v38, v38
	v_lshlrev_b32_e32 v6, 2, v6
	;; [unrolled: 2-line block ×4, first 2 shown]
	v_ashrrev_i32_e32 v33, 31, v1
	v_ashrrev_i32_e32 v35, 31, v6
	s_waitcnt lgkmcnt(0)
	v_add_co_u32 v16, vcc_lo, s6, v6
	v_ashrrev_i32_e32 v6, 31, v32
	v_ashrrev_i32_e32 v52, 31, v17
	v_add_co_u32 v36, s5, s6, v1
	v_add_co_u32 v32, s3, s6, v32
	v_add_co_ci_u32_e64 v37, s5, s7, v33, s5
	v_add_co_u32 v34, s4, s6, v17
	v_add_co_ci_u32_e32 v17, vcc_lo, s7, v35, vcc_lo
	v_add_co_ci_u32_e64 v33, vcc_lo, s7, v6, s3
	v_add_co_ci_u32_e64 v35, vcc_lo, s7, v52, s4
	s_clause 0x3
	global_load_b32 v1, v[36:37], off
	global_load_b32 v6, v[16:17], off
	global_load_b32 v16, v[32:33], off
	global_load_b32 v17, v[34:35], off
	v_bfe_i32 v46, v18, 0, 8
	v_lshrrev_b32_e32 v48, 16, v18
	v_lshrrev_b32_e32 v18, 24, v18
	v_bfe_i32 v39, v39, 0, 8
	v_lshrrev_b32_e32 v50, 8, v19
	v_bfe_i32 v46, v46, 0, 16
	v_bfe_i32 v48, v48, 0, 8
	v_lshrrev_b32_e32 v51, 16, v19
	v_lshrrev_b32_e32 v19, 24, v19
	v_bfe_i32 v40, v40, 0, 8
	v_cvt_f32_i32_e32 v46, v46
	v_bfe_i32 v45, v45, 0, 8
	v_bfe_i32 v18, v18, 0, 8
	;; [unrolled: 1-line block ×4, first 2 shown]
	s_waitcnt vmcnt(6)
	v_bfe_i32 v35, v21, 0, 8
	v_lshrrev_b32_e32 v36, 8, v21
	v_lshrrev_b32_e32 v37, 16, v21
	;; [unrolled: 1-line block ×3, first 2 shown]
	v_bfe_i32 v52, v22, 0, 8
	v_lshrrev_b32_e32 v53, 8, v22
	v_bfe_i32 v41, v41, 0, 8
	v_bfe_i32 v43, v43, 0, 8
	v_bfe_i32 v50, v50, 0, 8
	v_bfe_i32 v19, v19, 0, 8
	v_bfe_i32 v40, v40, 0, 16
	v_bfe_i32 v45, v45, 0, 16
	v_bfe_i32 v18, v18, 0, 16
	v_cvt_f32_i32_e32 v39, v39
	v_cvt_f32_i32_e32 v48, v48
	v_bfe_i32 v32, v20, 0, 8
	v_lshrrev_b32_e32 v33, 8, v20
	v_lshrrev_b32_e32 v54, 16, v22
	;; [unrolled: 1-line block ×3, first 2 shown]
	v_bfe_i32 v55, v23, 0, 8
	v_lshrrev_b32_e32 v56, 8, v23
	v_lshrrev_b32_e32 v57, 16, v23
	;; [unrolled: 1-line block ×3, first 2 shown]
	v_bfe_i32 v44, v44, 0, 8
	v_bfe_i32 v51, v51, 0, 8
	;; [unrolled: 1-line block ×9, first 2 shown]
	v_cvt_f32_i32_e32 v40, v40
	v_cvt_f32_i32_e32 v45, v45
	;; [unrolled: 1-line block ×3, first 2 shown]
	v_bfe_i32 v33, v33, 0, 8
	v_bfe_i32 v22, v22, 0, 8
	;; [unrolled: 1-line block ×7, first 2 shown]
	v_cvt_f32_i32_e32 v52, v52
	v_bfe_i32 v53, v53, 0, 16
	v_cvt_f32_i32_e32 v41, v41
	v_cvt_f32_i32_e32 v43, v43
	;; [unrolled: 1-line block ×5, first 2 shown]
	v_bfe_i32 v33, v33, 0, 16
	v_bfe_i32 v22, v22, 0, 16
	;; [unrolled: 1-line block ×3, first 2 shown]
	v_cvt_f32_i32_e32 v44, v44
	v_cvt_f32_i32_e32 v51, v51
	v_cvt_f32_i32_e32 v21, v21
	v_cvt_f32_i32_e32 v53, v53
	v_lshrrev_b32_e32 v34, 16, v20
	v_lshrrev_b32_e32 v20, 24, v20
	v_bfe_i32 v36, v36, 0, 8
	v_bfe_i32 v54, v54, 0, 8
	;; [unrolled: 1-line block ×5, first 2 shown]
	v_cvt_f32_i32_e32 v33, v33
	v_cvt_f32_i32_e32 v22, v22
	;; [unrolled: 1-line block ×3, first 2 shown]
	v_bfe_i32 v34, v34, 0, 8
	v_bfe_i32 v20, v20, 0, 8
	v_cvt_f32_i32_e32 v35, v35
	v_bfe_i32 v36, v36, 0, 16
	v_bfe_i32 v54, v54, 0, 16
	v_cvt_f32_i32_e32 v55, v55
	v_bfe_i32 v56, v56, 0, 16
	s_waitcnt vmcnt(5)
	v_bfe_i32 v64, v26, 0, 8
	v_bfe_i32 v57, v57, 0, 8
	;; [unrolled: 1-line block ×4, first 2 shown]
	v_cvt_f32_i32_e32 v36, v36
	v_cvt_f32_i32_e32 v54, v54
	;; [unrolled: 1-line block ×3, first 2 shown]
	v_bfe_i32 v58, v24, 0, 8
	v_bfe_i32 v37, v37, 0, 8
	;; [unrolled: 1-line block ×4, first 2 shown]
	v_cvt_f32_i32_e32 v34, v34
	v_cvt_f32_i32_e32 v20, v20
	v_lshrrev_b32_e32 v59, 8, v24
	v_bfe_i32 v67, v27, 0, 8
	v_lshrrev_b32_e32 v68, 8, v27
	v_bfe_i32 v58, v58, 0, 16
	v_bfe_i32 v37, v37, 0, 16
	v_cvt_f32_i32_e32 v64, v64
	v_cvt_f32_i32_e32 v57, v57
	v_lshrrev_b32_e32 v60, 16, v24
	v_lshrrev_b32_e32 v63, 16, v25
	;; [unrolled: 1-line block ×4, first 2 shown]
	v_bfe_i32 v59, v59, 0, 8
	v_bfe_i32 v68, v68, 0, 8
	;; [unrolled: 1-line block ×3, first 2 shown]
	v_cvt_f32_i32_e32 v58, v58
	v_cvt_f32_i32_e32 v37, v37
	v_bfe_i32 v61, v25, 0, 8
	v_lshrrev_b32_e32 v62, 8, v25
	v_lshrrev_b32_e32 v66, 16, v26
	v_bfe_i32 v60, v60, 0, 8
	v_bfe_i32 v63, v63, 0, 8
	;; [unrolled: 1-line block ×5, first 2 shown]
	v_cvt_f32_i32_e32 v67, v67
	v_bfe_i32 v68, v68, 0, 16
	v_lshrrev_b32_e32 v26, 24, v26
	v_bfe_i32 v62, v62, 0, 8
	v_bfe_i32 v66, v66, 0, 8
	;; [unrolled: 1-line block ×7, first 2 shown]
	v_cvt_f32_i32_e32 v59, v59
	v_cvt_f32_i32_e32 v68, v68
	v_lshrrev_b32_e32 v27, 24, v27
	s_waitcnt vmcnt(4)
	v_bfe_i32 v76, v30, 0, 8
	v_bfe_i32 v26, v26, 0, 8
	v_cvt_f32_i32_e32 v61, v61
	v_bfe_i32 v62, v62, 0, 16
	v_bfe_i32 v66, v66, 0, 16
	v_cvt_f32_i32_e32 v60, v60
	v_cvt_f32_i32_e32 v63, v63
	;; [unrolled: 1-line block ×4, first 2 shown]
	v_lshrrev_b32_e32 v24, 24, v24
	v_lshrrev_b32_e32 v25, 24, v25
	v_bfe_i32 v73, v29, 0, 8
	v_bfe_i32 v27, v27, 0, 8
	;; [unrolled: 1-line block ×4, first 2 shown]
	v_cvt_f32_i32_e32 v62, v62
	v_cvt_f32_i32_e32 v66, v66
	v_bfe_i32 v70, v28, 0, 8
	v_lshrrev_b32_e32 v78, 16, v30
	v_bfe_i32 v79, v31, 0, 8
	v_lshrrev_b32_e32 v80, 8, v31
	v_bfe_i32 v24, v24, 0, 8
	v_bfe_i32 v25, v25, 0, 8
	;; [unrolled: 1-line block ×4, first 2 shown]
	v_cvt_f32_i32_e32 v76, v76
	v_cvt_f32_i32_e32 v26, v26
	v_lshrrev_b32_e32 v71, 8, v28
	v_lshrrev_b32_e32 v75, 16, v29
	;; [unrolled: 1-line block ×4, first 2 shown]
	v_bfe_i32 v78, v78, 0, 8
	v_bfe_i32 v80, v80, 0, 8
	;; [unrolled: 1-line block ×6, first 2 shown]
	v_cvt_f32_i32_e32 v73, v73
	v_cvt_f32_i32_e32 v27, v27
	v_lshrrev_b32_e32 v72, 16, v28
	v_bfe_i32 v71, v71, 0, 8
	v_bfe_i32 v75, v75, 0, 8
	;; [unrolled: 1-line block ×4, first 2 shown]
	v_cvt_f32_i32_e32 v70, v70
	v_bfe_i32 v78, v78, 0, 16
	v_cvt_f32_i32_e32 v79, v79
	v_bfe_i32 v80, v80, 0, 16
	v_cvt_f32_i32_e32 v24, v24
	v_cvt_f32_i32_e32 v25, v25
	v_lshrrev_b32_e32 v74, 8, v29
	v_bfe_i32 v72, v72, 0, 8
	v_bfe_i32 v71, v71, 0, 16
	;; [unrolled: 1-line block ×5, first 2 shown]
	v_cvt_f32_i32_e32 v78, v78
	v_cvt_f32_i32_e32 v80, v80
	v_bfe_i32 v74, v74, 0, 8
	v_bfe_i32 v72, v72, 0, 16
	v_cvt_f32_i32_e32 v71, v71
	v_cvt_f32_i32_e32 v75, v75
	;; [unrolled: 1-line block ×4, first 2 shown]
	v_lshrrev_b32_e32 v28, 24, v28
	v_lshrrev_b32_e32 v29, 24, v29
	;; [unrolled: 1-line block ×4, first 2 shown]
	v_bfe_i32 v74, v74, 0, 16
	v_cvt_f32_i32_e32 v72, v72
	v_bfe_i32 v28, v28, 0, 8
	v_bfe_i32 v29, v29, 0, 8
	;; [unrolled: 1-line block ×4, first 2 shown]
	v_cvt_f32_i32_e32 v74, v74
	v_bfe_i32 v28, v28, 0, 16
	v_bfe_i32 v29, v29, 0, 16
	;; [unrolled: 1-line block ×4, first 2 shown]
	s_delay_alu instid0(VALU_DEP_4) | instskip(NEXT) | instid1(VALU_DEP_4)
	v_cvt_f32_i32_e32 v28, v28
	v_cvt_f32_i32_e32 v29, v29
	s_delay_alu instid0(VALU_DEP_4) | instskip(NEXT) | instid1(VALU_DEP_4)
	v_cvt_f32_i32_e32 v30, v30
	v_cvt_f32_i32_e32 v31, v31
	s_waitcnt vmcnt(3)
	v_bfe_i32 v83, v1, 0, 8
	v_lshrrev_b32_e32 v84, 8, v1
	v_lshrrev_b32_e32 v82, 16, v1
	v_lshrrev_b32_e32 v1, 24, v1
	s_waitcnt vmcnt(2)
	v_bfe_i32 v86, v6, 0, 8
	v_bfe_i32 v83, v83, 0, 16
	;; [unrolled: 1-line block ×6, first 2 shown]
	v_cvt_f32_i32_e32 v83, v83
	v_bfe_i32 v84, v84, 0, 16
	v_add_nc_u32_e32 v5, 0x80, v5
	v_bfe_i32 v82, v82, 0, 16
	v_bfe_i32 v1, v1, 0, 16
	v_fmac_f32_e32 v12, v46, v83
	v_fmac_f32_e32 v11, v38, v83
	v_cvt_f32_i32_e32 v38, v84
	v_fmac_f32_e32 v13, v42, v83
	v_cvt_f32_i32_e32 v42, v82
	v_cvt_f32_i32_e32 v1, v1
	v_lshrrev_b32_e32 v87, 8, v6
	v_fmac_f32_e32 v12, v47, v38
	v_cvt_f32_i32_e32 v86, v86
	v_fmac_f32_e32 v10, v49, v83
	v_lshrrev_b32_e32 v85, 16, v6
	v_bfe_i32 v87, v87, 0, 8
	v_fmac_f32_e32 v12, v48, v42
	v_fmac_f32_e32 v11, v39, v38
	v_lshrrev_b32_e32 v6, 24, v6
	v_bfe_i32 v85, v85, 0, 8
	v_bfe_i32 v87, v87, 0, 16
	s_delay_alu instid0(VALU_DEP_4) | instskip(SKIP_3) | instid1(VALU_DEP_4)
	v_dual_fmac_f32 v12, v18, v1 :: v_dual_fmac_f32 v11, v40, v42
	v_fmac_f32_e32 v10, v50, v38
	v_bfe_i32 v6, v6, 0, 8
	v_bfe_i32 v85, v85, 0, 16
	v_fmac_f32_e32 v12, v52, v86
	v_fmac_f32_e32 v13, v43, v38
	;; [unrolled: 1-line block ×3, first 2 shown]
	s_waitcnt vmcnt(1)
	v_bfe_i32 v89, v16, 0, 8
	v_bfe_i32 v6, v6, 0, 16
	v_cvt_f32_i32_e32 v18, v85
	v_fmac_f32_e32 v13, v44, v42
	v_fmac_f32_e32 v11, v32, v86
	;; [unrolled: 1-line block ×3, first 2 shown]
	v_bfe_i32 v89, v89, 0, 16
	v_lshrrev_b32_e32 v90, 8, v16
	v_fmac_f32_e32 v13, v45, v1
	v_lshrrev_b32_e32 v88, 16, v16
	v_fmac_f32_e32 v10, v19, v1
	v_cvt_f32_i32_e32 v1, v87
	v_cvt_f32_i32_e32 v89, v89
	v_bfe_i32 v90, v90, 0, 8
	v_bfe_i32 v88, v88, 0, 8
	v_fmac_f32_e32 v10, v55, v86
	v_dual_fmac_f32 v13, v35, v86 :: v_dual_fmac_f32 v12, v53, v1
	v_fmac_f32_e32 v11, v33, v1
	v_bfe_i32 v90, v90, 0, 16
	s_delay_alu instid0(VALU_DEP_4) | instskip(NEXT) | instid1(VALU_DEP_4)
	v_fmac_f32_e32 v10, v56, v1
	v_fmac_f32_e32 v13, v36, v1
	v_cvt_f32_i32_e32 v1, v6
	v_fmac_f32_e32 v12, v54, v18
	v_lshrrev_b32_e32 v16, 24, v16
	v_bfe_i32 v88, v88, 0, 16
	s_waitcnt vmcnt(0)
	v_bfe_i32 v92, v17, 0, 8
	v_lshrrev_b32_e32 v91, 16, v17
	v_fmac_f32_e32 v12, v22, v1
	v_fmac_f32_e32 v11, v34, v18
	v_bfe_i32 v16, v16, 0, 8
	v_bfe_i32 v92, v92, 0, 16
	v_lshrrev_b32_e32 v93, 8, v17
	v_fmac_f32_e32 v12, v64, v89
	v_dual_fmac_f32 v11, v20, v1 :: v_dual_fmac_f32 v10, v57, v18
	v_bfe_i32 v16, v16, 0, 16
	v_cvt_f32_i32_e32 v92, v92
	v_bfe_i32 v93, v93, 0, 8
	s_delay_alu instid0(VALU_DEP_4) | instskip(SKIP_4) | instid1(VALU_DEP_4)
	v_fmac_f32_e32 v11, v58, v89
	v_dual_fmac_f32 v10, v23, v1 :: v_dual_fmac_f32 v13, v37, v18
	v_cvt_f32_i32_e32 v18, v88
	v_bfe_i32 v91, v91, 0, 8
	v_bfe_i32 v38, v93, 0, 16
	v_fmac_f32_e32 v10, v67, v89
	v_fmac_f32_e32 v13, v21, v1
	v_cvt_f32_i32_e32 v1, v90
	v_bfe_i32 v6, v91, 0, 16
	v_lshrrev_b32_e32 v17, 24, v17
	v_cmp_ge_i32_e32 vcc_lo, v5, v14
	s_delay_alu instid0(VALU_DEP_4)
	v_fmac_f32_e32 v10, v68, v1
	v_fmac_f32_e32 v11, v59, v1
	v_cvt_f32_i32_e32 v6, v6
	v_bfe_i32 v17, v17, 0, 8
	s_or_b32 s14, vcc_lo, s14
	v_fmac_f32_e32 v10, v69, v18
	v_dual_fmac_f32 v12, v65, v1 :: v_dual_fmac_f32 v11, v60, v18
	s_delay_alu instid0(VALU_DEP_1) | instskip(NEXT) | instid1(VALU_DEP_1)
	v_dual_fmac_f32 v13, v61, v89 :: v_dual_fmac_f32 v12, v66, v18
	v_fmac_f32_e32 v13, v62, v1
	v_cvt_f32_i32_e32 v1, v16
	v_bfe_i32 v16, v17, 0, 16
	s_delay_alu instid0(VALU_DEP_2) | instskip(SKIP_2) | instid1(VALU_DEP_3)
	v_fmac_f32_e32 v12, v26, v1
	v_fmac_f32_e32 v10, v27, v1
	;; [unrolled: 1-line block ×4, first 2 shown]
	s_delay_alu instid0(VALU_DEP_3) | instskip(SKIP_1) | instid1(VALU_DEP_4)
	v_fmac_f32_e32 v10, v79, v92
	v_fmac_f32_e32 v13, v63, v18
	;; [unrolled: 1-line block ×3, first 2 shown]
	s_delay_alu instid0(VALU_DEP_2) | instskip(SKIP_1) | instid1(VALU_DEP_1)
	v_fmac_f32_e32 v13, v25, v1
	v_cvt_f32_i32_e32 v1, v38
	v_fmac_f32_e32 v10, v80, v1
	s_delay_alu instid0(VALU_DEP_1) | instskip(NEXT) | instid1(VALU_DEP_1)
	v_dual_fmac_f32 v11, v71, v1 :: v_dual_fmac_f32 v10, v81, v6
	v_dual_fmac_f32 v12, v77, v1 :: v_dual_fmac_f32 v11, v72, v6
	s_delay_alu instid0(VALU_DEP_1) | instskip(NEXT) | instid1(VALU_DEP_1)
	v_dual_fmac_f32 v12, v78, v6 :: v_dual_fmac_f32 v13, v73, v92
	v_fmac_f32_e32 v13, v74, v1
	v_cvt_f32_i32_e32 v1, v16
	s_delay_alu instid0(VALU_DEP_2) | instskip(NEXT) | instid1(VALU_DEP_2)
	v_fmac_f32_e32 v13, v75, v6
	v_fmac_f32_e32 v11, v28, v1
	;; [unrolled: 1-line block ×4, first 2 shown]
	s_delay_alu instid0(VALU_DEP_4)
	v_fmac_f32_e32 v13, v29, v1
	s_and_not1_b32 exec_lo, exec_lo, s14
	s_cbranch_execnz .LBB78_21
; %bb.22:
	s_or_b32 exec_lo, exec_lo, s14
.LBB78_23:
	s_delay_alu instid0(SALU_CYCLE_1)
	s_or_b32 exec_lo, exec_lo, s13
.LBB78_24:
	s_delay_alu instid0(SALU_CYCLE_1) | instskip(NEXT) | instid1(SALU_CYCLE_1)
	s_or_b32 exec_lo, exec_lo, s11
	s_and_not1_b32 vcc_lo, exec_lo, s10
	s_cbranch_vccz .LBB78_26
	s_branch .LBB78_37
.LBB78_25:
                                        ; implicit-def: $vgpr10
                                        ; implicit-def: $vgpr12
                                        ; implicit-def: $vgpr13
                                        ; implicit-def: $vgpr11
.LBB78_26:
	v_dual_mov_b32 v10, 0 :: v_dual_mov_b32 v13, 0
	v_dual_mov_b32 v12, 0 :: v_dual_mov_b32 v11, 0
	s_and_saveexec_b32 s5, s2
	s_cbranch_execz .LBB78_36
; %bb.27:
	v_dual_mov_b32 v12, 0 :: v_dual_add_nc_u32 v1, v15, v9
	v_not_b32_e32 v5, v15
	v_mov_b32_e32 v11, 0
	v_mov_b32_e32 v13, 0
	s_delay_alu instid0(VALU_DEP_4) | instskip(SKIP_2) | instid1(VALU_DEP_1)
	v_subrev_nc_u32_e32 v1, s18, v1
	s_mov_b32 s3, 0
	s_mov_b32 s2, exec_lo
	v_dual_mov_b32 v10, 0 :: v_dual_add_nc_u32 v1, 32, v1
	s_delay_alu instid0(VALU_DEP_1) | instskip(NEXT) | instid1(VALU_DEP_1)
	v_max_i32_e32 v1, v1, v14
	v_add3_u32 v1, v1, s18, v5
	s_delay_alu instid0(VALU_DEP_1) | instskip(NEXT) | instid1(VALU_DEP_1)
	v_sub_nc_u32_e32 v5, v1, v9
	v_lshrrev_b32_e32 v1, 5, v5
	s_delay_alu instid0(VALU_DEP_1) | instskip(NEXT) | instid1(VALU_DEP_1)
	v_add_nc_u32_e32 v1, 1, v1
	v_and_b32_e32 v1, 3, v1
	s_delay_alu instid0(VALU_DEP_1)
	v_cmpx_ne_u32_e32 0, v1
	s_cbranch_execz .LBB78_31
; %bb.28:
	v_dual_mov_b32 v13, 0 :: v_dual_lshlrev_b32 v6, 4, v1
	v_dual_mov_b32 v10, 0 :: v_dual_mov_b32 v11, 0
	v_mov_b32_e32 v12, 0
.LBB78_29:                              ; =>This Inner Loop Header: Depth=1
	v_ashrrev_i32_e32 v1, 31, v0
	s_delay_alu instid0(VALU_DEP_1) | instskip(NEXT) | instid1(VALU_DEP_1)
	v_lshlrev_b64 v[7:8], 2, v[0:1]
	v_add_co_u32 v7, vcc_lo, s8, v7
	s_delay_alu instid0(VALU_DEP_2)
	v_add_co_ci_u32_e32 v8, vcc_lo, s9, v8, vcc_lo
	global_load_b32 v1, v[7:8], off
	global_load_b128 v[15:18], v[2:3], off
	s_waitcnt vmcnt(1)
	v_subrev_nc_u32_e32 v1, s18, v1
	s_waitcnt vmcnt(0)
	v_lshrrev_b32_e32 v22, 16, v16
	v_lshrrev_b32_e32 v19, 16, v15
	v_bfe_i32 v20, v16, 0, 8
	v_lshrrev_b32_e32 v21, 8, v16
	v_lshrrev_b32_e32 v16, 24, v16
	v_bfe_i32 v22, v22, 0, 8
	v_bfe_i32 v19, v19, 0, 8
	;; [unrolled: 1-line block ×3, first 2 shown]
	v_lshrrev_b32_e32 v24, 8, v17
	v_lshrrev_b32_e32 v25, 16, v17
	v_bfe_i32 v22, v22, 0, 16
	v_lshrrev_b32_e32 v17, 24, v17
	v_bfe_i32 v21, v21, 0, 8
	v_bfe_i32 v16, v16, 0, 8
	;; [unrolled: 1-line block ×3, first 2 shown]
	v_cvt_f32_i32_e32 v22, v22
	v_lshlrev_b32_e32 v1, 2, v1
	v_bfe_i32 v26, v18, 0, 8
	v_lshrrev_b32_e32 v27, 8, v18
	v_lshrrev_b32_e32 v28, 16, v18
	;; [unrolled: 1-line block ×3, first 2 shown]
	v_ashrrev_i32_e32 v8, 31, v1
	s_waitcnt lgkmcnt(0)
	v_add_co_u32 v7, vcc_lo, s6, v1
	v_bfe_i32 v24, v24, 0, 8
	v_bfe_i32 v25, v25, 0, 8
	v_add_co_ci_u32_e32 v8, vcc_lo, s7, v8, vcc_lo
	v_bfe_i32 v17, v17, 0, 8
	v_bfe_i32 v20, v20, 0, 16
	;; [unrolled: 1-line block ×3, first 2 shown]
	global_load_b32 v1, v[7:8], off
	v_bfe_i32 v7, v15, 0, 8
	v_lshrrev_b32_e32 v8, 8, v15
	v_lshrrev_b32_e32 v15, 24, v15
	v_bfe_i32 v16, v16, 0, 16
	v_cvt_f32_i32_e32 v19, v19
	v_bfe_i32 v7, v7, 0, 16
	v_bfe_i32 v8, v8, 0, 8
	;; [unrolled: 1-line block ×5, first 2 shown]
	v_cvt_f32_i32_e32 v7, v7
	v_bfe_i32 v8, v8, 0, 16
	v_bfe_i32 v15, v15, 0, 16
	;; [unrolled: 1-line block ×4, first 2 shown]
	v_cvt_f32_i32_e32 v20, v20
	v_cvt_f32_i32_e32 v8, v8
	;; [unrolled: 1-line block ×3, first 2 shown]
	v_bfe_i32 v24, v24, 0, 16
	v_bfe_i32 v25, v25, 0, 16
	;; [unrolled: 1-line block ×3, first 2 shown]
	v_cvt_f32_i32_e32 v21, v21
	v_cvt_f32_i32_e32 v16, v16
	v_bfe_i32 v26, v26, 0, 16
	v_cvt_f32_i32_e32 v23, v23
	v_bfe_i32 v27, v27, 0, 16
	v_bfe_i32 v28, v28, 0, 16
	;; [unrolled: 1-line block ×3, first 2 shown]
	v_cvt_f32_i32_e32 v24, v24
	v_cvt_f32_i32_e32 v25, v25
	;; [unrolled: 1-line block ×3, first 2 shown]
	v_add_co_u32 v2, vcc_lo, 0x200, v2
	v_cvt_f32_i32_e32 v26, v26
	v_cvt_f32_i32_e32 v27, v27
	;; [unrolled: 1-line block ×4, first 2 shown]
	v_add_co_ci_u32_e32 v3, vcc_lo, 0, v3, vcc_lo
	s_waitcnt vmcnt(0)
	v_bfe_i32 v29, v1, 0, 8
	v_lshrrev_b32_e32 v30, 8, v1
	v_lshrrev_b32_e32 v31, 16, v1
	;; [unrolled: 1-line block ×3, first 2 shown]
	s_delay_alu instid0(VALU_DEP_4) | instskip(NEXT) | instid1(VALU_DEP_4)
	v_bfe_i32 v29, v29, 0, 16
	v_bfe_i32 v30, v30, 0, 8
	s_delay_alu instid0(VALU_DEP_4) | instskip(NEXT) | instid1(VALU_DEP_4)
	v_bfe_i32 v31, v31, 0, 8
	v_bfe_i32 v1, v1, 0, 8
	s_delay_alu instid0(VALU_DEP_4) | instskip(NEXT) | instid1(VALU_DEP_4)
	v_cvt_f32_i32_e32 v29, v29
	v_bfe_i32 v30, v30, 0, 16
	v_add_nc_u32_e32 v6, -16, v6
	v_add_nc_u32_e32 v0, 32, v0
	v_bfe_i32 v31, v31, 0, 16
	v_fmac_f32_e32 v13, v8, v29
	v_fmac_f32_e32 v11, v7, v29
	v_cvt_f32_i32_e32 v7, v30
	v_fmac_f32_e32 v12, v19, v29
	v_fmac_f32_e32 v10, v15, v29
	v_bfe_i32 v1, v1, 0, 16
	v_cvt_f32_i32_e32 v8, v31
	v_fmac_f32_e32 v13, v21, v7
	v_fmac_f32_e32 v11, v20, v7
	;; [unrolled: 1-line block ×4, first 2 shown]
	v_cvt_f32_i32_e32 v1, v1
	v_cmp_eq_u32_e32 vcc_lo, 0, v6
	v_fmac_f32_e32 v11, v23, v8
	v_fmac_f32_e32 v12, v25, v8
	;; [unrolled: 1-line block ×4, first 2 shown]
	s_or_b32 s3, vcc_lo, s3
	v_fmac_f32_e32 v11, v26, v1
	v_fmac_f32_e32 v12, v28, v1
	;; [unrolled: 1-line block ×4, first 2 shown]
	s_and_not1_b32 exec_lo, exec_lo, s3
	s_cbranch_execnz .LBB78_29
; %bb.30:
	s_or_b32 exec_lo, exec_lo, s3
.LBB78_31:
	s_delay_alu instid0(SALU_CYCLE_1) | instskip(NEXT) | instid1(SALU_CYCLE_1)
	s_or_b32 exec_lo, exec_lo, s2
	s_mov_b32 s10, exec_lo
	v_cmpx_lt_u32_e32 0x5f, v5
	s_cbranch_execz .LBB78_35
; %bb.32:
	s_mov_b32 s11, 0
.LBB78_33:                              ; =>This Inner Loop Header: Depth=1
	v_ashrrev_i32_e32 v1, 31, v0
	s_delay_alu instid0(VALU_DEP_1) | instskip(NEXT) | instid1(VALU_DEP_1)
	v_lshlrev_b64 v[5:6], 2, v[0:1]
	v_add_co_u32 v5, vcc_lo, s8, v5
	s_delay_alu instid0(VALU_DEP_2)
	v_add_co_ci_u32_e32 v6, vcc_lo, s9, v6, vcc_lo
	s_clause 0x3
	global_load_b32 v1, v[5:6], off
	global_load_b32 v27, v[5:6], off offset:128
	global_load_b32 v28, v[5:6], off offset:256
	;; [unrolled: 1-line block ×3, first 2 shown]
	s_clause 0x3
	global_load_b128 v[5:8], v[2:3], off
	global_load_b128 v[15:18], v[2:3], off offset:512
	global_load_b128 v[19:22], v[2:3], off offset:1024
	;; [unrolled: 1-line block ×3, first 2 shown]
	v_add_co_u32 v2, vcc_lo, 0x800, v2
	v_add_co_ci_u32_e32 v3, vcc_lo, 0, v3, vcc_lo
	s_waitcnt vmcnt(7)
	v_subrev_nc_u32_e32 v1, s18, v1
	s_waitcnt vmcnt(3)
	v_lshrrev_b32_e32 v35, 16, v5
	v_lshrrev_b32_e32 v36, 24, v5
	;; [unrolled: 1-line block ×3, first 2 shown]
	v_bfe_i32 v37, v6, 0, 8
	v_bfe_i32 v33, v5, 0, 8
	;; [unrolled: 1-line block ×5, first 2 shown]
	v_subrev_nc_u32_e32 v5, s18, v27
	v_lshrrev_b32_e32 v38, 8, v6
	v_bfe_i32 v35, v35, 0, 16
	v_bfe_i32 v36, v36, 0, 16
	v_lshrrev_b32_e32 v39, 16, v6
	v_lshrrev_b32_e32 v40, 24, v6
	v_subrev_nc_u32_e32 v6, s18, v28
	v_bfe_i32 v34, v34, 0, 16
	v_subrev_nc_u32_e32 v27, s18, v29
	v_bfe_i32 v37, v37, 0, 16
	v_cvt_f32_i32_e32 v35, v35
	v_lshlrev_b32_e32 v1, 2, v1
	v_cvt_f32_i32_e32 v36, v36
	v_lshlrev_b32_e32 v5, 2, v5
	;; [unrolled: 2-line block ×4, first 2 shown]
	v_ashrrev_i32_e32 v30, 31, v1
	v_ashrrev_i32_e32 v47, 31, v5
	;; [unrolled: 1-line block ×3, first 2 shown]
	s_waitcnt lgkmcnt(0)
	v_add_co_u32 v31, s4, s6, v1
	v_ashrrev_i32_e32 v49, 31, v28
	v_add_co_u32 v5, vcc_lo, s6, v5
	v_add_co_u32 v27, s2, s6, v6
	v_add_co_ci_u32_e64 v32, s4, s7, v30, s4
	v_add_co_u32 v29, s3, s6, v28
	v_add_co_ci_u32_e32 v6, vcc_lo, s7, v47, vcc_lo
	v_add_co_ci_u32_e64 v28, vcc_lo, s7, v48, s2
	v_add_co_ci_u32_e64 v30, vcc_lo, s7, v49, s3
	s_clause 0x3
	global_load_b32 v1, v[31:32], off
	global_load_b32 v5, v[5:6], off
	global_load_b32 v6, v[27:28], off
	global_load_b32 v27, v[29:30], off
	v_lshrrev_b32_e32 v43, 16, v7
	v_bfe_i32 v39, v39, 0, 8
	v_bfe_i32 v33, v33, 0, 16
	;; [unrolled: 1-line block ×3, first 2 shown]
	v_lshrrev_b32_e32 v42, 8, v7
	v_lshrrev_b32_e32 v7, 24, v7
	;; [unrolled: 1-line block ×3, first 2 shown]
	v_bfe_i32 v38, v38, 0, 8
	v_bfe_i32 v40, v40, 0, 8
	;; [unrolled: 1-line block ×3, first 2 shown]
	v_cvt_f32_i32_e32 v33, v33
	v_bfe_i32 v39, v39, 0, 16
	v_bfe_i32 v44, v8, 0, 8
	v_lshrrev_b32_e32 v45, 8, v8
	v_lshrrev_b32_e32 v8, 24, v8
	s_waitcnt vmcnt(6)
	v_lshrrev_b32_e32 v30, 16, v15
	v_bfe_i32 v42, v42, 0, 8
	v_bfe_i32 v7, v7, 0, 8
	;; [unrolled: 1-line block ×7, first 2 shown]
	v_cvt_f32_i32_e32 v39, v39
	v_bfe_i32 v28, v15, 0, 8
	v_lshrrev_b32_e32 v29, 8, v15
	v_lshrrev_b32_e32 v15, 24, v15
	;; [unrolled: 1-line block ×3, first 2 shown]
	v_bfe_i32 v45, v45, 0, 8
	v_bfe_i32 v8, v8, 0, 8
	;; [unrolled: 1-line block ×4, first 2 shown]
	v_cvt_f32_i32_e32 v41, v41
	v_bfe_i32 v42, v42, 0, 16
	v_bfe_i32 v7, v7, 0, 16
	;; [unrolled: 1-line block ×3, first 2 shown]
	v_cvt_f32_i32_e32 v38, v38
	v_cvt_f32_i32_e32 v40, v40
	v_cvt_f32_i32_e32 v43, v43
	v_bfe_i32 v31, v16, 0, 8
	v_lshrrev_b32_e32 v32, 8, v16
	v_lshrrev_b32_e32 v16, 24, v16
	;; [unrolled: 1-line block ×3, first 2 shown]
	v_bfe_i32 v29, v29, 0, 8
	v_bfe_i32 v15, v15, 0, 8
	;; [unrolled: 1-line block ×4, first 2 shown]
	v_cvt_f32_i32_e32 v44, v44
	v_bfe_i32 v45, v45, 0, 16
	v_bfe_i32 v8, v8, 0, 16
	;; [unrolled: 1-line block ×3, first 2 shown]
	v_cvt_f32_i32_e32 v42, v42
	v_cvt_f32_i32_e32 v7, v7
	;; [unrolled: 1-line block ×3, first 2 shown]
	v_bfe_i32 v48, v17, 0, 8
	v_lshrrev_b32_e32 v49, 8, v17
	v_lshrrev_b32_e32 v17, 24, v17
	v_bfe_i32 v32, v32, 0, 8
	v_bfe_i32 v16, v16, 0, 8
	;; [unrolled: 1-line block ×4, first 2 shown]
	v_cvt_f32_i32_e32 v28, v28
	v_bfe_i32 v29, v29, 0, 16
	v_bfe_i32 v15, v15, 0, 16
	;; [unrolled: 1-line block ×3, first 2 shown]
	v_cvt_f32_i32_e32 v45, v45
	v_cvt_f32_i32_e32 v8, v8
	v_cvt_f32_i32_e32 v30, v30
	v_bfe_i32 v51, v18, 0, 8
	v_lshrrev_b32_e32 v52, 8, v18
	v_lshrrev_b32_e32 v53, 16, v18
	;; [unrolled: 1-line block ×3, first 2 shown]
	v_bfe_i32 v49, v49, 0, 8
	v_bfe_i32 v17, v17, 0, 8
	;; [unrolled: 1-line block ×3, first 2 shown]
	v_cvt_f32_i32_e32 v31, v31
	v_bfe_i32 v32, v32, 0, 16
	v_bfe_i32 v16, v16, 0, 16
	;; [unrolled: 1-line block ×3, first 2 shown]
	v_cvt_f32_i32_e32 v29, v29
	v_cvt_f32_i32_e32 v15, v15
	;; [unrolled: 1-line block ×3, first 2 shown]
	s_waitcnt vmcnt(5)
	v_bfe_i32 v54, v19, 0, 8
	v_bfe_i32 v60, v21, 0, 8
	v_lshrrev_b32_e32 v61, 8, v21
	v_lshrrev_b32_e32 v62, 16, v21
	;; [unrolled: 1-line block ×3, first 2 shown]
	v_bfe_i32 v52, v52, 0, 8
	v_bfe_i32 v53, v53, 0, 8
	v_bfe_i32 v18, v18, 0, 8
	v_bfe_i32 v51, v51, 0, 16
	v_cvt_f32_i32_e32 v48, v48
	v_bfe_i32 v49, v49, 0, 16
	v_bfe_i32 v17, v17, 0, 16
	v_cvt_f32_i32_e32 v32, v32
	v_cvt_f32_i32_e32 v16, v16
	;; [unrolled: 1-line block ×3, first 2 shown]
	v_lshrrev_b32_e32 v56, 16, v19
	v_bfe_i32 v57, v20, 0, 8
	s_waitcnt vmcnt(4)
	v_bfe_i32 v66, v23, 0, 8
	v_lshrrev_b32_e32 v67, 8, v23
	v_lshrrev_b32_e32 v68, 16, v23
	;; [unrolled: 1-line block ×3, first 2 shown]
	v_bfe_i32 v61, v61, 0, 8
	v_bfe_i32 v62, v62, 0, 8
	;; [unrolled: 1-line block ×4, first 2 shown]
	v_cvt_f32_i32_e32 v51, v51
	v_bfe_i32 v52, v52, 0, 16
	v_bfe_i32 v53, v53, 0, 16
	;; [unrolled: 1-line block ×3, first 2 shown]
	v_cvt_f32_i32_e32 v49, v49
	v_cvt_f32_i32_e32 v17, v17
	v_lshrrev_b32_e32 v59, 16, v20
	v_bfe_i32 v56, v56, 0, 8
	v_bfe_i32 v57, v57, 0, 16
	;; [unrolled: 1-line block ×4, first 2 shown]
	v_cvt_f32_i32_e32 v54, v54
	v_bfe_i32 v61, v61, 0, 16
	v_bfe_i32 v62, v62, 0, 16
	;; [unrolled: 1-line block ×3, first 2 shown]
	v_cvt_f32_i32_e32 v52, v52
	v_cvt_f32_i32_e32 v53, v53
	;; [unrolled: 1-line block ×3, first 2 shown]
	v_lshrrev_b32_e32 v55, 8, v19
	v_bfe_i32 v59, v59, 0, 8
	v_bfe_i32 v56, v56, 0, 16
	v_cvt_f32_i32_e32 v57, v57
	v_cvt_f32_i32_e32 v60, v60
	v_bfe_i32 v23, v23, 0, 16
	v_cvt_f32_i32_e32 v61, v61
	v_cvt_f32_i32_e32 v62, v62
	;; [unrolled: 1-line block ×3, first 2 shown]
	v_lshrrev_b32_e32 v58, 8, v20
	v_bfe_i32 v55, v55, 0, 8
	v_bfe_i32 v66, v66, 0, 16
	;; [unrolled: 1-line block ×3, first 2 shown]
	v_cvt_f32_i32_e32 v56, v56
	v_cvt_f32_i32_e32 v23, v23
	v_lshrrev_b32_e32 v19, 24, v19
	v_bfe_i32 v58, v58, 0, 8
	v_bfe_i32 v68, v68, 0, 8
	;; [unrolled: 1-line block ×3, first 2 shown]
	v_cvt_f32_i32_e32 v66, v66
	v_cvt_f32_i32_e32 v59, v59
	v_lshrrev_b32_e32 v20, 24, v20
	v_bfe_i32 v19, v19, 0, 8
	v_bfe_i32 v58, v58, 0, 16
	;; [unrolled: 1-line block ×3, first 2 shown]
	v_cvt_f32_i32_e32 v55, v55
	v_lshrrev_b32_e32 v64, 8, v22
	v_bfe_i32 v20, v20, 0, 8
	v_bfe_i32 v19, v19, 0, 16
	v_cvt_f32_i32_e32 v58, v58
	v_cvt_f32_i32_e32 v68, v68
	v_bfe_i32 v64, v64, 0, 8
	v_bfe_i32 v67, v67, 0, 8
	;; [unrolled: 1-line block ×3, first 2 shown]
	v_cvt_f32_i32_e32 v19, v19
	v_bfe_i32 v63, v22, 0, 8
	v_lshrrev_b32_e32 v65, 16, v22
	v_lshrrev_b32_e32 v22, 24, v22
	v_bfe_i32 v64, v64, 0, 16
	v_bfe_i32 v67, v67, 0, 16
	v_cvt_f32_i32_e32 v20, v20
	v_bfe_i32 v65, v65, 0, 8
	v_bfe_i32 v22, v22, 0, 8
	v_cvt_f32_i32_e32 v64, v64
	v_cvt_f32_i32_e32 v67, v67
	v_bfe_i32 v69, v24, 0, 8
	v_lshrrev_b32_e32 v70, 8, v24
	v_lshrrev_b32_e32 v71, 16, v24
	;; [unrolled: 1-line block ×3, first 2 shown]
	v_bfe_i32 v63, v63, 0, 16
	v_bfe_i32 v65, v65, 0, 16
	;; [unrolled: 1-line block ×4, first 2 shown]
	v_lshrrev_b32_e32 v73, 8, v25
	v_lshrrev_b32_e32 v74, 16, v25
	;; [unrolled: 1-line block ×3, first 2 shown]
	v_bfe_i32 v70, v70, 0, 8
	v_bfe_i32 v71, v71, 0, 8
	;; [unrolled: 1-line block ×3, first 2 shown]
	v_cvt_f32_i32_e32 v63, v63
	v_cvt_f32_i32_e32 v65, v65
	;; [unrolled: 1-line block ×3, first 2 shown]
	v_bfe_i32 v75, v26, 0, 8
	v_lshrrev_b32_e32 v76, 8, v26
	v_lshrrev_b32_e32 v77, 16, v26
	;; [unrolled: 1-line block ×3, first 2 shown]
	v_bfe_i32 v73, v73, 0, 8
	v_bfe_i32 v74, v74, 0, 8
	;; [unrolled: 1-line block ×11, first 2 shown]
	v_cvt_f32_i32_e32 v69, v69
	v_bfe_i32 v73, v73, 0, 16
	v_bfe_i32 v74, v74, 0, 16
	;; [unrolled: 1-line block ×3, first 2 shown]
	v_cvt_f32_i32_e32 v70, v70
	v_cvt_f32_i32_e32 v71, v71
	;; [unrolled: 1-line block ×3, first 2 shown]
	v_bfe_i32 v75, v75, 0, 16
	v_cvt_f32_i32_e32 v72, v72
	v_bfe_i32 v76, v76, 0, 16
	v_bfe_i32 v77, v77, 0, 16
	v_bfe_i32 v26, v26, 0, 16
	v_cvt_f32_i32_e32 v73, v73
	v_cvt_f32_i32_e32 v74, v74
	;; [unrolled: 1-line block ×7, first 2 shown]
	s_waitcnt vmcnt(3)
	v_bfe_i32 v79, v1, 0, 8
	v_lshrrev_b32_e32 v80, 8, v1
	v_lshrrev_b32_e32 v78, 16, v1
	;; [unrolled: 1-line block ×3, first 2 shown]
	s_waitcnt vmcnt(2)
	v_bfe_i32 v82, v5, 0, 8
	v_bfe_i32 v79, v79, 0, 16
	v_bfe_i32 v80, v80, 0, 8
	v_bfe_i32 v78, v78, 0, 8
	v_bfe_i32 v1, v1, 0, 8
	v_lshrrev_b32_e32 v83, 8, v5
	v_cvt_f32_i32_e32 v79, v79
	v_bfe_i32 v80, v80, 0, 16
	v_add_nc_u32_e32 v0, 0x80, v0
	v_bfe_i32 v78, v78, 0, 16
	v_bfe_i32 v1, v1, 0, 16
	v_fmac_f32_e32 v11, v33, v79
	v_cvt_f32_i32_e32 v33, v80
	v_fmac_f32_e32 v12, v35, v79
	v_fmac_f32_e32 v13, v34, v79
	;; [unrolled: 1-line block ×3, first 2 shown]
	v_cvt_f32_i32_e32 v34, v78
	v_fmac_f32_e32 v11, v37, v33
	v_fmac_f32_e32 v12, v39, v33
	v_lshrrev_b32_e32 v81, 16, v5
	v_bfe_i32 v83, v83, 0, 8
	v_bfe_i32 v82, v82, 0, 16
	v_fmac_f32_e32 v11, v41, v34
	v_dual_fmac_f32 v13, v38, v33 :: v_dual_fmac_f32 v12, v43, v34
	v_fmac_f32_e32 v10, v40, v33
	v_cvt_f32_i32_e32 v1, v1
	v_lshrrev_b32_e32 v5, 24, v5
	s_delay_alu instid0(VALU_DEP_4)
	v_fmac_f32_e32 v13, v42, v34
	v_bfe_i32 v81, v81, 0, 8
	v_cvt_f32_i32_e32 v82, v82
	v_bfe_i32 v83, v83, 0, 16
	v_dual_fmac_f32 v10, v7, v34 :: v_dual_fmac_f32 v11, v44, v1
	v_fmac_f32_e32 v12, v46, v1
	v_bfe_i32 v5, v5, 0, 8
	v_bfe_i32 v81, v81, 0, 16
	s_waitcnt vmcnt(1)
	v_lshrrev_b32_e32 v84, 16, v6
	v_fmac_f32_e32 v11, v28, v82
	v_dual_fmac_f32 v13, v45, v1 :: v_dual_fmac_f32 v12, v30, v82
	v_fmac_f32_e32 v10, v8, v1
	v_cvt_f32_i32_e32 v1, v83
	v_bfe_i32 v85, v6, 0, 8
	s_delay_alu instid0(VALU_DEP_4)
	v_fmac_f32_e32 v13, v29, v82
	v_lshrrev_b32_e32 v86, 8, v6
	v_bfe_i32 v5, v5, 0, 16
	v_fmac_f32_e32 v10, v15, v82
	v_cvt_f32_i32_e32 v8, v81
	v_fmac_f32_e32 v13, v32, v1
	v_fmac_f32_e32 v12, v47, v1
	;; [unrolled: 1-line block ×3, first 2 shown]
	v_bfe_i32 v86, v86, 0, 8
	v_bfe_i32 v84, v84, 0, 8
	;; [unrolled: 1-line block ×3, first 2 shown]
	v_fmac_f32_e32 v12, v50, v8
	v_dual_fmac_f32 v10, v16, v1 :: v_dual_fmac_f32 v13, v49, v8
	v_cvt_f32_i32_e32 v1, v5
	v_fmac_f32_e32 v11, v48, v8
	s_waitcnt vmcnt(0)
	v_bfe_i32 v88, v27, 0, 8
	v_cvt_f32_i32_e32 v85, v85
	v_bfe_i32 v86, v86, 0, 16
	v_bfe_i32 v84, v84, 0, 16
	v_dual_fmac_f32 v10, v17, v8 :: v_dual_fmac_f32 v11, v51, v1
	v_bfe_i32 v88, v88, 0, 16
	v_lshrrev_b32_e32 v6, 24, v6
	s_delay_alu instid0(VALU_DEP_4)
	v_cvt_f32_i32_e32 v8, v84
	v_fmac_f32_e32 v13, v52, v1
	v_fmac_f32_e32 v12, v53, v1
	;; [unrolled: 1-line block ×3, first 2 shown]
	v_cvt_f32_i32_e32 v1, v86
	v_fmac_f32_e32 v11, v54, v85
	v_cvt_f32_i32_e32 v88, v88
	v_bfe_i32 v6, v6, 0, 8
	v_lshrrev_b32_e32 v89, 8, v27
	v_lshrrev_b32_e32 v87, 16, v27
	v_fmac_f32_e32 v11, v57, v1
	v_lshrrev_b32_e32 v27, 24, v27
	v_bfe_i32 v6, v6, 0, 16
	v_bfe_i32 v89, v89, 0, 8
	v_bfe_i32 v87, v87, 0, 8
	v_fmac_f32_e32 v11, v60, v8
	v_fmac_f32_e32 v12, v56, v85
	v_bfe_i32 v27, v27, 0, 8
	v_bfe_i32 v7, v89, 0, 16
	v_bfe_i32 v5, v87, 0, 16
	v_cmp_ge_i32_e32 vcc_lo, v0, v14
	v_fmac_f32_e32 v12, v59, v1
	s_delay_alu instid0(VALU_DEP_3) | instskip(SKIP_1) | instid1(VALU_DEP_2)
	v_cvt_f32_i32_e32 v5, v5
	s_or_b32 s11, vcc_lo, s11
	v_dual_fmac_f32 v12, v62, v8 :: v_dual_fmac_f32 v13, v55, v85
	s_delay_alu instid0(VALU_DEP_1) | instskip(NEXT) | instid1(VALU_DEP_1)
	v_fmac_f32_e32 v13, v58, v1
	v_dual_fmac_f32 v13, v61, v8 :: v_dual_fmac_f32 v10, v19, v85
	s_delay_alu instid0(VALU_DEP_1) | instskip(SKIP_2) | instid1(VALU_DEP_2)
	v_fmac_f32_e32 v10, v20, v1
	v_cvt_f32_i32_e32 v1, v6
	v_bfe_i32 v6, v27, 0, 16
	v_fmac_f32_e32 v13, v64, v1
	v_fmac_f32_e32 v11, v63, v1
	s_delay_alu instid0(VALU_DEP_2) | instskip(SKIP_1) | instid1(VALU_DEP_3)
	v_dual_fmac_f32 v12, v65, v1 :: v_dual_fmac_f32 v13, v67, v88
	v_fmac_f32_e32 v10, v21, v8
	v_fmac_f32_e32 v11, v66, v88
	s_delay_alu instid0(VALU_DEP_3) | instskip(NEXT) | instid1(VALU_DEP_3)
	v_fmac_f32_e32 v12, v68, v88
	v_fmac_f32_e32 v10, v22, v1
	v_cvt_f32_i32_e32 v1, v7
	s_delay_alu instid0(VALU_DEP_1) | instskip(SKIP_2) | instid1(VALU_DEP_3)
	v_dual_fmac_f32 v10, v23, v88 :: v_dual_fmac_f32 v11, v69, v1
	v_fmac_f32_e32 v13, v70, v1
	v_fmac_f32_e32 v12, v71, v1
	;; [unrolled: 1-line block ×3, first 2 shown]
	v_cvt_f32_i32_e32 v1, v6
	v_fmac_f32_e32 v11, v72, v5
	v_fmac_f32_e32 v13, v73, v5
	;; [unrolled: 1-line block ×4, first 2 shown]
	s_delay_alu instid0(VALU_DEP_4) | instskip(NEXT) | instid1(VALU_DEP_4)
	v_fmac_f32_e32 v11, v75, v1
	v_fmac_f32_e32 v13, v76, v1
	s_delay_alu instid0(VALU_DEP_4) | instskip(NEXT) | instid1(VALU_DEP_4)
	v_fmac_f32_e32 v12, v77, v1
	v_fmac_f32_e32 v10, v26, v1
	s_and_not1_b32 exec_lo, exec_lo, s11
	s_cbranch_execnz .LBB78_33
; %bb.34:
	s_or_b32 exec_lo, exec_lo, s11
.LBB78_35:
	s_delay_alu instid0(SALU_CYCLE_1)
	s_or_b32 exec_lo, exec_lo, s10
.LBB78_36:
	s_delay_alu instid0(SALU_CYCLE_1)
	s_or_b32 exec_lo, exec_lo, s5
.LBB78_37:
	v_mbcnt_lo_u32_b32 v0, -1, 0
	s_mov_b32 s2, -1
	s_delay_alu instid0(VALU_DEP_1) | instskip(SKIP_1) | instid1(VALU_DEP_2)
	v_xor_b32_e32 v1, 16, v0
	v_xor_b32_e32 v6, 8, v0
	v_cmp_gt_i32_e32 vcc_lo, 32, v1
	v_cndmask_b32_e32 v1, v0, v1, vcc_lo
	s_delay_alu instid0(VALU_DEP_3) | instskip(SKIP_1) | instid1(VALU_DEP_1)
	v_cmp_gt_i32_e32 vcc_lo, 32, v6
	v_cndmask_b32_e32 v6, v0, v6, vcc_lo
	v_lshlrev_b32_e32 v6, 2, v6
	s_delay_alu instid0(VALU_DEP_4)
	v_lshlrev_b32_e32 v1, 2, v1
	ds_bpermute_b32 v2, v1, v11
	s_waitcnt lgkmcnt(0)
	v_add_f32_e32 v2, v11, v2
	ds_bpermute_b32 v3, v1, v13
	ds_bpermute_b32 v5, v1, v12
	;; [unrolled: 1-line block ×3, first 2 shown]
	v_xor_b32_e32 v11, 4, v0
	ds_bpermute_b32 v7, v6, v2
	v_cmp_gt_i32_e32 vcc_lo, 32, v11
	s_waitcnt lgkmcnt(3)
	v_add_f32_e32 v3, v13, v3
	s_waitcnt lgkmcnt(2)
	v_add_f32_e32 v5, v12, v5
	;; [unrolled: 2-line block ×4, first 2 shown]
	ds_bpermute_b32 v8, v6, v3
	ds_bpermute_b32 v10, v6, v5
	;; [unrolled: 1-line block ×3, first 2 shown]
	v_cndmask_b32_e32 v11, v0, v11, vcc_lo
	s_waitcnt lgkmcnt(1)
	v_add_f32_e32 v5, v5, v10
	s_waitcnt lgkmcnt(0)
	v_add_f32_e32 v1, v1, v6
	v_lshlrev_b32_e32 v11, 2, v11
	ds_bpermute_b32 v6, v11, v2
	ds_bpermute_b32 v10, v11, v1
	s_waitcnt lgkmcnt(1)
	v_add_f32_e32 v2, v2, v6
	s_waitcnt lgkmcnt(0)
	v_dual_add_f32 v6, v1, v10 :: v_dual_add_f32 v3, v3, v8
	ds_bpermute_b32 v8, v11, v5
	ds_bpermute_b32 v7, v11, v3
	v_xor_b32_e32 v11, 2, v0
	s_delay_alu instid0(VALU_DEP_1)
	v_cmp_gt_i32_e32 vcc_lo, 32, v11
	s_waitcnt lgkmcnt(1)
	v_add_f32_e32 v5, v5, v8
	v_cndmask_b32_e32 v11, v0, v11, vcc_lo
	s_waitcnt lgkmcnt(0)
	v_add_f32_e32 v3, v3, v7
	s_delay_alu instid0(VALU_DEP_2)
	v_lshlrev_b32_e32 v11, 2, v11
	ds_bpermute_b32 v1, v11, v2
	ds_bpermute_b32 v7, v11, v3
	;; [unrolled: 1-line block ×4, first 2 shown]
	v_xor_b32_e32 v11, 1, v0
	s_delay_alu instid0(VALU_DEP_1) | instskip(SKIP_3) | instid1(VALU_DEP_2)
	v_cmp_gt_i32_e32 vcc_lo, 32, v11
	v_cndmask_b32_e32 v0, v0, v11, vcc_lo
	v_cmp_eq_u32_e32 vcc_lo, 31, v9
	s_waitcnt lgkmcnt(3)
	v_dual_add_f32 v0, v2, v1 :: v_dual_lshlrev_b32 v11, 2, v0
	s_waitcnt lgkmcnt(1)
	v_dual_add_f32 v1, v3, v7 :: v_dual_add_f32 v2, v5, v8
	s_waitcnt lgkmcnt(0)
	v_add_f32_e32 v3, v6, v10
	ds_bpermute_b32 v5, v11, v0
	ds_bpermute_b32 v6, v11, v1
	;; [unrolled: 1-line block ×4, first 2 shown]
	s_and_b32 exec_lo, exec_lo, vcc_lo
	s_cbranch_execz .LBB78_10
; %bb.38:
	s_load_b64 s[0:1], s[0:1], 0x50
	s_waitcnt lgkmcnt(0)
	v_dual_add_f32 v0, v0, v5 :: v_dual_add_f32 v1, v1, v6
	v_dual_add_f32 v2, v2, v7 :: v_dual_add_f32 v3, v3, v8
	v_cmp_eq_f32_e64 s3, s12, 0
	s_delay_alu instid0(VALU_DEP_3) | instskip(NEXT) | instid1(VALU_DEP_3)
	v_dual_mul_f32 v0, s16, v0 :: v_dual_mul_f32 v1, s16, v1
	v_dual_mul_f32 v2, s16, v2 :: v_dual_mul_f32 v3, s16, v3
	v_lshlrev_b32_e32 v4, 2, v4
	s_delay_alu instid0(VALU_DEP_4)
	s_and_b32 vcc_lo, exec_lo, s3
	s_cbranch_vccz .LBB78_40
; %bb.39:
	s_delay_alu instid0(VALU_DEP_1) | instskip(SKIP_1) | instid1(VALU_DEP_1)
	v_ashrrev_i32_e32 v5, 31, v4
	s_mov_b32 s2, 0
	v_lshlrev_b64 v[5:6], 2, v[4:5]
	s_delay_alu instid0(VALU_DEP_1) | instskip(NEXT) | instid1(VALU_DEP_2)
	v_add_co_u32 v5, vcc_lo, s0, v5
	v_add_co_ci_u32_e32 v6, vcc_lo, s1, v6, vcc_lo
	global_store_b128 v[5:6], v[0:3], off
.LBB78_40:
	s_and_not1_b32 vcc_lo, exec_lo, s2
	s_cbranch_vccnz .LBB78_10
; %bb.41:
	v_ashrrev_i32_e32 v5, 31, v4
	s_delay_alu instid0(VALU_DEP_1) | instskip(NEXT) | instid1(VALU_DEP_1)
	v_lshlrev_b64 v[4:5], 2, v[4:5]
	v_add_co_u32 v8, vcc_lo, s0, v4
	s_delay_alu instid0(VALU_DEP_2)
	v_add_co_ci_u32_e32 v9, vcc_lo, s1, v5, vcc_lo
	global_load_b128 v[4:7], v[8:9], off
	s_waitcnt vmcnt(0)
	v_dual_fmac_f32 v0, s12, v4 :: v_dual_fmac_f32 v1, s12, v5
	v_dual_fmac_f32 v2, s12, v6 :: v_dual_fmac_f32 v3, s12, v7
	global_store_b128 v[8:9], v[0:3], off
	s_nop 0
	s_sendmsg sendmsg(MSG_DEALLOC_VGPRS)
	s_endpgm
	.section	.rodata,"a",@progbits
	.p2align	6, 0x0
	.amdhsa_kernel _ZN9rocsparseL18bsrxmvn_4x4_kernelILj128ELj32EfiiaafEEvT3_20rocsparse_direction_NS_24const_host_device_scalarIT1_EES1_PKS1_PKT2_SA_S7_PKT4_PKT5_S5_PT6_21rocsparse_index_base_b
		.amdhsa_group_segment_fixed_size 0
		.amdhsa_private_segment_fixed_size 0
		.amdhsa_kernarg_size 96
		.amdhsa_user_sgpr_count 15
		.amdhsa_user_sgpr_dispatch_ptr 0
		.amdhsa_user_sgpr_queue_ptr 0
		.amdhsa_user_sgpr_kernarg_segment_ptr 1
		.amdhsa_user_sgpr_dispatch_id 0
		.amdhsa_user_sgpr_private_segment_size 0
		.amdhsa_wavefront_size32 1
		.amdhsa_uses_dynamic_stack 0
		.amdhsa_enable_private_segment 0
		.amdhsa_system_sgpr_workgroup_id_x 1
		.amdhsa_system_sgpr_workgroup_id_y 0
		.amdhsa_system_sgpr_workgroup_id_z 0
		.amdhsa_system_sgpr_workgroup_info 0
		.amdhsa_system_vgpr_workitem_id 0
		.amdhsa_next_free_vgpr 94
		.amdhsa_next_free_sgpr 20
		.amdhsa_reserve_vcc 1
		.amdhsa_float_round_mode_32 0
		.amdhsa_float_round_mode_16_64 0
		.amdhsa_float_denorm_mode_32 3
		.amdhsa_float_denorm_mode_16_64 3
		.amdhsa_dx10_clamp 1
		.amdhsa_ieee_mode 1
		.amdhsa_fp16_overflow 0
		.amdhsa_workgroup_processor_mode 1
		.amdhsa_memory_ordered 1
		.amdhsa_forward_progress 0
		.amdhsa_shared_vgpr_count 0
		.amdhsa_exception_fp_ieee_invalid_op 0
		.amdhsa_exception_fp_denorm_src 0
		.amdhsa_exception_fp_ieee_div_zero 0
		.amdhsa_exception_fp_ieee_overflow 0
		.amdhsa_exception_fp_ieee_underflow 0
		.amdhsa_exception_fp_ieee_inexact 0
		.amdhsa_exception_int_div_zero 0
	.end_amdhsa_kernel
	.section	.text._ZN9rocsparseL18bsrxmvn_4x4_kernelILj128ELj32EfiiaafEEvT3_20rocsparse_direction_NS_24const_host_device_scalarIT1_EES1_PKS1_PKT2_SA_S7_PKT4_PKT5_S5_PT6_21rocsparse_index_base_b,"axG",@progbits,_ZN9rocsparseL18bsrxmvn_4x4_kernelILj128ELj32EfiiaafEEvT3_20rocsparse_direction_NS_24const_host_device_scalarIT1_EES1_PKS1_PKT2_SA_S7_PKT4_PKT5_S5_PT6_21rocsparse_index_base_b,comdat
.Lfunc_end78:
	.size	_ZN9rocsparseL18bsrxmvn_4x4_kernelILj128ELj32EfiiaafEEvT3_20rocsparse_direction_NS_24const_host_device_scalarIT1_EES1_PKS1_PKT2_SA_S7_PKT4_PKT5_S5_PT6_21rocsparse_index_base_b, .Lfunc_end78-_ZN9rocsparseL18bsrxmvn_4x4_kernelILj128ELj32EfiiaafEEvT3_20rocsparse_direction_NS_24const_host_device_scalarIT1_EES1_PKS1_PKT2_SA_S7_PKT4_PKT5_S5_PT6_21rocsparse_index_base_b
                                        ; -- End function
	.section	.AMDGPU.csdata,"",@progbits
; Kernel info:
; codeLenInByte = 7868
; NumSgprs: 22
; NumVgprs: 94
; ScratchSize: 0
; MemoryBound: 0
; FloatMode: 240
; IeeeMode: 1
; LDSByteSize: 0 bytes/workgroup (compile time only)
; SGPRBlocks: 2
; VGPRBlocks: 11
; NumSGPRsForWavesPerEU: 22
; NumVGPRsForWavesPerEU: 94
; Occupancy: 16
; WaveLimiterHint : 1
; COMPUTE_PGM_RSRC2:SCRATCH_EN: 0
; COMPUTE_PGM_RSRC2:USER_SGPR: 15
; COMPUTE_PGM_RSRC2:TRAP_HANDLER: 0
; COMPUTE_PGM_RSRC2:TGID_X_EN: 1
; COMPUTE_PGM_RSRC2:TGID_Y_EN: 0
; COMPUTE_PGM_RSRC2:TGID_Z_EN: 0
; COMPUTE_PGM_RSRC2:TIDIG_COMP_CNT: 0
	.section	.text._ZN9rocsparseL18bsrxmvn_4x4_kernelILj128ELj64EfiiaafEEvT3_20rocsparse_direction_NS_24const_host_device_scalarIT1_EES1_PKS1_PKT2_SA_S7_PKT4_PKT5_S5_PT6_21rocsparse_index_base_b,"axG",@progbits,_ZN9rocsparseL18bsrxmvn_4x4_kernelILj128ELj64EfiiaafEEvT3_20rocsparse_direction_NS_24const_host_device_scalarIT1_EES1_PKS1_PKT2_SA_S7_PKT4_PKT5_S5_PT6_21rocsparse_index_base_b,comdat
	.globl	_ZN9rocsparseL18bsrxmvn_4x4_kernelILj128ELj64EfiiaafEEvT3_20rocsparse_direction_NS_24const_host_device_scalarIT1_EES1_PKS1_PKT2_SA_S7_PKT4_PKT5_S5_PT6_21rocsparse_index_base_b ; -- Begin function _ZN9rocsparseL18bsrxmvn_4x4_kernelILj128ELj64EfiiaafEEvT3_20rocsparse_direction_NS_24const_host_device_scalarIT1_EES1_PKS1_PKT2_SA_S7_PKT4_PKT5_S5_PT6_21rocsparse_index_base_b
	.p2align	8
	.type	_ZN9rocsparseL18bsrxmvn_4x4_kernelILj128ELj64EfiiaafEEvT3_20rocsparse_direction_NS_24const_host_device_scalarIT1_EES1_PKS1_PKT2_SA_S7_PKT4_PKT5_S5_PT6_21rocsparse_index_base_b,@function
_ZN9rocsparseL18bsrxmvn_4x4_kernelILj128ELj64EfiiaafEEvT3_20rocsparse_direction_NS_24const_host_device_scalarIT1_EES1_PKS1_PKT2_SA_S7_PKT4_PKT5_S5_PT6_21rocsparse_index_base_b: ; @_ZN9rocsparseL18bsrxmvn_4x4_kernelILj128ELj64EfiiaafEEvT3_20rocsparse_direction_NS_24const_host_device_scalarIT1_EES1_PKS1_PKT2_SA_S7_PKT4_PKT5_S5_PT6_21rocsparse_index_base_b
; %bb.0:
	s_clause 0x2
	s_load_b64 s[18:19], s[0:1], 0x58
	s_load_b64 s[16:17], s[0:1], 0x8
	;; [unrolled: 1-line block ×3, first 2 shown]
	s_waitcnt lgkmcnt(0)
	s_bitcmp1_b32 s19, 0
	s_cselect_b32 s2, -1, 0
	s_delay_alu instid0(SALU_CYCLE_1)
	s_and_b32 vcc_lo, exec_lo, s2
	s_xor_b32 s2, s2, -1
	s_cbranch_vccnz .LBB79_2
; %bb.1:
	s_load_b32 s16, s[16:17], 0x0
.LBB79_2:
	s_and_not1_b32 vcc_lo, exec_lo, s2
	s_cbranch_vccnz .LBB79_4
; %bb.3:
	s_load_b32 s12, s[12:13], 0x0
.LBB79_4:
	s_waitcnt lgkmcnt(0)
	v_cmp_neq_f32_e64 s2, s16, 0
	v_cmp_neq_f32_e64 s3, s12, 1.0
	s_mov_b32 s6, 0
	s_delay_alu instid0(VALU_DEP_1) | instskip(NEXT) | instid1(SALU_CYCLE_1)
	s_or_b32 s2, s2, s3
	s_and_not1_b32 vcc_lo, exec_lo, s2
	s_cbranch_vccnz .LBB79_10
; %bb.5:
	s_clause 0x1
	s_load_b64 s[4:5], s[0:1], 0x18
	s_load_b64 s[2:3], s[0:1], 0x0
	v_lshrrev_b32_e32 v1, 6, v0
	s_delay_alu instid0(VALU_DEP_1)
	v_lshl_or_b32 v4, s15, 1, v1
	s_waitcnt lgkmcnt(0)
	s_cmp_lg_u64 s[4:5], 0
	s_cbranch_scc0 .LBB79_11
; %bb.6:
	s_load_b32 s6, s[0:1], 0x10
	s_mov_b32 s7, 0
                                        ; implicit-def: $vgpr1
	s_waitcnt lgkmcnt(0)
	v_cmp_gt_i32_e32 vcc_lo, s6, v4
	s_mov_b32 s6, 0
	s_and_saveexec_b32 s8, vcc_lo
	s_delay_alu instid0(SALU_CYCLE_1)
	s_xor_b32 s8, exec_lo, s8
	s_cbranch_execz .LBB79_8
; %bb.7:
	v_ashrrev_i32_e32 v5, 31, v4
	s_mov_b32 s6, exec_lo
	s_delay_alu instid0(VALU_DEP_1) | instskip(NEXT) | instid1(VALU_DEP_1)
	v_lshlrev_b64 v[1:2], 2, v[4:5]
	v_add_co_u32 v1, vcc_lo, s4, v1
	s_delay_alu instid0(VALU_DEP_2)
	v_add_co_ci_u32_e32 v2, vcc_lo, s5, v2, vcc_lo
	global_load_b32 v1, v[1:2], off
	s_waitcnt vmcnt(0)
	v_subrev_nc_u32_e32 v1, s18, v1
.LBB79_8:
	s_or_b32 exec_lo, exec_lo, s8
	s_delay_alu instid0(SALU_CYCLE_1)
	s_and_b32 vcc_lo, exec_lo, s7
	s_cbranch_vccz .LBB79_12
.LBB79_9:
	v_cmp_gt_i32_e32 vcc_lo, s2, v4
	s_and_not1_b32 s2, s6, exec_lo
	s_and_b32 s4, vcc_lo, exec_lo
	s_delay_alu instid0(SALU_CYCLE_1) | instskip(NEXT) | instid1(SALU_CYCLE_1)
	s_or_b32 s6, s2, s4
	s_and_saveexec_b32 s2, s6
	s_cbranch_execnz .LBB79_13
.LBB79_10:
	s_nop 0
	s_sendmsg sendmsg(MSG_DEALLOC_VGPRS)
	s_endpgm
.LBB79_11:
                                        ; implicit-def: $vgpr1
	s_cbranch_execnz .LBB79_9
.LBB79_12:
	s_delay_alu instid0(VALU_DEP_1)
	v_mov_b32_e32 v4, v1
	s_and_saveexec_b32 s2, s6
	s_cbranch_execz .LBB79_10
.LBB79_13:
	s_load_b256 s[4:11], s[0:1], 0x20
	s_delay_alu instid0(VALU_DEP_1) | instskip(SKIP_1) | instid1(VALU_DEP_2)
	v_ashrrev_i32_e32 v5, 31, v4
	v_and_b32_e32 v9, 63, v0
	v_lshlrev_b64 v[1:2], 2, v[4:5]
	s_waitcnt lgkmcnt(0)
	s_delay_alu instid0(VALU_DEP_1) | instskip(NEXT) | instid1(VALU_DEP_2)
	v_add_co_u32 v5, vcc_lo, s4, v1
	v_add_co_ci_u32_e32 v6, vcc_lo, s5, v2, vcc_lo
	v_add_co_u32 v1, vcc_lo, s6, v1
	v_add_co_ci_u32_e32 v2, vcc_lo, s7, v2, vcc_lo
	global_load_b32 v15, v[5:6], off
	v_add_co_u32 v3, vcc_lo, v5, 4
	v_add_co_ci_u32_e32 v5, vcc_lo, 0, v6, vcc_lo
	s_cmp_eq_u64 s[6:7], 0
	s_load_b64 s[6:7], s[0:1], 0x40
	s_cselect_b32 vcc_lo, -1, 0
	s_cmp_eq_u32 s3, 1
	v_dual_cndmask_b32 v2, v2, v5 :: v_dual_cndmask_b32 v1, v1, v3
	global_load_b32 v5, v[1:2], off
	s_waitcnt vmcnt(1)
	v_subrev_nc_u32_e32 v0, s18, v15
	s_delay_alu instid0(VALU_DEP_1) | instskip(NEXT) | instid1(VALU_DEP_1)
	v_add_nc_u32_e32 v0, v0, v9
	v_ashrrev_i32_e32 v1, 31, v0
	s_waitcnt vmcnt(0)
	v_subrev_nc_u32_e32 v14, s18, v5
	s_delay_alu instid0(VALU_DEP_2) | instskip(NEXT) | instid1(VALU_DEP_2)
	v_lshlrev_b64 v[2:3], 4, v[0:1]
	v_cmp_lt_i32_e64 s2, v0, v14
	s_delay_alu instid0(VALU_DEP_2) | instskip(NEXT) | instid1(VALU_DEP_3)
	v_add_co_u32 v2, vcc_lo, s10, v2
	v_add_co_ci_u32_e32 v3, vcc_lo, s11, v3, vcc_lo
	s_cbranch_scc1 .LBB79_25
; %bb.14:
	v_dual_mov_b32 v10, 0 :: v_dual_mov_b32 v13, 0
	v_dual_mov_b32 v12, 0 :: v_dual_mov_b32 v11, 0
	s_mov_b32 s10, 0
	s_and_saveexec_b32 s11, s2
	s_cbranch_execz .LBB79_24
; %bb.15:
	v_dual_mov_b32 v12, 0 :: v_dual_add_nc_u32 v1, v15, v9
	v_not_b32_e32 v5, v15
	v_mov_b32_e32 v13, 0
	s_mov_b32 s4, 0
	s_delay_alu instid0(VALU_DEP_3) | instskip(SKIP_3) | instid1(VALU_DEP_3)
	v_subrev_nc_u32_e32 v1, s18, v1
	s_mov_b32 s3, exec_lo
	v_mov_b32_e32 v10, 0
	v_dual_mov_b32 v8, v3 :: v_dual_mov_b32 v7, v2
	v_add_nc_u32_e32 v1, 64, v1
	s_delay_alu instid0(VALU_DEP_1) | instskip(NEXT) | instid1(VALU_DEP_1)
	v_max_i32_e32 v1, v1, v14
	v_add3_u32 v1, v1, s18, v5
	s_delay_alu instid0(VALU_DEP_1) | instskip(NEXT) | instid1(VALU_DEP_1)
	v_sub_nc_u32_e32 v1, v1, v9
	v_lshrrev_b32_e32 v5, 6, v1
	s_delay_alu instid0(VALU_DEP_1) | instskip(NEXT) | instid1(VALU_DEP_1)
	v_add_nc_u32_e32 v5, 1, v5
	v_dual_mov_b32 v11, 0 :: v_dual_and_b32 v6, 3, v5
	v_mov_b32_e32 v5, v0
	s_delay_alu instid0(VALU_DEP_2)
	v_cmpx_ne_u32_e32 0, v6
	s_cbranch_execz .LBB79_19
; %bb.16:
	v_dual_mov_b32 v8, v3 :: v_dual_mov_b32 v13, 0
	v_dual_mov_b32 v7, v2 :: v_dual_lshlrev_b32 v16, 4, v6
	v_dual_mov_b32 v10, 0 :: v_dual_mov_b32 v5, v0
	v_dual_mov_b32 v12, 0 :: v_dual_mov_b32 v11, 0
.LBB79_17:                              ; =>This Inner Loop Header: Depth=1
	s_delay_alu instid0(VALU_DEP_2) | instskip(NEXT) | instid1(VALU_DEP_1)
	v_ashrrev_i32_e32 v6, 31, v5
	v_lshlrev_b64 v[17:18], 2, v[5:6]
	s_delay_alu instid0(VALU_DEP_1) | instskip(NEXT) | instid1(VALU_DEP_2)
	v_add_co_u32 v17, vcc_lo, s8, v17
	v_add_co_ci_u32_e32 v18, vcc_lo, s9, v18, vcc_lo
	global_load_b32 v6, v[17:18], off
	global_load_b128 v[17:20], v[7:8], off
	s_waitcnt vmcnt(1)
	v_subrev_nc_u32_e32 v6, s18, v6
	s_waitcnt vmcnt(0)
	v_bfe_i32 v24, v18, 0, 8
	v_lshrrev_b32_e32 v25, 8, v18
	v_lshrrev_b32_e32 v23, 16, v17
	;; [unrolled: 1-line block ×3, first 2 shown]
	v_lshlrev_b32_e32 v6, 2, v6
	v_bfe_i32 v27, v19, 0, 8
	v_lshrrev_b32_e32 v28, 8, v19
	v_lshrrev_b32_e32 v29, 16, v19
	;; [unrolled: 1-line block ×3, first 2 shown]
	v_ashrrev_i32_e32 v22, 31, v6
	s_waitcnt lgkmcnt(0)
	v_add_co_u32 v21, vcc_lo, s6, v6
	v_bfe_i32 v30, v20, 0, 8
	v_lshrrev_b32_e32 v31, 8, v20
	v_add_co_ci_u32_e32 v22, vcc_lo, s7, v22, vcc_lo
	v_lshrrev_b32_e32 v32, 16, v20
	v_bfe_i32 v25, v25, 0, 8
	v_bfe_i32 v24, v24, 0, 16
	global_load_b32 v6, v[21:22], off
	v_bfe_i32 v21, v17, 0, 8
	v_lshrrev_b32_e32 v22, 8, v17
	v_lshrrev_b32_e32 v17, 24, v17
	;; [unrolled: 1-line block ×3, first 2 shown]
	v_bfe_i32 v23, v23, 0, 8
	v_bfe_i32 v21, v21, 0, 16
	;; [unrolled: 1-line block ×10, first 2 shown]
	v_cvt_f32_i32_e32 v21, v21
	v_bfe_i32 v22, v22, 0, 16
	v_cvt_f32_i32_e32 v24, v24
	v_bfe_i32 v25, v25, 0, 16
	v_lshrrev_b32_e32 v20, 24, v20
	v_bfe_i32 v17, v17, 0, 8
	v_bfe_i32 v18, v18, 0, 8
	;; [unrolled: 1-line block ×5, first 2 shown]
	v_cvt_f32_i32_e32 v27, v27
	v_bfe_i32 v28, v28, 0, 16
	v_bfe_i32 v19, v19, 0, 16
	v_cvt_f32_i32_e32 v30, v30
	v_bfe_i32 v31, v31, 0, 16
	v_bfe_i32 v32, v32, 0, 16
	v_cvt_f32_i32_e32 v22, v22
	v_cvt_f32_i32_e32 v25, v25
	v_bfe_i32 v20, v20, 0, 8
	v_bfe_i32 v17, v17, 0, 16
	;; [unrolled: 1-line block ×4, first 2 shown]
	v_cvt_f32_i32_e32 v23, v23
	v_cvt_f32_i32_e32 v26, v26
	v_cvt_f32_i32_e32 v28, v28
	v_cvt_f32_i32_e32 v19, v19
	v_cvt_f32_i32_e32 v31, v31
	v_cvt_f32_i32_e32 v32, v32
	v_bfe_i32 v20, v20, 0, 16
	v_cvt_f32_i32_e32 v17, v17
	v_cvt_f32_i32_e32 v18, v18
	;; [unrolled: 1-line block ×3, first 2 shown]
	v_add_co_u32 v7, vcc_lo, 0x400, v7
	v_cvt_f32_i32_e32 v20, v20
	v_add_co_ci_u32_e32 v8, vcc_lo, 0, v8, vcc_lo
	s_waitcnt vmcnt(0)
	v_bfe_i32 v33, v6, 0, 8
	v_lshrrev_b32_e32 v34, 8, v6
	v_lshrrev_b32_e32 v35, 16, v6
	v_lshrrev_b32_e32 v6, 24, v6
	s_delay_alu instid0(VALU_DEP_4) | instskip(NEXT) | instid1(VALU_DEP_4)
	v_bfe_i32 v33, v33, 0, 16
	v_bfe_i32 v34, v34, 0, 8
	s_delay_alu instid0(VALU_DEP_4) | instskip(NEXT) | instid1(VALU_DEP_4)
	v_bfe_i32 v35, v35, 0, 8
	v_bfe_i32 v6, v6, 0, 8
	s_delay_alu instid0(VALU_DEP_4) | instskip(NEXT) | instid1(VALU_DEP_4)
	v_cvt_f32_i32_e32 v33, v33
	v_bfe_i32 v34, v34, 0, 16
	v_add_nc_u32_e32 v16, -16, v16
	v_bfe_i32 v35, v35, 0, 16
	v_bfe_i32 v6, v6, 0, 16
	v_fmac_f32_e32 v13, v24, v33
	v_fmac_f32_e32 v11, v21, v33
	v_cvt_f32_i32_e32 v21, v34
	v_cvt_f32_i32_e32 v24, v35
	v_cvt_f32_i32_e32 v6, v6
	v_cmp_eq_u32_e32 vcc_lo, 0, v16
	s_delay_alu instid0(VALU_DEP_4)
	v_fmac_f32_e32 v11, v22, v21
	v_fmac_f32_e32 v10, v30, v33
	;; [unrolled: 1-line block ×4, first 2 shown]
	s_or_b32 s4, vcc_lo, s4
	v_fmac_f32_e32 v11, v23, v24
	s_delay_alu instid0(VALU_DEP_2) | instskip(NEXT) | instid1(VALU_DEP_2)
	v_dual_fmac_f32 v13, v26, v24 :: v_dual_fmac_f32 v12, v28, v21
	v_dual_fmac_f32 v10, v31, v21 :: v_dual_fmac_f32 v11, v17, v6
	v_add_nc_u32_e32 v5, 64, v5
	s_delay_alu instid0(VALU_DEP_3) | instskip(NEXT) | instid1(VALU_DEP_3)
	v_dual_fmac_f32 v13, v18, v6 :: v_dual_fmac_f32 v12, v29, v24
	v_fmac_f32_e32 v10, v32, v24
	s_delay_alu instid0(VALU_DEP_2) | instskip(NEXT) | instid1(VALU_DEP_2)
	v_fmac_f32_e32 v12, v19, v6
	v_fmac_f32_e32 v10, v20, v6
	s_and_not1_b32 exec_lo, exec_lo, s4
	s_cbranch_execnz .LBB79_17
; %bb.18:
	s_or_b32 exec_lo, exec_lo, s4
.LBB79_19:
	s_delay_alu instid0(SALU_CYCLE_1) | instskip(NEXT) | instid1(SALU_CYCLE_1)
	s_or_b32 exec_lo, exec_lo, s3
	s_mov_b32 s13, exec_lo
	v_cmpx_lt_u32_e32 0xbf, v1
	s_cbranch_execz .LBB79_23
; %bb.20:
	s_mov_b32 s14, 0
.LBB79_21:                              ; =>This Inner Loop Header: Depth=1
	v_ashrrev_i32_e32 v6, 31, v5
	s_delay_alu instid0(VALU_DEP_1) | instskip(NEXT) | instid1(VALU_DEP_1)
	v_lshlrev_b64 v[16:17], 2, v[5:6]
	v_add_co_u32 v16, vcc_lo, s8, v16
	s_delay_alu instid0(VALU_DEP_2)
	v_add_co_ci_u32_e32 v17, vcc_lo, s9, v17, vcc_lo
	s_clause 0x3
	global_load_b32 v1, v[16:17], off
	global_load_b32 v6, v[16:17], off offset:256
	global_load_b32 v32, v[16:17], off offset:512
	;; [unrolled: 1-line block ×3, first 2 shown]
	s_clause 0x3
	global_load_b128 v[16:19], v[7:8], off
	global_load_b128 v[20:23], v[7:8], off offset:1024
	global_load_b128 v[24:27], v[7:8], off offset:2048
	;; [unrolled: 1-line block ×3, first 2 shown]
	v_add_co_u32 v7, vcc_lo, 0x1000, v7
	v_add_co_ci_u32_e32 v8, vcc_lo, 0, v8, vcc_lo
	s_waitcnt vmcnt(7)
	v_subrev_nc_u32_e32 v1, s18, v1
	s_waitcnt vmcnt(6)
	v_subrev_nc_u32_e32 v6, s18, v6
	s_waitcnt vmcnt(3)
	v_lshrrev_b32_e32 v47, 8, v18
	v_bfe_i32 v49, v19, 0, 8
	v_bfe_i32 v38, v16, 0, 8
	;; [unrolled: 1-line block ×3, first 2 shown]
	v_lshrrev_b32_e32 v39, 8, v16
	v_bfe_i32 v47, v47, 0, 8
	v_bfe_i32 v49, v49, 0, 16
	;; [unrolled: 1-line block ×3, first 2 shown]
	v_lshrrev_b32_e32 v40, 16, v16
	v_lshrrev_b32_e32 v41, 24, v16
	v_subrev_nc_u32_e32 v16, s18, v32
	v_bfe_i32 v42, v42, 0, 16
	v_lshrrev_b32_e32 v43, 8, v17
	v_lshrrev_b32_e32 v44, 16, v17
	;; [unrolled: 1-line block ×3, first 2 shown]
	v_subrev_nc_u32_e32 v17, s18, v33
	v_bfe_i32 v47, v47, 0, 16
	v_cvt_f32_i32_e32 v49, v49
	v_lshlrev_b32_e32 v1, 2, v1
	v_cvt_f32_i32_e32 v38, v38
	v_lshlrev_b32_e32 v6, 2, v6
	;; [unrolled: 2-line block ×4, first 2 shown]
	v_ashrrev_i32_e32 v33, 31, v1
	v_ashrrev_i32_e32 v35, 31, v6
	s_waitcnt lgkmcnt(0)
	v_add_co_u32 v16, vcc_lo, s6, v6
	v_ashrrev_i32_e32 v6, 31, v32
	v_ashrrev_i32_e32 v52, 31, v17
	v_add_co_u32 v36, s5, s6, v1
	v_add_co_u32 v32, s3, s6, v32
	v_add_co_ci_u32_e64 v37, s5, s7, v33, s5
	v_add_co_u32 v34, s4, s6, v17
	v_add_co_ci_u32_e32 v17, vcc_lo, s7, v35, vcc_lo
	v_add_co_ci_u32_e64 v33, vcc_lo, s7, v6, s3
	v_add_co_ci_u32_e64 v35, vcc_lo, s7, v52, s4
	s_clause 0x3
	global_load_b32 v1, v[36:37], off
	global_load_b32 v6, v[16:17], off
	;; [unrolled: 1-line block ×4, first 2 shown]
	v_bfe_i32 v46, v18, 0, 8
	v_lshrrev_b32_e32 v48, 16, v18
	v_lshrrev_b32_e32 v18, 24, v18
	v_bfe_i32 v39, v39, 0, 8
	v_lshrrev_b32_e32 v50, 8, v19
	v_bfe_i32 v46, v46, 0, 16
	v_bfe_i32 v48, v48, 0, 8
	v_lshrrev_b32_e32 v51, 16, v19
	v_lshrrev_b32_e32 v19, 24, v19
	v_bfe_i32 v40, v40, 0, 8
	v_cvt_f32_i32_e32 v46, v46
	v_bfe_i32 v45, v45, 0, 8
	v_bfe_i32 v18, v18, 0, 8
	;; [unrolled: 1-line block ×4, first 2 shown]
	s_waitcnt vmcnt(6)
	v_bfe_i32 v35, v21, 0, 8
	v_lshrrev_b32_e32 v36, 8, v21
	v_lshrrev_b32_e32 v37, 16, v21
	;; [unrolled: 1-line block ×3, first 2 shown]
	v_bfe_i32 v52, v22, 0, 8
	v_lshrrev_b32_e32 v53, 8, v22
	v_bfe_i32 v41, v41, 0, 8
	v_bfe_i32 v43, v43, 0, 8
	;; [unrolled: 1-line block ×7, first 2 shown]
	v_cvt_f32_i32_e32 v39, v39
	v_cvt_f32_i32_e32 v48, v48
	v_bfe_i32 v32, v20, 0, 8
	v_lshrrev_b32_e32 v33, 8, v20
	v_lshrrev_b32_e32 v54, 16, v22
	;; [unrolled: 1-line block ×3, first 2 shown]
	v_bfe_i32 v55, v23, 0, 8
	v_lshrrev_b32_e32 v56, 8, v23
	v_lshrrev_b32_e32 v57, 16, v23
	;; [unrolled: 1-line block ×3, first 2 shown]
	v_bfe_i32 v44, v44, 0, 8
	v_bfe_i32 v51, v51, 0, 8
	;; [unrolled: 1-line block ×9, first 2 shown]
	v_cvt_f32_i32_e32 v40, v40
	v_cvt_f32_i32_e32 v45, v45
	;; [unrolled: 1-line block ×3, first 2 shown]
	v_bfe_i32 v33, v33, 0, 8
	v_bfe_i32 v22, v22, 0, 8
	;; [unrolled: 1-line block ×7, first 2 shown]
	v_cvt_f32_i32_e32 v52, v52
	v_bfe_i32 v53, v53, 0, 16
	v_cvt_f32_i32_e32 v41, v41
	v_cvt_f32_i32_e32 v43, v43
	;; [unrolled: 1-line block ×5, first 2 shown]
	v_bfe_i32 v33, v33, 0, 16
	v_bfe_i32 v22, v22, 0, 16
	;; [unrolled: 1-line block ×3, first 2 shown]
	v_cvt_f32_i32_e32 v44, v44
	v_cvt_f32_i32_e32 v51, v51
	;; [unrolled: 1-line block ×4, first 2 shown]
	v_lshrrev_b32_e32 v34, 16, v20
	v_lshrrev_b32_e32 v20, 24, v20
	v_bfe_i32 v36, v36, 0, 8
	v_bfe_i32 v54, v54, 0, 8
	;; [unrolled: 1-line block ×5, first 2 shown]
	v_cvt_f32_i32_e32 v33, v33
	v_cvt_f32_i32_e32 v22, v22
	;; [unrolled: 1-line block ×3, first 2 shown]
	v_bfe_i32 v34, v34, 0, 8
	v_bfe_i32 v20, v20, 0, 8
	v_cvt_f32_i32_e32 v35, v35
	v_bfe_i32 v36, v36, 0, 16
	v_bfe_i32 v54, v54, 0, 16
	v_cvt_f32_i32_e32 v55, v55
	v_bfe_i32 v56, v56, 0, 16
	s_waitcnt vmcnt(5)
	v_bfe_i32 v64, v26, 0, 8
	v_bfe_i32 v57, v57, 0, 8
	;; [unrolled: 1-line block ×4, first 2 shown]
	v_cvt_f32_i32_e32 v36, v36
	v_cvt_f32_i32_e32 v54, v54
	;; [unrolled: 1-line block ×3, first 2 shown]
	v_bfe_i32 v58, v24, 0, 8
	v_bfe_i32 v37, v37, 0, 8
	;; [unrolled: 1-line block ×4, first 2 shown]
	v_cvt_f32_i32_e32 v34, v34
	v_cvt_f32_i32_e32 v20, v20
	v_lshrrev_b32_e32 v59, 8, v24
	v_bfe_i32 v67, v27, 0, 8
	v_lshrrev_b32_e32 v68, 8, v27
	v_bfe_i32 v58, v58, 0, 16
	v_bfe_i32 v37, v37, 0, 16
	v_cvt_f32_i32_e32 v64, v64
	v_cvt_f32_i32_e32 v57, v57
	v_lshrrev_b32_e32 v60, 16, v24
	v_lshrrev_b32_e32 v63, 16, v25
	;; [unrolled: 1-line block ×4, first 2 shown]
	v_bfe_i32 v59, v59, 0, 8
	v_bfe_i32 v68, v68, 0, 8
	;; [unrolled: 1-line block ×3, first 2 shown]
	v_cvt_f32_i32_e32 v58, v58
	v_cvt_f32_i32_e32 v37, v37
	v_bfe_i32 v61, v25, 0, 8
	v_lshrrev_b32_e32 v62, 8, v25
	v_lshrrev_b32_e32 v66, 16, v26
	v_bfe_i32 v60, v60, 0, 8
	v_bfe_i32 v63, v63, 0, 8
	;; [unrolled: 1-line block ×5, first 2 shown]
	v_cvt_f32_i32_e32 v67, v67
	v_bfe_i32 v68, v68, 0, 16
	v_lshrrev_b32_e32 v26, 24, v26
	v_bfe_i32 v62, v62, 0, 8
	v_bfe_i32 v66, v66, 0, 8
	;; [unrolled: 1-line block ×7, first 2 shown]
	v_cvt_f32_i32_e32 v59, v59
	v_cvt_f32_i32_e32 v68, v68
	v_lshrrev_b32_e32 v27, 24, v27
	s_waitcnt vmcnt(4)
	v_bfe_i32 v76, v30, 0, 8
	v_bfe_i32 v26, v26, 0, 8
	v_cvt_f32_i32_e32 v61, v61
	v_bfe_i32 v62, v62, 0, 16
	v_bfe_i32 v66, v66, 0, 16
	v_cvt_f32_i32_e32 v60, v60
	v_cvt_f32_i32_e32 v63, v63
	;; [unrolled: 1-line block ×4, first 2 shown]
	v_lshrrev_b32_e32 v24, 24, v24
	v_lshrrev_b32_e32 v25, 24, v25
	v_bfe_i32 v73, v29, 0, 8
	v_bfe_i32 v27, v27, 0, 8
	;; [unrolled: 1-line block ×4, first 2 shown]
	v_cvt_f32_i32_e32 v62, v62
	v_cvt_f32_i32_e32 v66, v66
	v_bfe_i32 v70, v28, 0, 8
	v_lshrrev_b32_e32 v78, 16, v30
	v_bfe_i32 v79, v31, 0, 8
	v_lshrrev_b32_e32 v80, 8, v31
	v_bfe_i32 v24, v24, 0, 8
	v_bfe_i32 v25, v25, 0, 8
	;; [unrolled: 1-line block ×4, first 2 shown]
	v_cvt_f32_i32_e32 v76, v76
	v_cvt_f32_i32_e32 v26, v26
	v_lshrrev_b32_e32 v71, 8, v28
	v_lshrrev_b32_e32 v75, 16, v29
	;; [unrolled: 1-line block ×4, first 2 shown]
	v_bfe_i32 v78, v78, 0, 8
	v_bfe_i32 v80, v80, 0, 8
	;; [unrolled: 1-line block ×6, first 2 shown]
	v_cvt_f32_i32_e32 v73, v73
	v_cvt_f32_i32_e32 v27, v27
	v_lshrrev_b32_e32 v72, 16, v28
	v_bfe_i32 v71, v71, 0, 8
	v_bfe_i32 v75, v75, 0, 8
	;; [unrolled: 1-line block ×4, first 2 shown]
	v_cvt_f32_i32_e32 v70, v70
	v_bfe_i32 v78, v78, 0, 16
	v_cvt_f32_i32_e32 v79, v79
	v_bfe_i32 v80, v80, 0, 16
	v_cvt_f32_i32_e32 v24, v24
	v_cvt_f32_i32_e32 v25, v25
	v_lshrrev_b32_e32 v74, 8, v29
	v_bfe_i32 v72, v72, 0, 8
	v_bfe_i32 v71, v71, 0, 16
	;; [unrolled: 1-line block ×5, first 2 shown]
	v_cvt_f32_i32_e32 v78, v78
	v_cvt_f32_i32_e32 v80, v80
	v_bfe_i32 v74, v74, 0, 8
	v_bfe_i32 v72, v72, 0, 16
	v_cvt_f32_i32_e32 v71, v71
	v_cvt_f32_i32_e32 v75, v75
	;; [unrolled: 1-line block ×4, first 2 shown]
	v_lshrrev_b32_e32 v28, 24, v28
	v_lshrrev_b32_e32 v29, 24, v29
	v_lshrrev_b32_e32 v30, 24, v30
	v_lshrrev_b32_e32 v31, 24, v31
	v_bfe_i32 v74, v74, 0, 16
	v_cvt_f32_i32_e32 v72, v72
	v_bfe_i32 v28, v28, 0, 8
	v_bfe_i32 v29, v29, 0, 8
	;; [unrolled: 1-line block ×4, first 2 shown]
	v_cvt_f32_i32_e32 v74, v74
	v_bfe_i32 v28, v28, 0, 16
	v_bfe_i32 v29, v29, 0, 16
	;; [unrolled: 1-line block ×4, first 2 shown]
	s_delay_alu instid0(VALU_DEP_4) | instskip(NEXT) | instid1(VALU_DEP_4)
	v_cvt_f32_i32_e32 v28, v28
	v_cvt_f32_i32_e32 v29, v29
	s_delay_alu instid0(VALU_DEP_4) | instskip(NEXT) | instid1(VALU_DEP_4)
	v_cvt_f32_i32_e32 v30, v30
	v_cvt_f32_i32_e32 v31, v31
	s_waitcnt vmcnt(3)
	v_bfe_i32 v83, v1, 0, 8
	v_lshrrev_b32_e32 v84, 8, v1
	v_lshrrev_b32_e32 v82, 16, v1
	;; [unrolled: 1-line block ×3, first 2 shown]
	s_waitcnt vmcnt(2)
	v_bfe_i32 v86, v6, 0, 8
	v_bfe_i32 v83, v83, 0, 16
	;; [unrolled: 1-line block ×6, first 2 shown]
	v_cvt_f32_i32_e32 v83, v83
	v_bfe_i32 v84, v84, 0, 16
	v_add_nc_u32_e32 v5, 0x100, v5
	v_bfe_i32 v82, v82, 0, 16
	v_bfe_i32 v1, v1, 0, 16
	v_fmac_f32_e32 v12, v46, v83
	v_fmac_f32_e32 v11, v38, v83
	v_cvt_f32_i32_e32 v38, v84
	v_fmac_f32_e32 v13, v42, v83
	v_cvt_f32_i32_e32 v42, v82
	v_cvt_f32_i32_e32 v1, v1
	v_lshrrev_b32_e32 v87, 8, v6
	v_fmac_f32_e32 v12, v47, v38
	v_cvt_f32_i32_e32 v86, v86
	v_fmac_f32_e32 v10, v49, v83
	v_lshrrev_b32_e32 v85, 16, v6
	v_bfe_i32 v87, v87, 0, 8
	v_fmac_f32_e32 v12, v48, v42
	v_fmac_f32_e32 v11, v39, v38
	v_lshrrev_b32_e32 v6, 24, v6
	v_bfe_i32 v85, v85, 0, 8
	v_bfe_i32 v87, v87, 0, 16
	s_delay_alu instid0(VALU_DEP_4) | instskip(SKIP_3) | instid1(VALU_DEP_4)
	v_dual_fmac_f32 v12, v18, v1 :: v_dual_fmac_f32 v11, v40, v42
	v_fmac_f32_e32 v10, v50, v38
	v_bfe_i32 v6, v6, 0, 8
	v_bfe_i32 v85, v85, 0, 16
	v_fmac_f32_e32 v12, v52, v86
	v_fmac_f32_e32 v13, v43, v38
	;; [unrolled: 1-line block ×3, first 2 shown]
	s_waitcnt vmcnt(1)
	v_bfe_i32 v89, v16, 0, 8
	v_bfe_i32 v6, v6, 0, 16
	v_cvt_f32_i32_e32 v18, v85
	v_fmac_f32_e32 v13, v44, v42
	v_fmac_f32_e32 v11, v32, v86
	;; [unrolled: 1-line block ×3, first 2 shown]
	v_bfe_i32 v89, v89, 0, 16
	v_lshrrev_b32_e32 v90, 8, v16
	v_fmac_f32_e32 v13, v45, v1
	v_lshrrev_b32_e32 v88, 16, v16
	v_fmac_f32_e32 v10, v19, v1
	v_cvt_f32_i32_e32 v1, v87
	v_cvt_f32_i32_e32 v89, v89
	v_bfe_i32 v90, v90, 0, 8
	v_bfe_i32 v88, v88, 0, 8
	v_fmac_f32_e32 v10, v55, v86
	v_dual_fmac_f32 v13, v35, v86 :: v_dual_fmac_f32 v12, v53, v1
	v_fmac_f32_e32 v11, v33, v1
	v_bfe_i32 v90, v90, 0, 16
	s_delay_alu instid0(VALU_DEP_4) | instskip(NEXT) | instid1(VALU_DEP_4)
	v_fmac_f32_e32 v10, v56, v1
	v_fmac_f32_e32 v13, v36, v1
	v_cvt_f32_i32_e32 v1, v6
	v_fmac_f32_e32 v12, v54, v18
	v_lshrrev_b32_e32 v16, 24, v16
	v_bfe_i32 v88, v88, 0, 16
	s_waitcnt vmcnt(0)
	v_bfe_i32 v92, v17, 0, 8
	v_lshrrev_b32_e32 v91, 16, v17
	v_fmac_f32_e32 v12, v22, v1
	v_fmac_f32_e32 v11, v34, v18
	v_bfe_i32 v16, v16, 0, 8
	v_bfe_i32 v92, v92, 0, 16
	v_lshrrev_b32_e32 v93, 8, v17
	v_fmac_f32_e32 v12, v64, v89
	v_dual_fmac_f32 v11, v20, v1 :: v_dual_fmac_f32 v10, v57, v18
	v_bfe_i32 v16, v16, 0, 16
	v_cvt_f32_i32_e32 v92, v92
	v_bfe_i32 v93, v93, 0, 8
	s_delay_alu instid0(VALU_DEP_4) | instskip(SKIP_4) | instid1(VALU_DEP_4)
	v_fmac_f32_e32 v11, v58, v89
	v_dual_fmac_f32 v10, v23, v1 :: v_dual_fmac_f32 v13, v37, v18
	v_cvt_f32_i32_e32 v18, v88
	v_bfe_i32 v91, v91, 0, 8
	v_bfe_i32 v38, v93, 0, 16
	v_fmac_f32_e32 v10, v67, v89
	v_fmac_f32_e32 v13, v21, v1
	v_cvt_f32_i32_e32 v1, v90
	v_bfe_i32 v6, v91, 0, 16
	v_lshrrev_b32_e32 v17, 24, v17
	v_cmp_ge_i32_e32 vcc_lo, v5, v14
	s_delay_alu instid0(VALU_DEP_4)
	v_fmac_f32_e32 v10, v68, v1
	v_fmac_f32_e32 v11, v59, v1
	v_cvt_f32_i32_e32 v6, v6
	v_bfe_i32 v17, v17, 0, 8
	s_or_b32 s14, vcc_lo, s14
	v_fmac_f32_e32 v10, v69, v18
	v_dual_fmac_f32 v12, v65, v1 :: v_dual_fmac_f32 v11, v60, v18
	s_delay_alu instid0(VALU_DEP_1) | instskip(NEXT) | instid1(VALU_DEP_1)
	v_dual_fmac_f32 v13, v61, v89 :: v_dual_fmac_f32 v12, v66, v18
	v_fmac_f32_e32 v13, v62, v1
	v_cvt_f32_i32_e32 v1, v16
	v_bfe_i32 v16, v17, 0, 16
	s_delay_alu instid0(VALU_DEP_2) | instskip(SKIP_2) | instid1(VALU_DEP_3)
	v_fmac_f32_e32 v12, v26, v1
	v_fmac_f32_e32 v10, v27, v1
	v_fmac_f32_e32 v11, v24, v1
	v_fmac_f32_e32 v12, v76, v92
	s_delay_alu instid0(VALU_DEP_3) | instskip(SKIP_1) | instid1(VALU_DEP_4)
	v_fmac_f32_e32 v10, v79, v92
	v_fmac_f32_e32 v13, v63, v18
	;; [unrolled: 1-line block ×3, first 2 shown]
	s_delay_alu instid0(VALU_DEP_2) | instskip(SKIP_1) | instid1(VALU_DEP_1)
	v_fmac_f32_e32 v13, v25, v1
	v_cvt_f32_i32_e32 v1, v38
	v_fmac_f32_e32 v10, v80, v1
	s_delay_alu instid0(VALU_DEP_1) | instskip(NEXT) | instid1(VALU_DEP_1)
	v_dual_fmac_f32 v11, v71, v1 :: v_dual_fmac_f32 v10, v81, v6
	v_dual_fmac_f32 v12, v77, v1 :: v_dual_fmac_f32 v11, v72, v6
	s_delay_alu instid0(VALU_DEP_1) | instskip(NEXT) | instid1(VALU_DEP_1)
	v_dual_fmac_f32 v12, v78, v6 :: v_dual_fmac_f32 v13, v73, v92
	v_fmac_f32_e32 v13, v74, v1
	v_cvt_f32_i32_e32 v1, v16
	s_delay_alu instid0(VALU_DEP_2) | instskip(NEXT) | instid1(VALU_DEP_2)
	v_fmac_f32_e32 v13, v75, v6
	v_fmac_f32_e32 v11, v28, v1
	;; [unrolled: 1-line block ×4, first 2 shown]
	s_delay_alu instid0(VALU_DEP_4)
	v_fmac_f32_e32 v13, v29, v1
	s_and_not1_b32 exec_lo, exec_lo, s14
	s_cbranch_execnz .LBB79_21
; %bb.22:
	s_or_b32 exec_lo, exec_lo, s14
.LBB79_23:
	s_delay_alu instid0(SALU_CYCLE_1)
	s_or_b32 exec_lo, exec_lo, s13
.LBB79_24:
	s_delay_alu instid0(SALU_CYCLE_1) | instskip(NEXT) | instid1(SALU_CYCLE_1)
	s_or_b32 exec_lo, exec_lo, s11
	s_and_not1_b32 vcc_lo, exec_lo, s10
	s_cbranch_vccz .LBB79_26
	s_branch .LBB79_37
.LBB79_25:
                                        ; implicit-def: $vgpr10
                                        ; implicit-def: $vgpr12
                                        ; implicit-def: $vgpr13
                                        ; implicit-def: $vgpr11
.LBB79_26:
	v_dual_mov_b32 v10, 0 :: v_dual_mov_b32 v13, 0
	v_dual_mov_b32 v12, 0 :: v_dual_mov_b32 v11, 0
	s_and_saveexec_b32 s5, s2
	s_cbranch_execz .LBB79_36
; %bb.27:
	v_dual_mov_b32 v12, 0 :: v_dual_add_nc_u32 v1, v15, v9
	v_not_b32_e32 v5, v15
	v_mov_b32_e32 v11, 0
	v_mov_b32_e32 v13, 0
	s_delay_alu instid0(VALU_DEP_4) | instskip(SKIP_2) | instid1(VALU_DEP_1)
	v_subrev_nc_u32_e32 v1, s18, v1
	s_mov_b32 s3, 0
	s_mov_b32 s2, exec_lo
	v_dual_mov_b32 v10, 0 :: v_dual_add_nc_u32 v1, 64, v1
	s_delay_alu instid0(VALU_DEP_1) | instskip(NEXT) | instid1(VALU_DEP_1)
	v_max_i32_e32 v1, v1, v14
	v_add3_u32 v1, v1, s18, v5
	s_delay_alu instid0(VALU_DEP_1) | instskip(NEXT) | instid1(VALU_DEP_1)
	v_sub_nc_u32_e32 v5, v1, v9
	v_lshrrev_b32_e32 v1, 6, v5
	s_delay_alu instid0(VALU_DEP_1) | instskip(NEXT) | instid1(VALU_DEP_1)
	v_add_nc_u32_e32 v1, 1, v1
	v_and_b32_e32 v1, 3, v1
	s_delay_alu instid0(VALU_DEP_1)
	v_cmpx_ne_u32_e32 0, v1
	s_cbranch_execz .LBB79_31
; %bb.28:
	v_dual_mov_b32 v13, 0 :: v_dual_lshlrev_b32 v6, 4, v1
	v_dual_mov_b32 v10, 0 :: v_dual_mov_b32 v11, 0
	v_mov_b32_e32 v12, 0
.LBB79_29:                              ; =>This Inner Loop Header: Depth=1
	v_ashrrev_i32_e32 v1, 31, v0
	s_delay_alu instid0(VALU_DEP_1) | instskip(NEXT) | instid1(VALU_DEP_1)
	v_lshlrev_b64 v[7:8], 2, v[0:1]
	v_add_co_u32 v7, vcc_lo, s8, v7
	s_delay_alu instid0(VALU_DEP_2)
	v_add_co_ci_u32_e32 v8, vcc_lo, s9, v8, vcc_lo
	global_load_b32 v1, v[7:8], off
	global_load_b128 v[15:18], v[2:3], off
	s_waitcnt vmcnt(1)
	v_subrev_nc_u32_e32 v1, s18, v1
	s_waitcnt vmcnt(0)
	v_lshrrev_b32_e32 v22, 16, v16
	v_lshrrev_b32_e32 v19, 16, v15
	v_bfe_i32 v20, v16, 0, 8
	v_lshrrev_b32_e32 v21, 8, v16
	v_lshrrev_b32_e32 v16, 24, v16
	v_bfe_i32 v22, v22, 0, 8
	v_bfe_i32 v19, v19, 0, 8
	;; [unrolled: 1-line block ×3, first 2 shown]
	v_lshrrev_b32_e32 v24, 8, v17
	v_lshrrev_b32_e32 v25, 16, v17
	v_bfe_i32 v22, v22, 0, 16
	v_lshrrev_b32_e32 v17, 24, v17
	v_bfe_i32 v21, v21, 0, 8
	v_bfe_i32 v16, v16, 0, 8
	;; [unrolled: 1-line block ×3, first 2 shown]
	v_cvt_f32_i32_e32 v22, v22
	v_lshlrev_b32_e32 v1, 2, v1
	v_bfe_i32 v26, v18, 0, 8
	v_lshrrev_b32_e32 v27, 8, v18
	v_lshrrev_b32_e32 v28, 16, v18
	;; [unrolled: 1-line block ×3, first 2 shown]
	v_ashrrev_i32_e32 v8, 31, v1
	s_waitcnt lgkmcnt(0)
	v_add_co_u32 v7, vcc_lo, s6, v1
	v_bfe_i32 v24, v24, 0, 8
	v_bfe_i32 v25, v25, 0, 8
	v_add_co_ci_u32_e32 v8, vcc_lo, s7, v8, vcc_lo
	v_bfe_i32 v17, v17, 0, 8
	v_bfe_i32 v20, v20, 0, 16
	;; [unrolled: 1-line block ×3, first 2 shown]
	global_load_b32 v1, v[7:8], off
	v_bfe_i32 v7, v15, 0, 8
	v_lshrrev_b32_e32 v8, 8, v15
	v_lshrrev_b32_e32 v15, 24, v15
	v_bfe_i32 v16, v16, 0, 16
	v_cvt_f32_i32_e32 v19, v19
	v_bfe_i32 v7, v7, 0, 16
	v_bfe_i32 v8, v8, 0, 8
	;; [unrolled: 1-line block ×5, first 2 shown]
	v_cvt_f32_i32_e32 v7, v7
	v_bfe_i32 v8, v8, 0, 16
	v_bfe_i32 v15, v15, 0, 16
	;; [unrolled: 1-line block ×4, first 2 shown]
	v_cvt_f32_i32_e32 v20, v20
	v_cvt_f32_i32_e32 v8, v8
	v_cvt_f32_i32_e32 v15, v15
	v_bfe_i32 v24, v24, 0, 16
	v_bfe_i32 v25, v25, 0, 16
	;; [unrolled: 1-line block ×3, first 2 shown]
	v_cvt_f32_i32_e32 v21, v21
	v_cvt_f32_i32_e32 v16, v16
	v_bfe_i32 v26, v26, 0, 16
	v_cvt_f32_i32_e32 v23, v23
	v_bfe_i32 v27, v27, 0, 16
	v_bfe_i32 v28, v28, 0, 16
	;; [unrolled: 1-line block ×3, first 2 shown]
	v_cvt_f32_i32_e32 v24, v24
	v_cvt_f32_i32_e32 v25, v25
	;; [unrolled: 1-line block ×3, first 2 shown]
	v_add_co_u32 v2, vcc_lo, 0x400, v2
	v_cvt_f32_i32_e32 v26, v26
	v_cvt_f32_i32_e32 v27, v27
	;; [unrolled: 1-line block ×4, first 2 shown]
	v_add_co_ci_u32_e32 v3, vcc_lo, 0, v3, vcc_lo
	s_waitcnt vmcnt(0)
	v_bfe_i32 v29, v1, 0, 8
	v_lshrrev_b32_e32 v30, 8, v1
	v_lshrrev_b32_e32 v31, 16, v1
	;; [unrolled: 1-line block ×3, first 2 shown]
	s_delay_alu instid0(VALU_DEP_4) | instskip(NEXT) | instid1(VALU_DEP_4)
	v_bfe_i32 v29, v29, 0, 16
	v_bfe_i32 v30, v30, 0, 8
	s_delay_alu instid0(VALU_DEP_4) | instskip(NEXT) | instid1(VALU_DEP_4)
	v_bfe_i32 v31, v31, 0, 8
	v_bfe_i32 v1, v1, 0, 8
	s_delay_alu instid0(VALU_DEP_4) | instskip(NEXT) | instid1(VALU_DEP_4)
	v_cvt_f32_i32_e32 v29, v29
	v_bfe_i32 v30, v30, 0, 16
	v_add_nc_u32_e32 v6, -16, v6
	v_add_nc_u32_e32 v0, 64, v0
	v_bfe_i32 v31, v31, 0, 16
	v_fmac_f32_e32 v13, v8, v29
	v_fmac_f32_e32 v11, v7, v29
	v_cvt_f32_i32_e32 v7, v30
	v_fmac_f32_e32 v12, v19, v29
	v_fmac_f32_e32 v10, v15, v29
	v_bfe_i32 v1, v1, 0, 16
	v_cvt_f32_i32_e32 v8, v31
	v_fmac_f32_e32 v13, v21, v7
	v_fmac_f32_e32 v11, v20, v7
	;; [unrolled: 1-line block ×4, first 2 shown]
	v_cvt_f32_i32_e32 v1, v1
	v_cmp_eq_u32_e32 vcc_lo, 0, v6
	v_fmac_f32_e32 v11, v23, v8
	v_fmac_f32_e32 v12, v25, v8
	;; [unrolled: 1-line block ×4, first 2 shown]
	s_or_b32 s3, vcc_lo, s3
	v_fmac_f32_e32 v11, v26, v1
	v_fmac_f32_e32 v12, v28, v1
	;; [unrolled: 1-line block ×4, first 2 shown]
	s_and_not1_b32 exec_lo, exec_lo, s3
	s_cbranch_execnz .LBB79_29
; %bb.30:
	s_or_b32 exec_lo, exec_lo, s3
.LBB79_31:
	s_delay_alu instid0(SALU_CYCLE_1) | instskip(NEXT) | instid1(SALU_CYCLE_1)
	s_or_b32 exec_lo, exec_lo, s2
	s_mov_b32 s10, exec_lo
	v_cmpx_lt_u32_e32 0xbf, v5
	s_cbranch_execz .LBB79_35
; %bb.32:
	s_mov_b32 s11, 0
.LBB79_33:                              ; =>This Inner Loop Header: Depth=1
	v_ashrrev_i32_e32 v1, 31, v0
	s_delay_alu instid0(VALU_DEP_1) | instskip(NEXT) | instid1(VALU_DEP_1)
	v_lshlrev_b64 v[5:6], 2, v[0:1]
	v_add_co_u32 v5, vcc_lo, s8, v5
	s_delay_alu instid0(VALU_DEP_2)
	v_add_co_ci_u32_e32 v6, vcc_lo, s9, v6, vcc_lo
	s_clause 0x3
	global_load_b32 v1, v[5:6], off
	global_load_b32 v27, v[5:6], off offset:256
	global_load_b32 v28, v[5:6], off offset:512
	;; [unrolled: 1-line block ×3, first 2 shown]
	s_clause 0x3
	global_load_b128 v[5:8], v[2:3], off
	global_load_b128 v[15:18], v[2:3], off offset:1024
	global_load_b128 v[19:22], v[2:3], off offset:2048
	global_load_b128 v[23:26], v[2:3], off offset:3072
	v_add_co_u32 v2, vcc_lo, 0x1000, v2
	v_add_co_ci_u32_e32 v3, vcc_lo, 0, v3, vcc_lo
	s_waitcnt vmcnt(7)
	v_subrev_nc_u32_e32 v1, s18, v1
	s_waitcnt vmcnt(3)
	v_lshrrev_b32_e32 v35, 16, v5
	v_lshrrev_b32_e32 v36, 24, v5
	;; [unrolled: 1-line block ×3, first 2 shown]
	v_bfe_i32 v37, v6, 0, 8
	v_bfe_i32 v33, v5, 0, 8
	;; [unrolled: 1-line block ×5, first 2 shown]
	v_subrev_nc_u32_e32 v5, s18, v27
	v_lshrrev_b32_e32 v38, 8, v6
	v_bfe_i32 v35, v35, 0, 16
	v_bfe_i32 v36, v36, 0, 16
	v_lshrrev_b32_e32 v39, 16, v6
	v_lshrrev_b32_e32 v40, 24, v6
	v_subrev_nc_u32_e32 v6, s18, v28
	v_bfe_i32 v34, v34, 0, 16
	v_subrev_nc_u32_e32 v27, s18, v29
	v_bfe_i32 v37, v37, 0, 16
	v_cvt_f32_i32_e32 v35, v35
	v_lshlrev_b32_e32 v1, 2, v1
	v_cvt_f32_i32_e32 v36, v36
	v_lshlrev_b32_e32 v5, 2, v5
	;; [unrolled: 2-line block ×4, first 2 shown]
	v_ashrrev_i32_e32 v30, 31, v1
	v_ashrrev_i32_e32 v47, 31, v5
	;; [unrolled: 1-line block ×3, first 2 shown]
	s_waitcnt lgkmcnt(0)
	v_add_co_u32 v31, s4, s6, v1
	v_ashrrev_i32_e32 v49, 31, v28
	v_add_co_u32 v5, vcc_lo, s6, v5
	v_add_co_u32 v27, s2, s6, v6
	v_add_co_ci_u32_e64 v32, s4, s7, v30, s4
	v_add_co_u32 v29, s3, s6, v28
	v_add_co_ci_u32_e32 v6, vcc_lo, s7, v47, vcc_lo
	v_add_co_ci_u32_e64 v28, vcc_lo, s7, v48, s2
	v_add_co_ci_u32_e64 v30, vcc_lo, s7, v49, s3
	s_clause 0x3
	global_load_b32 v1, v[31:32], off
	global_load_b32 v5, v[5:6], off
	;; [unrolled: 1-line block ×4, first 2 shown]
	v_lshrrev_b32_e32 v43, 16, v7
	v_bfe_i32 v39, v39, 0, 8
	v_bfe_i32 v33, v33, 0, 16
	;; [unrolled: 1-line block ×3, first 2 shown]
	v_lshrrev_b32_e32 v42, 8, v7
	v_lshrrev_b32_e32 v7, 24, v7
	;; [unrolled: 1-line block ×3, first 2 shown]
	v_bfe_i32 v38, v38, 0, 8
	v_bfe_i32 v40, v40, 0, 8
	;; [unrolled: 1-line block ×3, first 2 shown]
	v_cvt_f32_i32_e32 v33, v33
	v_bfe_i32 v39, v39, 0, 16
	v_bfe_i32 v44, v8, 0, 8
	v_lshrrev_b32_e32 v45, 8, v8
	v_lshrrev_b32_e32 v8, 24, v8
	s_waitcnt vmcnt(6)
	v_lshrrev_b32_e32 v30, 16, v15
	v_bfe_i32 v42, v42, 0, 8
	v_bfe_i32 v7, v7, 0, 8
	v_bfe_i32 v46, v46, 0, 8
	v_bfe_i32 v41, v41, 0, 16
	v_bfe_i32 v38, v38, 0, 16
	v_bfe_i32 v40, v40, 0, 16
	v_bfe_i32 v43, v43, 0, 16
	v_cvt_f32_i32_e32 v39, v39
	v_bfe_i32 v28, v15, 0, 8
	v_lshrrev_b32_e32 v29, 8, v15
	v_lshrrev_b32_e32 v15, 24, v15
	v_lshrrev_b32_e32 v47, 16, v16
	v_bfe_i32 v45, v45, 0, 8
	v_bfe_i32 v8, v8, 0, 8
	;; [unrolled: 1-line block ×4, first 2 shown]
	v_cvt_f32_i32_e32 v41, v41
	v_bfe_i32 v42, v42, 0, 16
	v_bfe_i32 v7, v7, 0, 16
	v_bfe_i32 v46, v46, 0, 16
	v_cvt_f32_i32_e32 v38, v38
	v_cvt_f32_i32_e32 v40, v40
	;; [unrolled: 1-line block ×3, first 2 shown]
	v_bfe_i32 v31, v16, 0, 8
	v_lshrrev_b32_e32 v32, 8, v16
	v_lshrrev_b32_e32 v16, 24, v16
	v_lshrrev_b32_e32 v50, 16, v17
	v_bfe_i32 v29, v29, 0, 8
	v_bfe_i32 v15, v15, 0, 8
	;; [unrolled: 1-line block ×4, first 2 shown]
	v_cvt_f32_i32_e32 v44, v44
	v_bfe_i32 v45, v45, 0, 16
	v_bfe_i32 v8, v8, 0, 16
	;; [unrolled: 1-line block ×3, first 2 shown]
	v_cvt_f32_i32_e32 v42, v42
	v_cvt_f32_i32_e32 v7, v7
	;; [unrolled: 1-line block ×3, first 2 shown]
	v_bfe_i32 v48, v17, 0, 8
	v_lshrrev_b32_e32 v49, 8, v17
	v_lshrrev_b32_e32 v17, 24, v17
	v_bfe_i32 v32, v32, 0, 8
	v_bfe_i32 v16, v16, 0, 8
	;; [unrolled: 1-line block ×4, first 2 shown]
	v_cvt_f32_i32_e32 v28, v28
	v_bfe_i32 v29, v29, 0, 16
	v_bfe_i32 v15, v15, 0, 16
	;; [unrolled: 1-line block ×3, first 2 shown]
	v_cvt_f32_i32_e32 v45, v45
	v_cvt_f32_i32_e32 v8, v8
	;; [unrolled: 1-line block ×3, first 2 shown]
	v_bfe_i32 v51, v18, 0, 8
	v_lshrrev_b32_e32 v52, 8, v18
	v_lshrrev_b32_e32 v53, 16, v18
	;; [unrolled: 1-line block ×3, first 2 shown]
	v_bfe_i32 v49, v49, 0, 8
	v_bfe_i32 v17, v17, 0, 8
	;; [unrolled: 1-line block ×3, first 2 shown]
	v_cvt_f32_i32_e32 v31, v31
	v_bfe_i32 v32, v32, 0, 16
	v_bfe_i32 v16, v16, 0, 16
	;; [unrolled: 1-line block ×3, first 2 shown]
	v_cvt_f32_i32_e32 v29, v29
	v_cvt_f32_i32_e32 v15, v15
	;; [unrolled: 1-line block ×3, first 2 shown]
	s_waitcnt vmcnt(5)
	v_bfe_i32 v54, v19, 0, 8
	v_bfe_i32 v60, v21, 0, 8
	v_lshrrev_b32_e32 v61, 8, v21
	v_lshrrev_b32_e32 v62, 16, v21
	;; [unrolled: 1-line block ×3, first 2 shown]
	v_bfe_i32 v52, v52, 0, 8
	v_bfe_i32 v53, v53, 0, 8
	;; [unrolled: 1-line block ×4, first 2 shown]
	v_cvt_f32_i32_e32 v48, v48
	v_bfe_i32 v49, v49, 0, 16
	v_bfe_i32 v17, v17, 0, 16
	v_cvt_f32_i32_e32 v32, v32
	v_cvt_f32_i32_e32 v16, v16
	;; [unrolled: 1-line block ×3, first 2 shown]
	v_lshrrev_b32_e32 v56, 16, v19
	v_bfe_i32 v57, v20, 0, 8
	s_waitcnt vmcnt(4)
	v_bfe_i32 v66, v23, 0, 8
	v_lshrrev_b32_e32 v67, 8, v23
	v_lshrrev_b32_e32 v68, 16, v23
	;; [unrolled: 1-line block ×3, first 2 shown]
	v_bfe_i32 v61, v61, 0, 8
	v_bfe_i32 v62, v62, 0, 8
	;; [unrolled: 1-line block ×4, first 2 shown]
	v_cvt_f32_i32_e32 v51, v51
	v_bfe_i32 v52, v52, 0, 16
	v_bfe_i32 v53, v53, 0, 16
	;; [unrolled: 1-line block ×3, first 2 shown]
	v_cvt_f32_i32_e32 v49, v49
	v_cvt_f32_i32_e32 v17, v17
	v_lshrrev_b32_e32 v59, 16, v20
	v_bfe_i32 v56, v56, 0, 8
	v_bfe_i32 v57, v57, 0, 16
	;; [unrolled: 1-line block ×4, first 2 shown]
	v_cvt_f32_i32_e32 v54, v54
	v_bfe_i32 v61, v61, 0, 16
	v_bfe_i32 v62, v62, 0, 16
	;; [unrolled: 1-line block ×3, first 2 shown]
	v_cvt_f32_i32_e32 v52, v52
	v_cvt_f32_i32_e32 v53, v53
	;; [unrolled: 1-line block ×3, first 2 shown]
	v_lshrrev_b32_e32 v55, 8, v19
	v_bfe_i32 v59, v59, 0, 8
	v_bfe_i32 v56, v56, 0, 16
	v_cvt_f32_i32_e32 v57, v57
	v_cvt_f32_i32_e32 v60, v60
	v_bfe_i32 v23, v23, 0, 16
	v_cvt_f32_i32_e32 v61, v61
	v_cvt_f32_i32_e32 v62, v62
	;; [unrolled: 1-line block ×3, first 2 shown]
	v_lshrrev_b32_e32 v58, 8, v20
	v_bfe_i32 v55, v55, 0, 8
	v_bfe_i32 v66, v66, 0, 16
	;; [unrolled: 1-line block ×3, first 2 shown]
	v_cvt_f32_i32_e32 v56, v56
	v_cvt_f32_i32_e32 v23, v23
	v_lshrrev_b32_e32 v19, 24, v19
	v_bfe_i32 v58, v58, 0, 8
	v_bfe_i32 v68, v68, 0, 8
	;; [unrolled: 1-line block ×3, first 2 shown]
	v_cvt_f32_i32_e32 v66, v66
	v_cvt_f32_i32_e32 v59, v59
	v_lshrrev_b32_e32 v20, 24, v20
	v_bfe_i32 v19, v19, 0, 8
	v_bfe_i32 v58, v58, 0, 16
	;; [unrolled: 1-line block ×3, first 2 shown]
	v_cvt_f32_i32_e32 v55, v55
	v_lshrrev_b32_e32 v64, 8, v22
	v_bfe_i32 v20, v20, 0, 8
	v_bfe_i32 v19, v19, 0, 16
	v_cvt_f32_i32_e32 v58, v58
	v_cvt_f32_i32_e32 v68, v68
	v_bfe_i32 v64, v64, 0, 8
	v_bfe_i32 v67, v67, 0, 8
	;; [unrolled: 1-line block ×3, first 2 shown]
	v_cvt_f32_i32_e32 v19, v19
	v_bfe_i32 v63, v22, 0, 8
	v_lshrrev_b32_e32 v65, 16, v22
	v_lshrrev_b32_e32 v22, 24, v22
	v_bfe_i32 v64, v64, 0, 16
	v_bfe_i32 v67, v67, 0, 16
	v_cvt_f32_i32_e32 v20, v20
	v_bfe_i32 v65, v65, 0, 8
	v_bfe_i32 v22, v22, 0, 8
	v_cvt_f32_i32_e32 v64, v64
	v_cvt_f32_i32_e32 v67, v67
	v_bfe_i32 v69, v24, 0, 8
	v_lshrrev_b32_e32 v70, 8, v24
	v_lshrrev_b32_e32 v71, 16, v24
	;; [unrolled: 1-line block ×3, first 2 shown]
	v_bfe_i32 v63, v63, 0, 16
	v_bfe_i32 v65, v65, 0, 16
	;; [unrolled: 1-line block ×4, first 2 shown]
	v_lshrrev_b32_e32 v73, 8, v25
	v_lshrrev_b32_e32 v74, 16, v25
	;; [unrolled: 1-line block ×3, first 2 shown]
	v_bfe_i32 v70, v70, 0, 8
	v_bfe_i32 v71, v71, 0, 8
	;; [unrolled: 1-line block ×3, first 2 shown]
	v_cvt_f32_i32_e32 v63, v63
	v_cvt_f32_i32_e32 v65, v65
	;; [unrolled: 1-line block ×3, first 2 shown]
	v_bfe_i32 v75, v26, 0, 8
	v_lshrrev_b32_e32 v76, 8, v26
	v_lshrrev_b32_e32 v77, 16, v26
	;; [unrolled: 1-line block ×3, first 2 shown]
	v_bfe_i32 v73, v73, 0, 8
	v_bfe_i32 v74, v74, 0, 8
	;; [unrolled: 1-line block ×11, first 2 shown]
	v_cvt_f32_i32_e32 v69, v69
	v_bfe_i32 v73, v73, 0, 16
	v_bfe_i32 v74, v74, 0, 16
	;; [unrolled: 1-line block ×3, first 2 shown]
	v_cvt_f32_i32_e32 v70, v70
	v_cvt_f32_i32_e32 v71, v71
	;; [unrolled: 1-line block ×3, first 2 shown]
	v_bfe_i32 v75, v75, 0, 16
	v_cvt_f32_i32_e32 v72, v72
	v_bfe_i32 v76, v76, 0, 16
	v_bfe_i32 v77, v77, 0, 16
	;; [unrolled: 1-line block ×3, first 2 shown]
	v_cvt_f32_i32_e32 v73, v73
	v_cvt_f32_i32_e32 v74, v74
	;; [unrolled: 1-line block ×7, first 2 shown]
	s_waitcnt vmcnt(3)
	v_bfe_i32 v79, v1, 0, 8
	v_lshrrev_b32_e32 v80, 8, v1
	v_lshrrev_b32_e32 v78, 16, v1
	;; [unrolled: 1-line block ×3, first 2 shown]
	s_waitcnt vmcnt(2)
	v_bfe_i32 v82, v5, 0, 8
	v_bfe_i32 v79, v79, 0, 16
	;; [unrolled: 1-line block ×5, first 2 shown]
	v_lshrrev_b32_e32 v83, 8, v5
	v_cvt_f32_i32_e32 v79, v79
	v_bfe_i32 v80, v80, 0, 16
	v_add_nc_u32_e32 v0, 0x100, v0
	v_bfe_i32 v78, v78, 0, 16
	v_bfe_i32 v1, v1, 0, 16
	v_fmac_f32_e32 v11, v33, v79
	v_cvt_f32_i32_e32 v33, v80
	v_fmac_f32_e32 v12, v35, v79
	v_fmac_f32_e32 v13, v34, v79
	;; [unrolled: 1-line block ×3, first 2 shown]
	v_cvt_f32_i32_e32 v34, v78
	v_fmac_f32_e32 v11, v37, v33
	v_fmac_f32_e32 v12, v39, v33
	v_lshrrev_b32_e32 v81, 16, v5
	v_bfe_i32 v83, v83, 0, 8
	v_bfe_i32 v82, v82, 0, 16
	v_fmac_f32_e32 v11, v41, v34
	v_dual_fmac_f32 v13, v38, v33 :: v_dual_fmac_f32 v12, v43, v34
	v_fmac_f32_e32 v10, v40, v33
	v_cvt_f32_i32_e32 v1, v1
	v_lshrrev_b32_e32 v5, 24, v5
	s_delay_alu instid0(VALU_DEP_4)
	v_fmac_f32_e32 v13, v42, v34
	v_bfe_i32 v81, v81, 0, 8
	v_cvt_f32_i32_e32 v82, v82
	v_bfe_i32 v83, v83, 0, 16
	v_dual_fmac_f32 v10, v7, v34 :: v_dual_fmac_f32 v11, v44, v1
	v_fmac_f32_e32 v12, v46, v1
	v_bfe_i32 v5, v5, 0, 8
	v_bfe_i32 v81, v81, 0, 16
	s_waitcnt vmcnt(1)
	v_lshrrev_b32_e32 v84, 16, v6
	v_fmac_f32_e32 v11, v28, v82
	v_dual_fmac_f32 v13, v45, v1 :: v_dual_fmac_f32 v12, v30, v82
	v_fmac_f32_e32 v10, v8, v1
	v_cvt_f32_i32_e32 v1, v83
	v_bfe_i32 v85, v6, 0, 8
	s_delay_alu instid0(VALU_DEP_4)
	v_fmac_f32_e32 v13, v29, v82
	v_lshrrev_b32_e32 v86, 8, v6
	v_bfe_i32 v5, v5, 0, 16
	v_fmac_f32_e32 v10, v15, v82
	v_cvt_f32_i32_e32 v8, v81
	v_fmac_f32_e32 v13, v32, v1
	v_fmac_f32_e32 v12, v47, v1
	;; [unrolled: 1-line block ×3, first 2 shown]
	v_bfe_i32 v86, v86, 0, 8
	v_bfe_i32 v84, v84, 0, 8
	;; [unrolled: 1-line block ×3, first 2 shown]
	v_fmac_f32_e32 v12, v50, v8
	v_dual_fmac_f32 v10, v16, v1 :: v_dual_fmac_f32 v13, v49, v8
	v_cvt_f32_i32_e32 v1, v5
	v_fmac_f32_e32 v11, v48, v8
	s_waitcnt vmcnt(0)
	v_bfe_i32 v88, v27, 0, 8
	v_cvt_f32_i32_e32 v85, v85
	v_bfe_i32 v86, v86, 0, 16
	v_bfe_i32 v84, v84, 0, 16
	v_dual_fmac_f32 v10, v17, v8 :: v_dual_fmac_f32 v11, v51, v1
	v_bfe_i32 v88, v88, 0, 16
	v_lshrrev_b32_e32 v6, 24, v6
	s_delay_alu instid0(VALU_DEP_4)
	v_cvt_f32_i32_e32 v8, v84
	v_fmac_f32_e32 v13, v52, v1
	v_fmac_f32_e32 v12, v53, v1
	;; [unrolled: 1-line block ×3, first 2 shown]
	v_cvt_f32_i32_e32 v1, v86
	v_fmac_f32_e32 v11, v54, v85
	v_cvt_f32_i32_e32 v88, v88
	v_bfe_i32 v6, v6, 0, 8
	v_lshrrev_b32_e32 v89, 8, v27
	v_lshrrev_b32_e32 v87, 16, v27
	v_fmac_f32_e32 v11, v57, v1
	v_lshrrev_b32_e32 v27, 24, v27
	v_bfe_i32 v6, v6, 0, 16
	v_bfe_i32 v89, v89, 0, 8
	;; [unrolled: 1-line block ×3, first 2 shown]
	v_fmac_f32_e32 v11, v60, v8
	v_fmac_f32_e32 v12, v56, v85
	v_bfe_i32 v27, v27, 0, 8
	v_bfe_i32 v7, v89, 0, 16
	;; [unrolled: 1-line block ×3, first 2 shown]
	v_cmp_ge_i32_e32 vcc_lo, v0, v14
	v_fmac_f32_e32 v12, v59, v1
	s_delay_alu instid0(VALU_DEP_3) | instskip(SKIP_1) | instid1(VALU_DEP_2)
	v_cvt_f32_i32_e32 v5, v5
	s_or_b32 s11, vcc_lo, s11
	v_dual_fmac_f32 v12, v62, v8 :: v_dual_fmac_f32 v13, v55, v85
	s_delay_alu instid0(VALU_DEP_1) | instskip(NEXT) | instid1(VALU_DEP_1)
	v_fmac_f32_e32 v13, v58, v1
	v_dual_fmac_f32 v13, v61, v8 :: v_dual_fmac_f32 v10, v19, v85
	s_delay_alu instid0(VALU_DEP_1) | instskip(SKIP_2) | instid1(VALU_DEP_2)
	v_fmac_f32_e32 v10, v20, v1
	v_cvt_f32_i32_e32 v1, v6
	v_bfe_i32 v6, v27, 0, 16
	v_fmac_f32_e32 v13, v64, v1
	v_fmac_f32_e32 v11, v63, v1
	s_delay_alu instid0(VALU_DEP_2) | instskip(SKIP_1) | instid1(VALU_DEP_3)
	v_dual_fmac_f32 v12, v65, v1 :: v_dual_fmac_f32 v13, v67, v88
	v_fmac_f32_e32 v10, v21, v8
	v_fmac_f32_e32 v11, v66, v88
	s_delay_alu instid0(VALU_DEP_3) | instskip(NEXT) | instid1(VALU_DEP_3)
	v_fmac_f32_e32 v12, v68, v88
	v_fmac_f32_e32 v10, v22, v1
	v_cvt_f32_i32_e32 v1, v7
	s_delay_alu instid0(VALU_DEP_1) | instskip(SKIP_2) | instid1(VALU_DEP_3)
	v_dual_fmac_f32 v10, v23, v88 :: v_dual_fmac_f32 v11, v69, v1
	v_fmac_f32_e32 v13, v70, v1
	v_fmac_f32_e32 v12, v71, v1
	;; [unrolled: 1-line block ×3, first 2 shown]
	v_cvt_f32_i32_e32 v1, v6
	v_fmac_f32_e32 v11, v72, v5
	v_fmac_f32_e32 v13, v73, v5
	;; [unrolled: 1-line block ×4, first 2 shown]
	s_delay_alu instid0(VALU_DEP_4) | instskip(NEXT) | instid1(VALU_DEP_4)
	v_fmac_f32_e32 v11, v75, v1
	v_fmac_f32_e32 v13, v76, v1
	s_delay_alu instid0(VALU_DEP_4) | instskip(NEXT) | instid1(VALU_DEP_4)
	v_fmac_f32_e32 v12, v77, v1
	v_fmac_f32_e32 v10, v26, v1
	s_and_not1_b32 exec_lo, exec_lo, s11
	s_cbranch_execnz .LBB79_33
; %bb.34:
	s_or_b32 exec_lo, exec_lo, s11
.LBB79_35:
	s_delay_alu instid0(SALU_CYCLE_1)
	s_or_b32 exec_lo, exec_lo, s10
.LBB79_36:
	s_delay_alu instid0(SALU_CYCLE_1)
	s_or_b32 exec_lo, exec_lo, s5
.LBB79_37:
	v_mbcnt_lo_u32_b32 v0, -1, 0
	s_mov_b32 s2, -1
	s_delay_alu instid0(VALU_DEP_1) | instskip(SKIP_1) | instid1(VALU_DEP_2)
	v_or_b32_e32 v1, 32, v0
	v_xor_b32_e32 v6, 16, v0
	v_cmp_gt_i32_e32 vcc_lo, 32, v1
	v_cndmask_b32_e32 v1, v0, v1, vcc_lo
	s_delay_alu instid0(VALU_DEP_3) | instskip(SKIP_1) | instid1(VALU_DEP_1)
	v_cmp_gt_i32_e32 vcc_lo, 32, v6
	v_cndmask_b32_e32 v6, v0, v6, vcc_lo
	v_lshlrev_b32_e32 v6, 2, v6
	s_delay_alu instid0(VALU_DEP_4)
	v_lshlrev_b32_e32 v1, 2, v1
	ds_bpermute_b32 v2, v1, v11
	s_waitcnt lgkmcnt(0)
	v_add_f32_e32 v2, v11, v2
	ds_bpermute_b32 v3, v1, v13
	ds_bpermute_b32 v5, v1, v12
	;; [unrolled: 1-line block ×3, first 2 shown]
	v_xor_b32_e32 v11, 8, v0
	ds_bpermute_b32 v7, v6, v2
	v_cmp_gt_i32_e32 vcc_lo, 32, v11
	s_waitcnt lgkmcnt(3)
	v_add_f32_e32 v3, v13, v3
	s_waitcnt lgkmcnt(2)
	v_add_f32_e32 v5, v12, v5
	;; [unrolled: 2-line block ×4, first 2 shown]
	ds_bpermute_b32 v8, v6, v3
	ds_bpermute_b32 v10, v6, v5
	;; [unrolled: 1-line block ×3, first 2 shown]
	v_cndmask_b32_e32 v11, v0, v11, vcc_lo
	s_delay_alu instid0(VALU_DEP_1)
	v_lshlrev_b32_e32 v11, 2, v11
	s_waitcnt lgkmcnt(1)
	v_add_f32_e32 v5, v5, v10
	s_waitcnt lgkmcnt(0)
	v_add_f32_e32 v1, v1, v6
	ds_bpermute_b32 v6, v11, v2
	ds_bpermute_b32 v10, v11, v1
	s_waitcnt lgkmcnt(1)
	v_add_f32_e32 v2, v2, v6
	s_waitcnt lgkmcnt(0)
	v_add_f32_e32 v1, v1, v10
	v_add_f32_e32 v3, v3, v8
	ds_bpermute_b32 v8, v11, v5
	ds_bpermute_b32 v7, v11, v3
	v_xor_b32_e32 v11, 4, v0
	s_delay_alu instid0(VALU_DEP_1) | instskip(SKIP_1) | instid1(VALU_DEP_1)
	v_cmp_gt_i32_e32 vcc_lo, 32, v11
	v_cndmask_b32_e32 v11, v0, v11, vcc_lo
	v_lshlrev_b32_e32 v11, 2, v11
	s_waitcnt lgkmcnt(1)
	v_add_f32_e32 v5, v5, v8
	ds_bpermute_b32 v6, v11, v2
	ds_bpermute_b32 v10, v11, v1
	;; [unrolled: 1-line block ×3, first 2 shown]
	s_waitcnt lgkmcnt(2)
	v_add_f32_e32 v2, v2, v6
	s_waitcnt lgkmcnt(1)
	v_dual_add_f32 v6, v1, v10 :: v_dual_add_f32 v3, v3, v7
	s_waitcnt lgkmcnt(0)
	v_add_f32_e32 v5, v5, v8
	ds_bpermute_b32 v7, v11, v3
	v_xor_b32_e32 v11, 2, v0
	s_delay_alu instid0(VALU_DEP_1) | instskip(SKIP_1) | instid1(VALU_DEP_1)
	v_cmp_gt_i32_e32 vcc_lo, 32, v11
	v_cndmask_b32_e32 v11, v0, v11, vcc_lo
	v_lshlrev_b32_e32 v11, 2, v11
	s_waitcnt lgkmcnt(0)
	v_add_f32_e32 v3, v3, v7
	ds_bpermute_b32 v1, v11, v2
	ds_bpermute_b32 v8, v11, v5
	;; [unrolled: 1-line block ×4, first 2 shown]
	v_xor_b32_e32 v11, 1, v0
	s_delay_alu instid0(VALU_DEP_1) | instskip(SKIP_3) | instid1(VALU_DEP_2)
	v_cmp_gt_i32_e32 vcc_lo, 32, v11
	v_cndmask_b32_e32 v0, v0, v11, vcc_lo
	v_cmp_eq_u32_e32 vcc_lo, 63, v9
	s_waitcnt lgkmcnt(3)
	v_dual_add_f32 v0, v2, v1 :: v_dual_lshlrev_b32 v11, 2, v0
	s_waitcnt lgkmcnt(0)
	v_dual_add_f32 v2, v5, v8 :: v_dual_add_f32 v1, v3, v7
	v_add_f32_e32 v3, v6, v10
	ds_bpermute_b32 v5, v11, v0
	ds_bpermute_b32 v7, v11, v2
	;; [unrolled: 1-line block ×4, first 2 shown]
	s_and_b32 exec_lo, exec_lo, vcc_lo
	s_cbranch_execz .LBB79_10
; %bb.38:
	s_load_b64 s[0:1], s[0:1], 0x50
	s_waitcnt lgkmcnt(0)
	v_dual_add_f32 v0, v0, v5 :: v_dual_add_f32 v1, v1, v6
	v_dual_add_f32 v2, v2, v7 :: v_dual_add_f32 v3, v3, v8
	v_cmp_eq_f32_e64 s3, s12, 0
	s_delay_alu instid0(VALU_DEP_3) | instskip(NEXT) | instid1(VALU_DEP_3)
	v_dual_mul_f32 v0, s16, v0 :: v_dual_mul_f32 v1, s16, v1
	v_dual_mul_f32 v2, s16, v2 :: v_dual_mul_f32 v3, s16, v3
	v_lshlrev_b32_e32 v4, 2, v4
	s_delay_alu instid0(VALU_DEP_4)
	s_and_b32 vcc_lo, exec_lo, s3
	s_cbranch_vccz .LBB79_40
; %bb.39:
	s_delay_alu instid0(VALU_DEP_1) | instskip(SKIP_1) | instid1(VALU_DEP_1)
	v_ashrrev_i32_e32 v5, 31, v4
	s_mov_b32 s2, 0
	v_lshlrev_b64 v[5:6], 2, v[4:5]
	s_delay_alu instid0(VALU_DEP_1) | instskip(NEXT) | instid1(VALU_DEP_2)
	v_add_co_u32 v5, vcc_lo, s0, v5
	v_add_co_ci_u32_e32 v6, vcc_lo, s1, v6, vcc_lo
	global_store_b128 v[5:6], v[0:3], off
.LBB79_40:
	s_and_not1_b32 vcc_lo, exec_lo, s2
	s_cbranch_vccnz .LBB79_10
; %bb.41:
	v_ashrrev_i32_e32 v5, 31, v4
	s_delay_alu instid0(VALU_DEP_1) | instskip(NEXT) | instid1(VALU_DEP_1)
	v_lshlrev_b64 v[4:5], 2, v[4:5]
	v_add_co_u32 v8, vcc_lo, s0, v4
	s_delay_alu instid0(VALU_DEP_2)
	v_add_co_ci_u32_e32 v9, vcc_lo, s1, v5, vcc_lo
	global_load_b128 v[4:7], v[8:9], off
	s_waitcnt vmcnt(0)
	v_dual_fmac_f32 v0, s12, v4 :: v_dual_fmac_f32 v1, s12, v5
	v_dual_fmac_f32 v2, s12, v6 :: v_dual_fmac_f32 v3, s12, v7
	global_store_b128 v[8:9], v[0:3], off
	s_nop 0
	s_sendmsg sendmsg(MSG_DEALLOC_VGPRS)
	s_endpgm
	.section	.rodata,"a",@progbits
	.p2align	6, 0x0
	.amdhsa_kernel _ZN9rocsparseL18bsrxmvn_4x4_kernelILj128ELj64EfiiaafEEvT3_20rocsparse_direction_NS_24const_host_device_scalarIT1_EES1_PKS1_PKT2_SA_S7_PKT4_PKT5_S5_PT6_21rocsparse_index_base_b
		.amdhsa_group_segment_fixed_size 0
		.amdhsa_private_segment_fixed_size 0
		.amdhsa_kernarg_size 96
		.amdhsa_user_sgpr_count 15
		.amdhsa_user_sgpr_dispatch_ptr 0
		.amdhsa_user_sgpr_queue_ptr 0
		.amdhsa_user_sgpr_kernarg_segment_ptr 1
		.amdhsa_user_sgpr_dispatch_id 0
		.amdhsa_user_sgpr_private_segment_size 0
		.amdhsa_wavefront_size32 1
		.amdhsa_uses_dynamic_stack 0
		.amdhsa_enable_private_segment 0
		.amdhsa_system_sgpr_workgroup_id_x 1
		.amdhsa_system_sgpr_workgroup_id_y 0
		.amdhsa_system_sgpr_workgroup_id_z 0
		.amdhsa_system_sgpr_workgroup_info 0
		.amdhsa_system_vgpr_workitem_id 0
		.amdhsa_next_free_vgpr 94
		.amdhsa_next_free_sgpr 20
		.amdhsa_reserve_vcc 1
		.amdhsa_float_round_mode_32 0
		.amdhsa_float_round_mode_16_64 0
		.amdhsa_float_denorm_mode_32 3
		.amdhsa_float_denorm_mode_16_64 3
		.amdhsa_dx10_clamp 1
		.amdhsa_ieee_mode 1
		.amdhsa_fp16_overflow 0
		.amdhsa_workgroup_processor_mode 1
		.amdhsa_memory_ordered 1
		.amdhsa_forward_progress 0
		.amdhsa_shared_vgpr_count 0
		.amdhsa_exception_fp_ieee_invalid_op 0
		.amdhsa_exception_fp_denorm_src 0
		.amdhsa_exception_fp_ieee_div_zero 0
		.amdhsa_exception_fp_ieee_overflow 0
		.amdhsa_exception_fp_ieee_underflow 0
		.amdhsa_exception_fp_ieee_inexact 0
		.amdhsa_exception_int_div_zero 0
	.end_amdhsa_kernel
	.section	.text._ZN9rocsparseL18bsrxmvn_4x4_kernelILj128ELj64EfiiaafEEvT3_20rocsparse_direction_NS_24const_host_device_scalarIT1_EES1_PKS1_PKT2_SA_S7_PKT4_PKT5_S5_PT6_21rocsparse_index_base_b,"axG",@progbits,_ZN9rocsparseL18bsrxmvn_4x4_kernelILj128ELj64EfiiaafEEvT3_20rocsparse_direction_NS_24const_host_device_scalarIT1_EES1_PKS1_PKT2_SA_S7_PKT4_PKT5_S5_PT6_21rocsparse_index_base_b,comdat
.Lfunc_end79:
	.size	_ZN9rocsparseL18bsrxmvn_4x4_kernelILj128ELj64EfiiaafEEvT3_20rocsparse_direction_NS_24const_host_device_scalarIT1_EES1_PKS1_PKT2_SA_S7_PKT4_PKT5_S5_PT6_21rocsparse_index_base_b, .Lfunc_end79-_ZN9rocsparseL18bsrxmvn_4x4_kernelILj128ELj64EfiiaafEEvT3_20rocsparse_direction_NS_24const_host_device_scalarIT1_EES1_PKS1_PKT2_SA_S7_PKT4_PKT5_S5_PT6_21rocsparse_index_base_b
                                        ; -- End function
	.section	.AMDGPU.csdata,"",@progbits
; Kernel info:
; codeLenInByte = 7944
; NumSgprs: 22
; NumVgprs: 94
; ScratchSize: 0
; MemoryBound: 0
; FloatMode: 240
; IeeeMode: 1
; LDSByteSize: 0 bytes/workgroup (compile time only)
; SGPRBlocks: 2
; VGPRBlocks: 11
; NumSGPRsForWavesPerEU: 22
; NumVGPRsForWavesPerEU: 94
; Occupancy: 16
; WaveLimiterHint : 1
; COMPUTE_PGM_RSRC2:SCRATCH_EN: 0
; COMPUTE_PGM_RSRC2:USER_SGPR: 15
; COMPUTE_PGM_RSRC2:TRAP_HANDLER: 0
; COMPUTE_PGM_RSRC2:TGID_X_EN: 1
; COMPUTE_PGM_RSRC2:TGID_Y_EN: 0
; COMPUTE_PGM_RSRC2:TGID_Z_EN: 0
; COMPUTE_PGM_RSRC2:TIDIG_COMP_CNT: 0
	.section	.text._ZN9rocsparseL18bsrxmvn_4x4_kernelILj128ELj4EfliaafEEvT3_20rocsparse_direction_NS_24const_host_device_scalarIT1_EES1_PKS1_PKT2_SA_S7_PKT4_PKT5_S5_PT6_21rocsparse_index_base_b,"axG",@progbits,_ZN9rocsparseL18bsrxmvn_4x4_kernelILj128ELj4EfliaafEEvT3_20rocsparse_direction_NS_24const_host_device_scalarIT1_EES1_PKS1_PKT2_SA_S7_PKT4_PKT5_S5_PT6_21rocsparse_index_base_b,comdat
	.globl	_ZN9rocsparseL18bsrxmvn_4x4_kernelILj128ELj4EfliaafEEvT3_20rocsparse_direction_NS_24const_host_device_scalarIT1_EES1_PKS1_PKT2_SA_S7_PKT4_PKT5_S5_PT6_21rocsparse_index_base_b ; -- Begin function _ZN9rocsparseL18bsrxmvn_4x4_kernelILj128ELj4EfliaafEEvT3_20rocsparse_direction_NS_24const_host_device_scalarIT1_EES1_PKS1_PKT2_SA_S7_PKT4_PKT5_S5_PT6_21rocsparse_index_base_b
	.p2align	8
	.type	_ZN9rocsparseL18bsrxmvn_4x4_kernelILj128ELj4EfliaafEEvT3_20rocsparse_direction_NS_24const_host_device_scalarIT1_EES1_PKS1_PKT2_SA_S7_PKT4_PKT5_S5_PT6_21rocsparse_index_base_b,@function
_ZN9rocsparseL18bsrxmvn_4x4_kernelILj128ELj4EfliaafEEvT3_20rocsparse_direction_NS_24const_host_device_scalarIT1_EES1_PKS1_PKT2_SA_S7_PKT4_PKT5_S5_PT6_21rocsparse_index_base_b: ; @_ZN9rocsparseL18bsrxmvn_4x4_kernelILj128ELj4EfliaafEEvT3_20rocsparse_direction_NS_24const_host_device_scalarIT1_EES1_PKS1_PKT2_SA_S7_PKT4_PKT5_S5_PT6_21rocsparse_index_base_b
; %bb.0:
	s_clause 0x2
	s_load_b64 s[18:19], s[0:1], 0x58
	s_load_b64 s[16:17], s[0:1], 0x8
	;; [unrolled: 1-line block ×3, first 2 shown]
	s_waitcnt lgkmcnt(0)
	s_bitcmp1_b32 s19, 0
	s_cselect_b32 s2, -1, 0
	s_delay_alu instid0(SALU_CYCLE_1)
	s_and_b32 vcc_lo, exec_lo, s2
	s_xor_b32 s2, s2, -1
	s_cbranch_vccnz .LBB80_2
; %bb.1:
	s_load_b32 s16, s[16:17], 0x0
.LBB80_2:
	s_and_not1_b32 vcc_lo, exec_lo, s2
	s_cbranch_vccnz .LBB80_4
; %bb.3:
	s_load_b32 s12, s[12:13], 0x0
.LBB80_4:
	s_waitcnt lgkmcnt(0)
	v_cmp_neq_f32_e64 s2, s16, 0
	v_cmp_neq_f32_e64 s3, s12, 1.0
	s_mov_b32 s6, 0
	s_delay_alu instid0(VALU_DEP_1) | instskip(NEXT) | instid1(SALU_CYCLE_1)
	s_or_b32 s2, s2, s3
	s_and_not1_b32 vcc_lo, exec_lo, s2
	s_cbranch_vccnz .LBB80_10
; %bb.5:
	s_clause 0x1
	s_load_b64 s[4:5], s[0:1], 0x18
	s_load_b64 s[2:3], s[0:1], 0x0
	v_lshrrev_b32_e32 v1, 2, v0
	s_delay_alu instid0(VALU_DEP_1)
	v_lshl_or_b32 v4, s15, 5, v1
	s_waitcnt lgkmcnt(0)
	s_cmp_lg_u64 s[4:5], 0
	s_cbranch_scc0 .LBB80_11
; %bb.6:
	s_load_b32 s6, s[0:1], 0x10
	s_mov_b32 s7, 0
                                        ; implicit-def: $vgpr1
	s_waitcnt lgkmcnt(0)
	v_cmp_gt_i32_e32 vcc_lo, s6, v4
	s_mov_b32 s6, 0
	s_and_saveexec_b32 s8, vcc_lo
	s_delay_alu instid0(SALU_CYCLE_1)
	s_xor_b32 s8, exec_lo, s8
	s_cbranch_execz .LBB80_8
; %bb.7:
	v_ashrrev_i32_e32 v5, 31, v4
	s_mov_b32 s6, exec_lo
	s_delay_alu instid0(VALU_DEP_1) | instskip(NEXT) | instid1(VALU_DEP_1)
	v_lshlrev_b64 v[1:2], 2, v[4:5]
	v_add_co_u32 v1, vcc_lo, s4, v1
	s_delay_alu instid0(VALU_DEP_2)
	v_add_co_ci_u32_e32 v2, vcc_lo, s5, v2, vcc_lo
	global_load_b32 v1, v[1:2], off
	s_waitcnt vmcnt(0)
	v_subrev_nc_u32_e32 v1, s18, v1
.LBB80_8:
	s_or_b32 exec_lo, exec_lo, s8
	s_delay_alu instid0(SALU_CYCLE_1)
	s_and_b32 vcc_lo, exec_lo, s7
	s_cbranch_vccz .LBB80_12
.LBB80_9:
	v_cmp_gt_i32_e32 vcc_lo, s2, v4
	s_and_not1_b32 s2, s6, exec_lo
	s_and_b32 s4, vcc_lo, exec_lo
	s_delay_alu instid0(SALU_CYCLE_1) | instskip(NEXT) | instid1(SALU_CYCLE_1)
	s_or_b32 s6, s2, s4
	s_and_saveexec_b32 s2, s6
	s_cbranch_execnz .LBB80_13
.LBB80_10:
	s_nop 0
	s_sendmsg sendmsg(MSG_DEALLOC_VGPRS)
	s_endpgm
.LBB80_11:
                                        ; implicit-def: $vgpr1
	s_cbranch_execnz .LBB80_9
.LBB80_12:
	s_delay_alu instid0(VALU_DEP_1)
	v_mov_b32_e32 v4, v1
	s_and_saveexec_b32 s2, s6
	s_cbranch_execz .LBB80_10
.LBB80_13:
	s_load_b256 s[4:11], s[0:1], 0x20
	s_delay_alu instid0(VALU_DEP_1) | instskip(SKIP_1) | instid1(VALU_DEP_2)
	v_ashrrev_i32_e32 v5, 31, v4
	v_dual_mov_b32 v20, 0 :: v_dual_and_b32 v19, 3, v0
	v_lshlrev_b64 v[1:2], 3, v[4:5]
	s_waitcnt lgkmcnt(0)
	s_delay_alu instid0(VALU_DEP_1) | instskip(NEXT) | instid1(VALU_DEP_2)
	v_add_co_u32 v5, vcc_lo, s4, v1
	v_add_co_ci_u32_e32 v6, vcc_lo, s5, v2, vcc_lo
	v_add_co_u32 v1, vcc_lo, s6, v1
	v_add_co_ci_u32_e32 v2, vcc_lo, s7, v2, vcc_lo
	s_delay_alu instid0(VALU_DEP_4)
	v_add_co_u32 v3, vcc_lo, v5, 8
	global_load_b64 v[7:8], v[5:6], off
	v_add_co_ci_u32_e32 v9, vcc_lo, 0, v6, vcc_lo
	s_cmp_eq_u64 s[6:7], 0
	s_load_b64 s[6:7], s[0:1], 0x40
	s_cselect_b32 vcc_lo, -1, 0
	s_cmp_eq_u32 s3, 1
	v_dual_cndmask_b32 v2, v2, v9 :: v_dual_cndmask_b32 v1, v1, v3
	global_load_b64 v[2:3], v[1:2], off
	s_waitcnt vmcnt(1)
	v_sub_co_u32 v0, vcc_lo, v7, s18
	v_subrev_co_ci_u32_e32 v1, vcc_lo, 0, v8, vcc_lo
	s_delay_alu instid0(VALU_DEP_2) | instskip(NEXT) | instid1(VALU_DEP_2)
	v_add_co_u32 v0, vcc_lo, v0, v19
	v_add_co_ci_u32_e32 v1, vcc_lo, 0, v1, vcc_lo
	s_delay_alu instid0(VALU_DEP_1) | instskip(SKIP_3) | instid1(VALU_DEP_3)
	v_lshlrev_b64 v[5:6], 4, v[0:1]
	s_waitcnt vmcnt(0)
	v_sub_co_u32 v2, vcc_lo, v2, s18
	v_subrev_co_ci_u32_e32 v3, vcc_lo, 0, v3, vcc_lo
	v_add_co_u32 v5, vcc_lo, s10, v5
	s_delay_alu instid0(VALU_DEP_2)
	v_cmp_lt_i64_e64 s2, v[0:1], v[2:3]
	v_add_co_ci_u32_e32 v6, vcc_lo, s11, v6, vcc_lo
	s_mov_b32 s10, 0
	s_cbranch_scc1 .LBB80_25
; %bb.14:
	v_dual_mov_b32 v22, 0 :: v_dual_mov_b32 v23, 0
	v_mov_b32_e32 v21, 0
	s_and_saveexec_b32 s11, s2
	s_cbranch_execz .LBB80_24
; %bb.15:
	v_or_b32_e32 v9, 4, v19
	v_not_b32_e32 v12, v7
	v_not_b32_e32 v11, v8
	v_mov_b32_e32 v23, 0
	v_dual_mov_b32 v21, 0 :: v_dual_mov_b32 v20, 0
	v_sub_co_u32 v9, s3, v9, s18
	s_delay_alu instid0(VALU_DEP_1) | instskip(SKIP_1) | instid1(VALU_DEP_3)
	v_sub_co_ci_u32_e64 v10, null, 0, 0, s3
	v_sub_co_u32 v13, s3, s18, v19
	v_add_co_u32 v9, vcc_lo, v9, v7
	s_delay_alu instid0(VALU_DEP_3) | instskip(SKIP_2) | instid1(VALU_DEP_2)
	v_add_co_ci_u32_e32 v10, vcc_lo, v10, v8, vcc_lo
	v_sub_co_ci_u32_e64 v14, null, 0, 0, s3
	s_mov_b32 s3, exec_lo
	v_cmp_gt_i64_e32 vcc_lo, v[9:10], v[2:3]
	v_mov_b32_e32 v22, 0
	v_dual_cndmask_b32 v10, v3, v10 :: v_dual_cndmask_b32 v9, v2, v9
	v_add_co_u32 v12, vcc_lo, v13, v12
	v_add_co_ci_u32_e32 v11, vcc_lo, v14, v11, vcc_lo
	s_delay_alu instid0(VALU_DEP_2) | instskip(NEXT) | instid1(VALU_DEP_2)
	v_add_co_u32 v13, vcc_lo, v12, v9
	v_add_co_ci_u32_e32 v14, vcc_lo, v11, v10, vcc_lo
	v_mov_b32_e32 v12, v6
	s_delay_alu instid0(VALU_DEP_3) | instskip(SKIP_1) | instid1(VALU_DEP_2)
	v_lshrrev_b32_e32 v9, 2, v13
	v_mov_b32_e32 v11, v5
	v_add_nc_u32_e32 v9, 1, v9
	s_delay_alu instid0(VALU_DEP_1) | instskip(SKIP_1) | instid1(VALU_DEP_2)
	v_dual_mov_b32 v10, v1 :: v_dual_and_b32 v15, 3, v9
	v_mov_b32_e32 v9, v0
	v_cmpx_ne_u32_e32 0, v15
	s_cbranch_execz .LBB80_19
; %bb.16:
	v_lshlrev_b64 v[9:10], 2, v[0:1]
	v_dual_mov_b32 v16, 0 :: v_dual_lshlrev_b32 v15, 2, v15
	v_dual_mov_b32 v12, v6 :: v_dual_mov_b32 v11, v5
	s_mov_b32 s4, 0
	s_delay_alu instid0(VALU_DEP_3) | instskip(NEXT) | instid1(VALU_DEP_4)
	v_add_co_u32 v17, vcc_lo, s8, v9
	v_add_co_ci_u32_e32 v18, vcc_lo, s9, v10, vcc_lo
	v_dual_mov_b32 v10, v1 :: v_dual_mov_b32 v9, v0
	v_mov_b32_e32 v20, v16
	v_mov_b32_e32 v22, v16
	;; [unrolled: 1-line block ×4, first 2 shown]
.LBB80_17:                              ; =>This Inner Loop Header: Depth=1
	global_load_b32 v28, v[17:18], off
	global_load_b128 v[24:27], v[11:12], off
	s_waitcnt vmcnt(1)
	v_subrev_nc_u32_e32 v28, s18, v28
	s_waitcnt vmcnt(0)
	v_lshrrev_b32_e32 v30, 8, v24
	v_lshrrev_b32_e32 v34, 16, v25
	v_bfe_i32 v35, v26, 0, 8
	v_lshrrev_b32_e32 v36, 8, v26
	v_lshlrev_b32_e32 v28, 2, v28
	v_lshrrev_b32_e32 v31, 16, v24
	v_bfe_i32 v32, v25, 0, 8
	v_lshrrev_b32_e32 v33, 8, v25
	v_lshrrev_b32_e32 v25, 24, v25
	v_ashrrev_i32_e32 v29, 31, v28
	s_waitcnt lgkmcnt(0)
	v_add_co_u32 v28, vcc_lo, s6, v28
	v_lshrrev_b32_e32 v37, 16, v26
	v_bfe_i32 v38, v27, 0, 8
	v_add_co_ci_u32_e32 v29, vcc_lo, s7, v29, vcc_lo
	v_lshrrev_b32_e32 v39, 8, v27
	v_lshrrev_b32_e32 v40, 16, v27
	v_bfe_i32 v30, v30, 0, 8
	global_load_b32 v28, v[28:29], off
	v_bfe_i32 v29, v24, 0, 8
	v_bfe_i32 v34, v34, 0, 8
	v_bfe_i32 v36, v36, 0, 8
	v_bfe_i32 v35, v35, 0, 16
	v_lshrrev_b32_e32 v24, 24, v24
	v_bfe_i32 v29, v29, 0, 16
	v_lshrrev_b32_e32 v26, 24, v26
	v_bfe_i32 v31, v31, 0, 8
	v_bfe_i32 v33, v33, 0, 8
	;; [unrolled: 1-line block ×8, first 2 shown]
	v_cvt_f32_i32_e32 v29, v29
	v_bfe_i32 v30, v30, 0, 16
	v_bfe_i32 v34, v34, 0, 16
	v_cvt_f32_i32_e32 v35, v35
	v_bfe_i32 v36, v36, 0, 16
	v_lshrrev_b32_e32 v27, 24, v27
	v_bfe_i32 v24, v24, 0, 8
	v_bfe_i32 v26, v26, 0, 8
	;; [unrolled: 1-line block ×3, first 2 shown]
	v_cvt_f32_i32_e32 v32, v32
	v_bfe_i32 v33, v33, 0, 16
	v_bfe_i32 v25, v25, 0, 16
	;; [unrolled: 1-line block ×3, first 2 shown]
	v_cvt_f32_i32_e32 v38, v38
	v_bfe_i32 v39, v39, 0, 16
	v_bfe_i32 v40, v40, 0, 16
	v_cvt_f32_i32_e32 v30, v30
	v_cvt_f32_i32_e32 v34, v34
	;; [unrolled: 1-line block ×3, first 2 shown]
	v_add_co_u32 v11, vcc_lo, v11, 64
	v_add_co_ci_u32_e32 v12, vcc_lo, 0, v12, vcc_lo
	v_add_co_u32 v9, vcc_lo, v9, 4
	v_bfe_i32 v27, v27, 0, 8
	v_bfe_i32 v24, v24, 0, 16
	;; [unrolled: 1-line block ×3, first 2 shown]
	v_cvt_f32_i32_e32 v31, v31
	v_cvt_f32_i32_e32 v33, v33
	;; [unrolled: 1-line block ×6, first 2 shown]
	v_add_co_ci_u32_e32 v10, vcc_lo, 0, v10, vcc_lo
	v_add_co_u32 v17, vcc_lo, v17, 16
	v_add_co_ci_u32_e32 v18, vcc_lo, 0, v18, vcc_lo
	v_add_co_u32 v15, vcc_lo, v15, -4
	v_bfe_i32 v27, v27, 0, 16
	v_cvt_f32_i32_e32 v24, v24
	v_cvt_f32_i32_e32 v26, v26
	v_add_co_ci_u32_e32 v16, vcc_lo, -1, v16, vcc_lo
	s_delay_alu instid0(VALU_DEP_4) | instskip(NEXT) | instid1(VALU_DEP_2)
	v_cvt_f32_i32_e32 v27, v27
	v_cmp_eq_u64_e32 vcc_lo, 0, v[15:16]
	s_or_b32 s4, vcc_lo, s4
	s_waitcnt vmcnt(0)
	v_bfe_i32 v41, v28, 0, 8
	v_lshrrev_b32_e32 v42, 8, v28
	v_lshrrev_b32_e32 v43, 16, v28
	;; [unrolled: 1-line block ×3, first 2 shown]
	s_delay_alu instid0(VALU_DEP_4) | instskip(NEXT) | instid1(VALU_DEP_4)
	v_bfe_i32 v41, v41, 0, 16
	v_bfe_i32 v42, v42, 0, 8
	s_delay_alu instid0(VALU_DEP_4) | instskip(NEXT) | instid1(VALU_DEP_4)
	v_bfe_i32 v43, v43, 0, 8
	v_bfe_i32 v28, v28, 0, 8
	s_delay_alu instid0(VALU_DEP_4) | instskip(NEXT) | instid1(VALU_DEP_4)
	v_cvt_f32_i32_e32 v41, v41
	v_bfe_i32 v42, v42, 0, 16
	s_delay_alu instid0(VALU_DEP_4) | instskip(NEXT) | instid1(VALU_DEP_4)
	v_bfe_i32 v43, v43, 0, 16
	v_bfe_i32 v28, v28, 0, 16
	s_delay_alu instid0(VALU_DEP_4) | instskip(NEXT) | instid1(VALU_DEP_4)
	v_fmac_f32_e32 v21, v29, v41
	v_cvt_f32_i32_e32 v29, v42
	v_fmac_f32_e32 v22, v35, v41
	s_delay_alu instid0(VALU_DEP_4) | instskip(NEXT) | instid1(VALU_DEP_2)
	v_cvt_f32_i32_e32 v28, v28
	v_fmac_f32_e32 v22, v36, v29
	v_fmac_f32_e32 v23, v32, v41
	v_cvt_f32_i32_e32 v32, v43
	v_fmac_f32_e32 v21, v30, v29
	v_fmac_f32_e32 v20, v38, v41
	s_delay_alu instid0(VALU_DEP_3) | instskip(NEXT) | instid1(VALU_DEP_3)
	v_fmac_f32_e32 v22, v37, v32
	v_fmac_f32_e32 v21, v31, v32
	;; [unrolled: 1-line block ×3, first 2 shown]
	s_delay_alu instid0(VALU_DEP_4) | instskip(NEXT) | instid1(VALU_DEP_4)
	v_fmac_f32_e32 v20, v39, v29
	v_fmac_f32_e32 v22, v26, v28
	s_delay_alu instid0(VALU_DEP_4) | instskip(NEXT) | instid1(VALU_DEP_4)
	v_fmac_f32_e32 v21, v24, v28
	v_fmac_f32_e32 v23, v34, v32
	s_delay_alu instid0(VALU_DEP_4) | instskip(NEXT) | instid1(VALU_DEP_2)
	v_fmac_f32_e32 v20, v40, v32
	v_fmac_f32_e32 v23, v25, v28
	s_delay_alu instid0(VALU_DEP_2)
	v_fmac_f32_e32 v20, v27, v28
	s_and_not1_b32 exec_lo, exec_lo, s4
	s_cbranch_execnz .LBB80_17
; %bb.18:
	s_or_b32 exec_lo, exec_lo, s4
.LBB80_19:
	s_delay_alu instid0(SALU_CYCLE_1) | instskip(NEXT) | instid1(SALU_CYCLE_1)
	s_or_b32 exec_lo, exec_lo, s3
	s_mov_b32 s13, exec_lo
	v_cmpx_lt_u64_e32 11, v[13:14]
	s_cbranch_execz .LBB80_23
; %bb.20:
	v_lshlrev_b64 v[13:14], 2, v[9:10]
	s_mov_b32 s14, 0
	s_delay_alu instid0(VALU_DEP_1) | instskip(NEXT) | instid1(VALU_DEP_2)
	v_add_co_u32 v13, vcc_lo, v13, s8
	v_add_co_ci_u32_e32 v14, vcc_lo, s9, v14, vcc_lo
	s_delay_alu instid0(VALU_DEP_2) | instskip(NEXT) | instid1(VALU_DEP_2)
	v_add_co_u32 v13, vcc_lo, v13, 32
	v_add_co_ci_u32_e32 v14, vcc_lo, 0, v14, vcc_lo
.LBB80_21:                              ; =>This Inner Loop Header: Depth=1
	s_clause 0x3
	global_load_b32 v36, v[13:14], off offset:-32
	global_load_b32 v37, v[13:14], off offset:-16
	global_load_b32 v38, v[13:14], off
	global_load_b32 v39, v[13:14], off offset:16
	s_clause 0x3
	global_load_b128 v[15:18], v[11:12], off
	global_load_b128 v[24:27], v[11:12], off offset:64
	global_load_b128 v[28:31], v[11:12], off offset:128
	;; [unrolled: 1-line block ×3, first 2 shown]
	v_add_co_u32 v11, vcc_lo, 0x100, v11
	v_add_co_ci_u32_e32 v12, vcc_lo, 0, v12, vcc_lo
	v_add_co_u32 v9, vcc_lo, v9, 16
	v_add_co_ci_u32_e32 v10, vcc_lo, 0, v10, vcc_lo
	;; [unrolled: 2-line block ×3, first 2 shown]
	s_waitcnt vmcnt(7)
	v_subrev_nc_u32_e32 v36, s18, v36
	s_waitcnt vmcnt(3)
	v_lshrrev_b32_e32 v51, 8, v17
	v_bfe_i32 v50, v17, 0, 8
	v_bfe_i32 v53, v18, 0, 8
	;; [unrolled: 1-line block ×3, first 2 shown]
	v_lshrrev_b32_e32 v43, 8, v15
	v_bfe_i32 v51, v51, 0, 8
	v_bfe_i32 v50, v50, 0, 16
	v_lshrrev_b32_e32 v44, 16, v15
	v_lshrrev_b32_e32 v45, 24, v15
	v_subrev_nc_u32_e32 v15, s18, v37
	v_bfe_i32 v53, v53, 0, 16
	v_bfe_i32 v46, v16, 0, 8
	v_lshrrev_b32_e32 v47, 8, v16
	v_lshrrev_b32_e32 v48, 16, v16
	;; [unrolled: 1-line block ×3, first 2 shown]
	v_subrev_nc_u32_e32 v16, s18, v38
	v_bfe_i32 v42, v42, 0, 16
	v_subrev_nc_u32_e32 v37, s18, v39
	v_bfe_i32 v51, v51, 0, 16
	v_cvt_f32_i32_e32 v50, v50
	v_lshlrev_b32_e32 v39, 2, v36
	v_cvt_f32_i32_e32 v53, v53
	v_lshlrev_b32_e32 v15, 2, v15
	;; [unrolled: 2-line block ×4, first 2 shown]
	v_ashrrev_i32_e32 v41, 31, v39
	v_ashrrev_i32_e32 v56, 31, v15
	;; [unrolled: 1-line block ×3, first 2 shown]
	s_waitcnt lgkmcnt(0)
	v_add_co_u32 v40, s5, s6, v39
	v_ashrrev_i32_e32 v58, 31, v37
	v_add_co_u32 v15, vcc_lo, s6, v15
	v_add_co_u32 v36, s3, s6, v16
	v_add_co_ci_u32_e64 v41, s5, s7, v41, s5
	v_add_co_u32 v38, s4, s6, v37
	v_add_co_ci_u32_e32 v16, vcc_lo, s7, v56, vcc_lo
	v_add_co_ci_u32_e64 v37, vcc_lo, s7, v57, s3
	v_add_co_ci_u32_e64 v39, vcc_lo, s7, v58, s4
	s_clause 0x3
	global_load_b32 v40, v[40:41], off
	global_load_b32 v15, v[15:16], off
	;; [unrolled: 1-line block ×4, first 2 shown]
	v_lshrrev_b32_e32 v52, 16, v17
	v_lshrrev_b32_e32 v17, 24, v17
	v_bfe_i32 v46, v46, 0, 16
	v_lshrrev_b32_e32 v54, 8, v18
	v_bfe_i32 v43, v43, 0, 8
	v_bfe_i32 v52, v52, 0, 8
	;; [unrolled: 1-line block ×3, first 2 shown]
	v_cvt_f32_i32_e32 v46, v46
	v_lshrrev_b32_e32 v55, 16, v18
	s_waitcnt vmcnt(6)
	v_bfe_i32 v58, v26, 0, 8
	v_bfe_i32 v52, v52, 0, 16
	;; [unrolled: 1-line block ×6, first 2 shown]
	v_cvt_f32_i32_e32 v52, v52
	v_lshrrev_b32_e32 v18, 24, v18
	v_bfe_i32 v45, v45, 0, 8
	v_bfe_i32 v47, v47, 0, 8
	;; [unrolled: 1-line block ×6, first 2 shown]
	v_cvt_f32_i32_e32 v43, v43
	v_cvt_f32_i32_e32 v17, v17
	v_bfe_i32 v48, v48, 0, 8
	v_bfe_i32 v49, v49, 0, 8
	;; [unrolled: 1-line block ×6, first 2 shown]
	v_cvt_f32_i32_e32 v58, v58
	v_cvt_f32_i32_e32 v44, v44
	;; [unrolled: 1-line block ×3, first 2 shown]
	v_lshrrev_b32_e32 v59, 8, v26
	v_bfe_i32 v61, v27, 0, 8
	v_lshrrev_b32_e32 v62, 8, v27
	v_bfe_i32 v48, v48, 0, 16
	v_bfe_i32 v49, v49, 0, 16
	;; [unrolled: 1-line block ×3, first 2 shown]
	v_cvt_f32_i32_e32 v45, v45
	v_cvt_f32_i32_e32 v47, v47
	;; [unrolled: 1-line block ×3, first 2 shown]
	v_bfe_i32 v37, v24, 0, 8
	v_lshrrev_b32_e32 v38, 8, v24
	v_bfe_i32 v41, v25, 0, 8
	v_lshrrev_b32_e32 v56, 8, v25
	v_lshrrev_b32_e32 v60, 16, v26
	;; [unrolled: 1-line block ×3, first 2 shown]
	v_bfe_i32 v59, v59, 0, 8
	v_bfe_i32 v62, v62, 0, 8
	;; [unrolled: 1-line block ×3, first 2 shown]
	v_cvt_f32_i32_e32 v48, v48
	v_cvt_f32_i32_e32 v49, v49
	;; [unrolled: 1-line block ×3, first 2 shown]
	v_lshrrev_b32_e32 v39, 16, v24
	v_lshrrev_b32_e32 v57, 16, v25
	;; [unrolled: 1-line block ×4, first 2 shown]
	v_bfe_i32 v38, v38, 0, 8
	v_bfe_i32 v56, v56, 0, 8
	;; [unrolled: 1-line block ×7, first 2 shown]
	v_cvt_f32_i32_e32 v61, v61
	v_bfe_i32 v62, v62, 0, 16
	v_lshrrev_b32_e32 v24, 24, v24
	v_lshrrev_b32_e32 v25, 24, v25
	v_bfe_i32 v39, v39, 0, 8
	v_bfe_i32 v57, v57, 0, 8
	;; [unrolled: 1-line block ×4, first 2 shown]
	v_cvt_f32_i32_e32 v37, v37
	v_bfe_i32 v38, v38, 0, 16
	v_cvt_f32_i32_e32 v41, v41
	v_bfe_i32 v56, v56, 0, 16
	v_bfe_i32 v60, v60, 0, 16
	;; [unrolled: 1-line block ×3, first 2 shown]
	v_cvt_f32_i32_e32 v59, v59
	v_cvt_f32_i32_e32 v62, v62
	s_waitcnt vmcnt(5)
	v_lshrrev_b32_e32 v66, 16, v28
	v_lshrrev_b32_e32 v69, 16, v29
	v_bfe_i32 v70, v30, 0, 8
	v_lshrrev_b32_e32 v71, 8, v30
	v_lshrrev_b32_e32 v72, 16, v30
	v_bfe_i32 v73, v31, 0, 8
	;; [unrolled: 3-line block ×3, first 2 shown]
	v_bfe_i32 v25, v25, 0, 8
	v_bfe_i32 v39, v39, 0, 16
	;; [unrolled: 1-line block ×5, first 2 shown]
	v_cvt_f32_i32_e32 v38, v38
	v_cvt_f32_i32_e32 v56, v56
	;; [unrolled: 1-line block ×4, first 2 shown]
	v_bfe_i32 v66, v66, 0, 8
	v_bfe_i32 v69, v69, 0, 8
	;; [unrolled: 1-line block ×10, first 2 shown]
	v_cvt_f32_i32_e32 v39, v39
	v_cvt_f32_i32_e32 v57, v57
	v_cvt_f32_i32_e32 v26, v26
	v_cvt_f32_i32_e32 v27, v27
	v_bfe_i32 v64, v28, 0, 8
	v_lshrrev_b32_e32 v65, 8, v28
	v_bfe_i32 v67, v29, 0, 8
	v_lshrrev_b32_e32 v68, 8, v29
	s_waitcnt vmcnt(4)
	v_bfe_i32 v76, v32, 0, 8
	v_bfe_i32 v79, v33, 0, 8
	;; [unrolled: 1-line block ×4, first 2 shown]
	v_cvt_f32_i32_e32 v70, v70
	v_bfe_i32 v71, v71, 0, 16
	v_bfe_i32 v72, v72, 0, 16
	v_cvt_f32_i32_e32 v73, v73
	v_bfe_i32 v74, v74, 0, 16
	v_bfe_i32 v75, v75, 0, 16
	v_cvt_f32_i32_e32 v24, v24
	v_cvt_f32_i32_e32 v25, v25
	v_bfe_i32 v82, v34, 0, 8
	v_lshrrev_b32_e32 v84, 16, v34
	v_bfe_i32 v85, v35, 0, 8
	v_lshrrev_b32_e32 v87, 16, v35
	v_bfe_i32 v65, v65, 0, 8
	v_bfe_i32 v68, v68, 0, 8
	;; [unrolled: 1-line block ×6, first 2 shown]
	v_cvt_f32_i32_e32 v66, v66
	v_cvt_f32_i32_e32 v69, v69
	;; [unrolled: 1-line block ×6, first 2 shown]
	v_lshrrev_b32_e32 v28, 24, v28
	v_lshrrev_b32_e32 v29, 24, v29
	v_bfe_i32 v84, v84, 0, 8
	v_bfe_i32 v87, v87, 0, 8
	;; [unrolled: 1-line block ×4, first 2 shown]
	v_cvt_f32_i32_e32 v64, v64
	v_bfe_i32 v65, v65, 0, 16
	v_cvt_f32_i32_e32 v67, v67
	v_bfe_i32 v68, v68, 0, 16
	v_cvt_f32_i32_e32 v76, v76
	v_cvt_f32_i32_e32 v79, v79
	v_lshrrev_b32_e32 v30, 24, v30
	v_lshrrev_b32_e32 v31, 24, v31
	v_bfe_i32 v28, v28, 0, 8
	v_bfe_i32 v29, v29, 0, 8
	v_cvt_f32_i32_e32 v82, v82
	v_bfe_i32 v84, v84, 0, 16
	v_cvt_f32_i32_e32 v85, v85
	;; [unrolled: 2-line block ×3, first 2 shown]
	v_cvt_f32_i32_e32 v68, v68
	v_lshrrev_b32_e32 v77, 8, v32
	v_lshrrev_b32_e32 v78, 16, v32
	;; [unrolled: 1-line block ×4, first 2 shown]
	v_bfe_i32 v30, v30, 0, 8
	v_bfe_i32 v31, v31, 0, 8
	;; [unrolled: 1-line block ×4, first 2 shown]
	v_cvt_f32_i32_e32 v84, v84
	v_cvt_f32_i32_e32 v87, v87
	v_bfe_i32 v77, v77, 0, 8
	v_bfe_i32 v78, v78, 0, 8
	;; [unrolled: 1-line block ×6, first 2 shown]
	v_cvt_f32_i32_e32 v28, v28
	v_cvt_f32_i32_e32 v29, v29
	v_lshrrev_b32_e32 v83, 8, v34
	v_lshrrev_b32_e32 v86, 8, v35
	v_bfe_i32 v77, v77, 0, 16
	v_bfe_i32 v78, v78, 0, 16
	v_bfe_i32 v80, v80, 0, 16
	v_bfe_i32 v81, v81, 0, 16
	v_cvt_f32_i32_e32 v30, v30
	v_cvt_f32_i32_e32 v31, v31
	v_bfe_i32 v83, v83, 0, 8
	v_bfe_i32 v86, v86, 0, 8
	v_cvt_f32_i32_e32 v77, v77
	v_cvt_f32_i32_e32 v78, v78
	;; [unrolled: 1-line block ×4, first 2 shown]
	v_lshrrev_b32_e32 v32, 24, v32
	v_lshrrev_b32_e32 v33, 24, v33
	;; [unrolled: 1-line block ×4, first 2 shown]
	v_bfe_i32 v83, v83, 0, 16
	v_bfe_i32 v86, v86, 0, 16
	v_bfe_i32 v32, v32, 0, 8
	v_bfe_i32 v33, v33, 0, 8
	v_bfe_i32 v34, v34, 0, 8
	v_bfe_i32 v35, v35, 0, 8
	v_cvt_f32_i32_e32 v83, v83
	v_cvt_f32_i32_e32 v86, v86
	v_bfe_i32 v32, v32, 0, 16
	v_bfe_i32 v33, v33, 0, 16
	;; [unrolled: 1-line block ×4, first 2 shown]
	v_cmp_ge_i64_e32 vcc_lo, v[9:10], v[2:3]
	v_cvt_f32_i32_e32 v32, v32
	v_cvt_f32_i32_e32 v33, v33
	;; [unrolled: 1-line block ×4, first 2 shown]
	s_or_b32 s14, vcc_lo, s14
	s_waitcnt vmcnt(3)
	v_bfe_i32 v89, v40, 0, 8
	v_lshrrev_b32_e32 v90, 8, v40
	v_lshrrev_b32_e32 v88, 16, v40
	;; [unrolled: 1-line block ×3, first 2 shown]
	s_waitcnt vmcnt(2)
	v_bfe_i32 v92, v15, 0, 8
	v_bfe_i32 v89, v89, 0, 16
	;; [unrolled: 1-line block ×6, first 2 shown]
	v_cvt_f32_i32_e32 v89, v89
	v_bfe_i32 v90, v90, 0, 16
	v_bfe_i32 v88, v88, 0, 16
	;; [unrolled: 1-line block ×3, first 2 shown]
	v_cvt_f32_i32_e32 v92, v92
	v_fmac_f32_e32 v21, v42, v89
	v_cvt_f32_i32_e32 v42, v90
	v_fmac_f32_e32 v22, v50, v89
	;; [unrolled: 2-line block ×3, first 2 shown]
	v_lshrrev_b32_e32 v93, 8, v15
	v_lshrrev_b32_e32 v91, 16, v15
	v_dual_fmac_f32 v22, v51, v42 :: v_dual_fmac_f32 v23, v46, v89
	v_cvt_f32_i32_e32 v46, v88
	s_delay_alu instid0(VALU_DEP_4)
	v_bfe_i32 v93, v93, 0, 8
	v_lshrrev_b32_e32 v15, 24, v15
	v_bfe_i32 v91, v91, 0, 8
	s_waitcnt vmcnt(1)
	v_lshrrev_b32_e32 v94, 16, v16
	v_fmac_f32_e32 v22, v52, v46
	v_fmac_f32_e32 v21, v43, v42
	v_bfe_i32 v93, v93, 0, 16
	v_bfe_i32 v15, v15, 0, 8
	;; [unrolled: 1-line block ×3, first 2 shown]
	s_delay_alu instid0(VALU_DEP_4) | instskip(NEXT) | instid1(VALU_DEP_4)
	v_dual_fmac_f32 v22, v17, v40 :: v_dual_fmac_f32 v21, v44, v46
	v_cvt_f32_i32_e32 v17, v93
	v_bfe_i32 v95, v16, 0, 8
	v_lshrrev_b32_e32 v96, 8, v16
	s_delay_alu instid0(VALU_DEP_4) | instskip(SKIP_2) | instid1(VALU_DEP_4)
	v_fmac_f32_e32 v22, v58, v92
	v_dual_fmac_f32 v20, v54, v42 :: v_dual_fmac_f32 v21, v45, v40
	v_bfe_i32 v15, v15, 0, 16
	v_bfe_i32 v96, v96, 0, 8
	s_delay_alu instid0(VALU_DEP_4) | instskip(NEXT) | instid1(VALU_DEP_4)
	v_fmac_f32_e32 v22, v59, v17
	v_fmac_f32_e32 v20, v55, v46
	;; [unrolled: 1-line block ×4, first 2 shown]
	v_bfe_i32 v94, v94, 0, 8
	v_bfe_i32 v95, v95, 0, 16
	s_delay_alu instid0(VALU_DEP_4) | instskip(SKIP_3) | instid1(VALU_DEP_4)
	v_dual_fmac_f32 v20, v18, v40 :: v_dual_fmac_f32 v23, v48, v46
	v_cvt_f32_i32_e32 v18, v91
	v_fmac_f32_e32 v21, v38, v17
	v_cvt_f32_i32_e32 v15, v15
	v_fmac_f32_e32 v20, v61, v92
	s_delay_alu instid0(VALU_DEP_4) | instskip(SKIP_3) | instid1(VALU_DEP_3)
	v_dual_fmac_f32 v23, v49, v40 :: v_dual_fmac_f32 v22, v60, v18
	s_waitcnt vmcnt(0)
	v_bfe_i32 v98, v36, 0, 8
	v_cvt_f32_i32_e32 v95, v95
	v_dual_fmac_f32 v20, v62, v17 :: v_dual_fmac_f32 v23, v41, v92
	v_bfe_i32 v96, v96, 0, 16
	v_bfe_i32 v94, v94, 0, 16
	v_dual_fmac_f32 v21, v39, v18 :: v_dual_fmac_f32 v22, v26, v15
	s_delay_alu instid0(VALU_DEP_4) | instskip(SKIP_3) | instid1(VALU_DEP_4)
	v_dual_fmac_f32 v23, v56, v17 :: v_dual_fmac_f32 v20, v63, v18
	v_lshrrev_b32_e32 v97, 16, v36
	v_bfe_i32 v98, v98, 0, 16
	v_lshrrev_b32_e32 v16, 24, v16
	v_dual_fmac_f32 v23, v57, v18 :: v_dual_fmac_f32 v20, v27, v15
	v_cvt_f32_i32_e32 v18, v94
	v_fmac_f32_e32 v21, v24, v15
	v_fmac_f32_e32 v22, v70, v95
	s_delay_alu instid0(VALU_DEP_4)
	v_fmac_f32_e32 v23, v25, v15
	v_cvt_f32_i32_e32 v15, v96
	v_fmac_f32_e32 v20, v73, v95
	v_bfe_i32 v97, v97, 0, 8
	v_cvt_f32_i32_e32 v98, v98
	v_bfe_i32 v16, v16, 0, 8
	v_fmac_f32_e32 v22, v71, v15
	v_fmac_f32_e32 v20, v74, v15
	v_bfe_i32 v17, v97, 0, 16
	v_lshrrev_b32_e32 v99, 8, v36
	v_bfe_i32 v16, v16, 0, 16
	v_dual_fmac_f32 v22, v72, v18 :: v_dual_fmac_f32 v23, v67, v95
	v_dual_fmac_f32 v20, v75, v18 :: v_dual_fmac_f32 v21, v64, v95
	v_cvt_f32_i32_e32 v17, v17
	v_bfe_i32 v99, v99, 0, 8
	s_delay_alu instid0(VALU_DEP_4)
	v_fmac_f32_e32 v23, v68, v15
	v_lshrrev_b32_e32 v36, 24, v36
	v_fmac_f32_e32 v21, v65, v15
	v_cvt_f32_i32_e32 v15, v16
	v_bfe_i32 v42, v99, 0, 16
	v_fmac_f32_e32 v23, v69, v18
	v_bfe_i32 v36, v36, 0, 8
	v_fmac_f32_e32 v21, v66, v18
	v_fmac_f32_e32 v22, v30, v15
	;; [unrolled: 1-line block ×4, first 2 shown]
	v_bfe_i32 v16, v36, 0, 16
	v_fmac_f32_e32 v21, v28, v15
	v_cvt_f32_i32_e32 v15, v42
	s_delay_alu instid0(VALU_DEP_4) | instskip(NEXT) | instid1(VALU_DEP_3)
	v_fmac_f32_e32 v23, v79, v98
	v_fmac_f32_e32 v21, v76, v98
	s_delay_alu instid0(VALU_DEP_2) | instskip(NEXT) | instid1(VALU_DEP_2)
	v_fmac_f32_e32 v23, v80, v15
	v_fmac_f32_e32 v21, v77, v15
	s_delay_alu instid0(VALU_DEP_2) | instskip(NEXT) | instid1(VALU_DEP_2)
	v_dual_fmac_f32 v23, v81, v17 :: v_dual_fmac_f32 v22, v82, v98
	v_dual_fmac_f32 v21, v78, v17 :: v_dual_fmac_f32 v20, v85, v98
	s_delay_alu instid0(VALU_DEP_2) | instskip(NEXT) | instid1(VALU_DEP_2)
	v_fmac_f32_e32 v22, v83, v15
	v_fmac_f32_e32 v20, v86, v15
	v_cvt_f32_i32_e32 v15, v16
	s_delay_alu instid0(VALU_DEP_3) | instskip(NEXT) | instid1(VALU_DEP_2)
	v_fmac_f32_e32 v22, v84, v17
	v_dual_fmac_f32 v20, v87, v17 :: v_dual_fmac_f32 v21, v32, v15
	v_fmac_f32_e32 v23, v33, v15
	s_delay_alu instid0(VALU_DEP_3) | instskip(NEXT) | instid1(VALU_DEP_3)
	v_fmac_f32_e32 v22, v34, v15
	v_fmac_f32_e32 v20, v35, v15
	s_and_not1_b32 exec_lo, exec_lo, s14
	s_cbranch_execnz .LBB80_21
; %bb.22:
	s_or_b32 exec_lo, exec_lo, s14
.LBB80_23:
	s_delay_alu instid0(SALU_CYCLE_1)
	s_or_b32 exec_lo, exec_lo, s13
.LBB80_24:
	s_delay_alu instid0(SALU_CYCLE_1) | instskip(NEXT) | instid1(SALU_CYCLE_1)
	s_or_b32 exec_lo, exec_lo, s11
	s_and_not1_b32 vcc_lo, exec_lo, s10
	s_cbranch_vccz .LBB80_26
	s_branch .LBB80_37
.LBB80_25:
                                        ; implicit-def: $vgpr20
                                        ; implicit-def: $vgpr22
                                        ; implicit-def: $vgpr23
                                        ; implicit-def: $vgpr21
.LBB80_26:
	v_dual_mov_b32 v20, 0 :: v_dual_mov_b32 v23, 0
	v_dual_mov_b32 v22, 0 :: v_dual_mov_b32 v21, 0
	s_and_saveexec_b32 s5, s2
	s_cbranch_execz .LBB80_36
; %bb.27:
	v_or_b32_e32 v9, 4, v19
	v_mov_b32_e32 v21, 0
	v_dual_mov_b32 v23, 0 :: v_dual_mov_b32 v22, 0
	v_mov_b32_e32 v20, 0
	s_delay_alu instid0(VALU_DEP_4) | instskip(NEXT) | instid1(VALU_DEP_1)
	v_sub_co_u32 v9, s2, v9, s18
	v_sub_co_ci_u32_e64 v10, null, 0, 0, s2
	v_sub_co_u32 v11, s2, s18, v19
	s_delay_alu instid0(VALU_DEP_3) | instskip(NEXT) | instid1(VALU_DEP_3)
	v_add_co_u32 v9, vcc_lo, v9, v7
	v_add_co_ci_u32_e32 v10, vcc_lo, v10, v8, vcc_lo
	v_not_b32_e32 v7, v7
	v_not_b32_e32 v8, v8
	v_sub_co_ci_u32_e64 v12, null, 0, 0, s2
	s_delay_alu instid0(VALU_DEP_4) | instskip(SKIP_4) | instid1(VALU_DEP_2)
	v_cmp_gt_i64_e32 vcc_lo, v[9:10], v[2:3]
	s_mov_b32 s2, exec_lo
	v_dual_cndmask_b32 v10, v3, v10 :: v_dual_cndmask_b32 v9, v2, v9
	v_add_co_u32 v7, vcc_lo, v11, v7
	v_add_co_ci_u32_e32 v8, vcc_lo, v12, v8, vcc_lo
	v_add_co_u32 v7, vcc_lo, v7, v9
	s_delay_alu instid0(VALU_DEP_2) | instskip(NEXT) | instid1(VALU_DEP_2)
	v_add_co_ci_u32_e32 v8, vcc_lo, v8, v10, vcc_lo
	v_lshrrev_b32_e32 v9, 2, v7
	s_delay_alu instid0(VALU_DEP_1) | instskip(NEXT) | instid1(VALU_DEP_1)
	v_add_nc_u32_e32 v9, 1, v9
	v_and_b32_e32 v9, 3, v9
	s_delay_alu instid0(VALU_DEP_1)
	v_cmpx_ne_u32_e32 0, v9
	s_cbranch_execz .LBB80_31
; %bb.28:
	v_lshlrev_b64 v[11:12], 2, v[0:1]
	v_dual_mov_b32 v10, 0 :: v_dual_lshlrev_b32 v9, 2, v9
	s_mov_b32 s3, 0
	s_delay_alu instid0(VALU_DEP_1) | instskip(NEXT) | instid1(VALU_DEP_3)
	v_mov_b32_e32 v20, v10
	v_add_co_u32 v11, vcc_lo, s8, v11
	s_delay_alu instid0(VALU_DEP_4)
	v_add_co_ci_u32_e32 v12, vcc_lo, s9, v12, vcc_lo
	v_mov_b32_e32 v22, v10
	v_mov_b32_e32 v23, v10
	;; [unrolled: 1-line block ×3, first 2 shown]
.LBB80_29:                              ; =>This Inner Loop Header: Depth=1
	global_load_b32 v17, v[11:12], off
	global_load_b128 v[13:16], v[5:6], off
	s_waitcnt vmcnt(1)
	v_subrev_nc_u32_e32 v17, s18, v17
	s_waitcnt vmcnt(0)
	v_lshrrev_b32_e32 v25, 16, v13
	v_lshrrev_b32_e32 v24, 8, v13
	;; [unrolled: 1-line block ×3, first 2 shown]
	v_bfe_i32 v26, v14, 0, 8
	v_lshrrev_b32_e32 v27, 8, v14
	v_bfe_i32 v25, v25, 0, 8
	v_lshrrev_b32_e32 v14, 24, v14
	v_bfe_i32 v24, v24, 0, 8
	v_bfe_i32 v28, v28, 0, 8
	;; [unrolled: 1-line block ×4, first 2 shown]
	v_lshrrev_b32_e32 v30, 8, v15
	v_lshrrev_b32_e32 v31, 16, v15
	;; [unrolled: 1-line block ×3, first 2 shown]
	v_bfe_i32 v27, v27, 0, 8
	v_cvt_f32_i32_e32 v25, v25
	v_lshlrev_b32_e32 v17, 2, v17
	v_bfe_i32 v14, v14, 0, 8
	v_bfe_i32 v26, v26, 0, 16
	;; [unrolled: 1-line block ×4, first 2 shown]
	v_ashrrev_i32_e32 v18, 31, v17
	s_waitcnt lgkmcnt(0)
	v_add_co_u32 v17, vcc_lo, s6, v17
	v_bfe_i32 v32, v16, 0, 8
	v_lshrrev_b32_e32 v33, 8, v16
	v_add_co_ci_u32_e32 v18, vcc_lo, s7, v18, vcc_lo
	v_lshrrev_b32_e32 v34, 16, v16
	v_lshrrev_b32_e32 v16, 24, v16
	v_bfe_i32 v30, v30, 0, 8
	global_load_b32 v17, v[17:18], off
	v_bfe_i32 v18, v13, 0, 8
	v_lshrrev_b32_e32 v13, 24, v13
	v_bfe_i32 v31, v31, 0, 8
	v_bfe_i32 v15, v15, 0, 8
	v_cvt_f32_i32_e32 v26, v26
	v_bfe_i32 v18, v18, 0, 16
	v_bfe_i32 v13, v13, 0, 8
	;; [unrolled: 1-line block ×4, first 2 shown]
	v_cvt_f32_i32_e32 v24, v24
	v_cvt_f32_i32_e32 v18, v18
	v_bfe_i32 v13, v13, 0, 16
	v_cvt_f32_i32_e32 v28, v28
	v_add_co_u32 v5, vcc_lo, v5, 64
	v_add_co_ci_u32_e32 v6, vcc_lo, 0, v6, vcc_lo
	s_delay_alu instid0(VALU_DEP_4)
	v_cvt_f32_i32_e32 v13, v13
	v_add_co_u32 v0, vcc_lo, v0, 4
	v_bfe_i32 v33, v33, 0, 8
	v_bfe_i32 v34, v34, 0, 8
	;; [unrolled: 1-line block ×7, first 2 shown]
	v_cvt_f32_i32_e32 v27, v27
	v_cvt_f32_i32_e32 v14, v14
	v_add_co_ci_u32_e32 v1, vcc_lo, 0, v1, vcc_lo
	v_add_co_u32 v11, vcc_lo, v11, 16
	v_add_co_ci_u32_e32 v12, vcc_lo, 0, v12, vcc_lo
	v_add_co_u32 v9, vcc_lo, v9, -4
	v_bfe_i32 v32, v32, 0, 16
	v_cvt_f32_i32_e32 v29, v29
	v_bfe_i32 v33, v33, 0, 16
	v_bfe_i32 v34, v34, 0, 16
	;; [unrolled: 1-line block ×3, first 2 shown]
	v_cvt_f32_i32_e32 v30, v30
	v_cvt_f32_i32_e32 v31, v31
	v_cvt_f32_i32_e32 v15, v15
	v_add_co_ci_u32_e32 v10, vcc_lo, -1, v10, vcc_lo
	v_cvt_f32_i32_e32 v32, v32
	v_cvt_f32_i32_e32 v33, v33
	v_cvt_f32_i32_e32 v34, v34
	v_cvt_f32_i32_e32 v16, v16
	v_cmp_eq_u64_e32 vcc_lo, 0, v[9:10]
	s_or_b32 s3, vcc_lo, s3
	s_waitcnt vmcnt(0)
	v_bfe_i32 v35, v17, 0, 8
	v_lshrrev_b32_e32 v36, 8, v17
	v_lshrrev_b32_e32 v37, 16, v17
	;; [unrolled: 1-line block ×3, first 2 shown]
	s_delay_alu instid0(VALU_DEP_4) | instskip(NEXT) | instid1(VALU_DEP_4)
	v_bfe_i32 v35, v35, 0, 16
	v_bfe_i32 v36, v36, 0, 8
	s_delay_alu instid0(VALU_DEP_4) | instskip(NEXT) | instid1(VALU_DEP_4)
	v_bfe_i32 v37, v37, 0, 8
	v_bfe_i32 v17, v17, 0, 8
	s_delay_alu instid0(VALU_DEP_4) | instskip(NEXT) | instid1(VALU_DEP_4)
	v_cvt_f32_i32_e32 v35, v35
	v_bfe_i32 v36, v36, 0, 16
	s_delay_alu instid0(VALU_DEP_4) | instskip(NEXT) | instid1(VALU_DEP_4)
	v_bfe_i32 v37, v37, 0, 16
	v_bfe_i32 v17, v17, 0, 16
	s_delay_alu instid0(VALU_DEP_4) | instskip(SKIP_2) | instid1(VALU_DEP_1)
	v_fmac_f32_e32 v22, v25, v35
	v_fmac_f32_e32 v21, v18, v35
	v_cvt_f32_i32_e32 v18, v36
	v_fmac_f32_e32 v22, v28, v18
	s_delay_alu instid0(VALU_DEP_3) | instskip(SKIP_2) | instid1(VALU_DEP_3)
	v_dual_fmac_f32 v20, v13, v35 :: v_dual_fmac_f32 v21, v26, v18
	v_fmac_f32_e32 v23, v24, v35
	v_cvt_f32_i32_e32 v13, v37
	v_fmac_f32_e32 v20, v14, v18
	v_cvt_f32_i32_e32 v14, v17
	s_delay_alu instid0(VALU_DEP_4) | instskip(NEXT) | instid1(VALU_DEP_4)
	v_fmac_f32_e32 v23, v27, v18
	v_fmac_f32_e32 v22, v31, v13
	;; [unrolled: 1-line block ×4, first 2 shown]
	s_delay_alu instid0(VALU_DEP_4) | instskip(NEXT) | instid1(VALU_DEP_4)
	v_fmac_f32_e32 v23, v30, v13
	v_fmac_f32_e32 v22, v34, v14
	s_delay_alu instid0(VALU_DEP_4) | instskip(NEXT) | instid1(VALU_DEP_4)
	v_fmac_f32_e32 v21, v32, v14
	v_fmac_f32_e32 v20, v16, v14
	s_delay_alu instid0(VALU_DEP_4)
	v_fmac_f32_e32 v23, v33, v14
	s_and_not1_b32 exec_lo, exec_lo, s3
	s_cbranch_execnz .LBB80_29
; %bb.30:
	s_or_b32 exec_lo, exec_lo, s3
.LBB80_31:
	s_delay_alu instid0(SALU_CYCLE_1) | instskip(NEXT) | instid1(SALU_CYCLE_1)
	s_or_b32 exec_lo, exec_lo, s2
	s_mov_b32 s10, exec_lo
	v_cmpx_lt_u64_e32 11, v[7:8]
	s_cbranch_execz .LBB80_35
; %bb.32:
	v_lshlrev_b64 v[7:8], 2, v[0:1]
	s_delay_alu instid0(VALU_DEP_1) | instskip(NEXT) | instid1(VALU_DEP_2)
	v_add_co_u32 v7, vcc_lo, v7, s8
	v_add_co_ci_u32_e32 v8, vcc_lo, s9, v8, vcc_lo
	s_mov_b32 s8, 0
	s_delay_alu instid0(VALU_DEP_2) | instskip(NEXT) | instid1(VALU_DEP_2)
	v_add_co_u32 v7, vcc_lo, v7, 32
	v_add_co_ci_u32_e32 v8, vcc_lo, 0, v8, vcc_lo
.LBB80_33:                              ; =>This Inner Loop Header: Depth=1
	s_clause 0x3
	global_load_b32 v17, v[7:8], off offset:-32
	global_load_b32 v18, v[7:8], off offset:-16
	global_load_b32 v32, v[7:8], off
	global_load_b32 v33, v[7:8], off offset:16
	s_clause 0x3
	global_load_b128 v[9:12], v[5:6], off
	global_load_b128 v[13:16], v[5:6], off offset:64
	global_load_b128 v[24:27], v[5:6], off offset:128
	;; [unrolled: 1-line block ×3, first 2 shown]
	v_add_co_u32 v5, vcc_lo, 0x100, v5
	v_add_co_ci_u32_e32 v6, vcc_lo, 0, v6, vcc_lo
	v_add_co_u32 v0, vcc_lo, v0, 16
	v_add_co_ci_u32_e32 v1, vcc_lo, 0, v1, vcc_lo
	;; [unrolled: 2-line block ×3, first 2 shown]
	s_waitcnt vmcnt(7)
	v_subrev_nc_u32_e32 v17, s18, v17
	s_waitcnt vmcnt(3)
	v_lshrrev_b32_e32 v38, 16, v9
	v_lshrrev_b32_e32 v39, 24, v9
	;; [unrolled: 1-line block ×3, first 2 shown]
	v_bfe_i32 v36, v9, 0, 8
	v_subrev_nc_u32_e32 v9, s18, v18
	v_bfe_i32 v38, v38, 0, 8
	v_bfe_i32 v39, v39, 0, 8
	;; [unrolled: 1-line block ×4, first 2 shown]
	v_lshrrev_b32_e32 v41, 8, v10
	v_bfe_i32 v38, v38, 0, 16
	v_bfe_i32 v39, v39, 0, 16
	v_lshrrev_b32_e32 v42, 16, v10
	v_lshrrev_b32_e32 v43, 24, v10
	v_subrev_nc_u32_e32 v10, s18, v32
	v_bfe_i32 v36, v36, 0, 16
	v_subrev_nc_u32_e32 v18, s18, v33
	v_bfe_i32 v37, v37, 0, 16
	v_cvt_f32_i32_e32 v38, v38
	v_lshlrev_b32_e32 v33, 2, v17
	v_cvt_f32_i32_e32 v39, v39
	v_lshlrev_b32_e32 v9, 2, v9
	;; [unrolled: 2-line block ×4, first 2 shown]
	v_ashrrev_i32_e32 v35, 31, v33
	v_ashrrev_i32_e32 v50, 31, v9
	;; [unrolled: 1-line block ×3, first 2 shown]
	s_waitcnt lgkmcnt(0)
	v_add_co_u32 v34, s4, s6, v33
	v_ashrrev_i32_e32 v52, 31, v18
	v_add_co_u32 v9, vcc_lo, s6, v9
	v_add_co_u32 v17, s2, s6, v10
	v_add_co_ci_u32_e64 v35, s4, s7, v35, s4
	v_add_co_u32 v32, s3, s6, v18
	v_add_co_ci_u32_e32 v10, vcc_lo, s7, v50, vcc_lo
	v_add_co_ci_u32_e64 v18, vcc_lo, s7, v51, s2
	v_add_co_ci_u32_e64 v33, vcc_lo, s7, v52, s3
	s_clause 0x3
	global_load_b32 v34, v[34:35], off
	global_load_b32 v9, v[9:10], off
	global_load_b32 v10, v[17:18], off
	global_load_b32 v17, v[32:33], off
	v_bfe_i32 v44, v11, 0, 8
	v_lshrrev_b32_e32 v45, 8, v11
	v_lshrrev_b32_e32 v46, 16, v11
	v_lshrrev_b32_e32 v11, 24, v11
	v_bfe_i32 v43, v43, 0, 8
	v_bfe_i32 v47, v12, 0, 8
	v_lshrrev_b32_e32 v48, 8, v12
	v_lshrrev_b32_e32 v49, 16, v12
	;; [unrolled: 1-line block ×3, first 2 shown]
	v_bfe_i32 v41, v41, 0, 8
	v_bfe_i32 v42, v42, 0, 8
	v_bfe_i32 v45, v45, 0, 8
	v_bfe_i32 v11, v11, 0, 8
	v_bfe_i32 v43, v43, 0, 16
	s_waitcnt vmcnt(6)
	v_bfe_i32 v18, v13, 0, 8
	v_lshrrev_b32_e32 v32, 8, v13
	v_lshrrev_b32_e32 v33, 16, v13
	;; [unrolled: 1-line block ×4, first 2 shown]
	v_bfe_i32 v46, v46, 0, 8
	v_bfe_i32 v12, v12, 0, 8
	;; [unrolled: 1-line block ×7, first 2 shown]
	v_cvt_f32_i32_e32 v43, v43
	v_bfe_i32 v35, v14, 0, 8
	v_lshrrev_b32_e32 v51, 16, v14
	v_lshrrev_b32_e32 v14, 24, v14
	v_bfe_i32 v44, v44, 0, 16
	v_bfe_i32 v13, v13, 0, 8
	;; [unrolled: 1-line block ×3, first 2 shown]
	v_cvt_f32_i32_e32 v40, v40
	v_bfe_i32 v46, v46, 0, 16
	v_bfe_i32 v12, v12, 0, 16
	v_cvt_f32_i32_e32 v41, v41
	v_cvt_f32_i32_e32 v42, v42
	;; [unrolled: 1-line block ×4, first 2 shown]
	v_bfe_i32 v52, v15, 0, 8
	v_lshrrev_b32_e32 v53, 8, v15
	v_lshrrev_b32_e32 v54, 16, v15
	;; [unrolled: 1-line block ×3, first 2 shown]
	v_bfe_i32 v55, v16, 0, 8
	v_bfe_i32 v47, v47, 0, 16
	v_bfe_i32 v14, v14, 0, 8
	v_cvt_f32_i32_e32 v44, v44
	v_bfe_i32 v13, v13, 0, 16
	v_bfe_i32 v50, v50, 0, 16
	v_cvt_f32_i32_e32 v46, v46
	v_cvt_f32_i32_e32 v12, v12
	v_bfe_i32 v49, v49, 0, 8
	v_bfe_i32 v15, v15, 0, 8
	v_bfe_i32 v18, v18, 0, 16
	v_bfe_i32 v55, v55, 0, 16
	v_cvt_f32_i32_e32 v47, v47
	v_bfe_i32 v14, v14, 0, 16
	v_cvt_f32_i32_e32 v13, v13
	v_cvt_f32_i32_e32 v50, v50
	v_bfe_i32 v48, v48, 0, 8
	v_bfe_i32 v33, v33, 0, 8
	v_bfe_i32 v35, v35, 0, 16
	v_bfe_i32 v49, v49, 0, 16
	v_cvt_f32_i32_e32 v18, v18
	v_bfe_i32 v15, v15, 0, 16
	v_cvt_f32_i32_e32 v55, v55
	v_cvt_f32_i32_e32 v14, v14
	v_bfe_i32 v32, v32, 0, 8
	v_bfe_i32 v51, v51, 0, 8
	;; [unrolled: 1-line block ×5, first 2 shown]
	v_cvt_f32_i32_e32 v35, v35
	v_cvt_f32_i32_e32 v49, v49
	;; [unrolled: 1-line block ×3, first 2 shown]
	v_bfe_i32 v54, v54, 0, 8
	v_bfe_i32 v32, v32, 0, 16
	;; [unrolled: 1-line block ×3, first 2 shown]
	v_cvt_f32_i32_e32 v52, v52
	v_cvt_f32_i32_e32 v48, v48
	;; [unrolled: 1-line block ×3, first 2 shown]
	v_lshrrev_b32_e32 v56, 8, v16
	v_lshrrev_b32_e32 v57, 16, v16
	v_lshrrev_b32_e32 v16, 24, v16
	s_waitcnt vmcnt(4)
	v_lshrrev_b32_e32 v72, 16, v28
	v_bfe_i32 v53, v53, 0, 8
	v_bfe_i32 v54, v54, 0, 16
	v_cvt_f32_i32_e32 v32, v32
	v_cvt_f32_i32_e32 v51, v51
	v_bfe_i32 v58, v24, 0, 8
	v_lshrrev_b32_e32 v59, 8, v24
	v_lshrrev_b32_e32 v60, 16, v24
	;; [unrolled: 1-line block ×5, first 2 shown]
	v_bfe_i32 v56, v56, 0, 8
	v_bfe_i32 v57, v57, 0, 8
	;; [unrolled: 1-line block ×5, first 2 shown]
	v_cvt_f32_i32_e32 v54, v54
	v_bfe_i32 v61, v25, 0, 8
	v_lshrrev_b32_e32 v62, 8, v25
	v_lshrrev_b32_e32 v63, 16, v25
	v_lshrrev_b32_e32 v25, 24, v25
	v_bfe_i32 v70, v28, 0, 8
	v_lshrrev_b32_e32 v28, 24, v28
	v_bfe_i32 v76, v30, 0, 8
	v_lshrrev_b32_e32 v77, 8, v30
	v_lshrrev_b32_e32 v30, 24, v30
	v_bfe_i32 v59, v59, 0, 8
	v_bfe_i32 v60, v60, 0, 8
	;; [unrolled: 1-line block ×9, first 2 shown]
	v_cvt_f32_i32_e32 v53, v53
	v_bfe_i32 v64, v26, 0, 8
	v_lshrrev_b32_e32 v65, 8, v26
	v_lshrrev_b32_e32 v66, 16, v26
	;; [unrolled: 1-line block ×3, first 2 shown]
	v_bfe_i32 v62, v62, 0, 8
	v_bfe_i32 v63, v63, 0, 8
	;; [unrolled: 1-line block ×13, first 2 shown]
	v_cvt_f32_i32_e32 v56, v56
	v_cvt_f32_i32_e32 v57, v57
	;; [unrolled: 1-line block ×4, first 2 shown]
	v_bfe_i32 v67, v27, 0, 8
	v_lshrrev_b32_e32 v68, 8, v27
	v_lshrrev_b32_e32 v69, 16, v27
	;; [unrolled: 1-line block ×3, first 2 shown]
	v_bfe_i32 v65, v65, 0, 8
	v_bfe_i32 v66, v66, 0, 8
	;; [unrolled: 1-line block ×4, first 2 shown]
	v_cvt_f32_i32_e32 v58, v58
	v_bfe_i32 v62, v62, 0, 16
	v_bfe_i32 v63, v63, 0, 16
	;; [unrolled: 1-line block ×3, first 2 shown]
	v_cvt_f32_i32_e32 v70, v70
	v_bfe_i32 v28, v28, 0, 16
	v_bfe_i32 v77, v77, 0, 16
	;; [unrolled: 1-line block ×3, first 2 shown]
	v_cvt_f32_i32_e32 v59, v59
	v_cvt_f32_i32_e32 v60, v60
	;; [unrolled: 1-line block ×5, first 2 shown]
	v_bfe_i32 v68, v68, 0, 8
	v_bfe_i32 v69, v69, 0, 8
	;; [unrolled: 1-line block ×5, first 2 shown]
	v_cvt_f32_i32_e32 v61, v61
	v_bfe_i32 v65, v65, 0, 16
	v_bfe_i32 v66, v66, 0, 16
	;; [unrolled: 1-line block ×3, first 2 shown]
	v_cvt_f32_i32_e32 v62, v62
	v_cvt_f32_i32_e32 v63, v63
	;; [unrolled: 1-line block ×6, first 2 shown]
	v_bfe_i32 v73, v29, 0, 8
	v_lshrrev_b32_e32 v74, 8, v29
	v_lshrrev_b32_e32 v75, 16, v29
	;; [unrolled: 1-line block ×3, first 2 shown]
	v_bfe_i32 v67, v67, 0, 16
	v_cvt_f32_i32_e32 v64, v64
	v_bfe_i32 v68, v68, 0, 16
	v_bfe_i32 v69, v69, 0, 16
	;; [unrolled: 1-line block ×3, first 2 shown]
	v_cvt_f32_i32_e32 v76, v76
	v_cvt_f32_i32_e32 v65, v65
	v_cvt_f32_i32_e32 v66, v66
	v_cvt_f32_i32_e32 v26, v26
	v_bfe_i32 v74, v74, 0, 8
	v_bfe_i32 v75, v75, 0, 8
	;; [unrolled: 1-line block ×3, first 2 shown]
	v_cvt_f32_i32_e32 v67, v67
	v_cvt_f32_i32_e32 v68, v68
	;; [unrolled: 1-line block ×4, first 2 shown]
	v_bfe_i32 v79, v31, 0, 8
	v_lshrrev_b32_e32 v80, 8, v31
	v_lshrrev_b32_e32 v81, 16, v31
	;; [unrolled: 1-line block ×3, first 2 shown]
	v_bfe_i32 v73, v73, 0, 16
	v_bfe_i32 v74, v74, 0, 16
	v_bfe_i32 v75, v75, 0, 16
	v_bfe_i32 v29, v29, 0, 16
	v_bfe_i32 v80, v80, 0, 8
	v_bfe_i32 v81, v81, 0, 8
	v_bfe_i32 v31, v31, 0, 8
	v_cvt_f32_i32_e32 v73, v73
	v_cvt_f32_i32_e32 v74, v74
	;; [unrolled: 1-line block ×4, first 2 shown]
	v_bfe_i32 v79, v79, 0, 16
	v_bfe_i32 v80, v80, 0, 16
	;; [unrolled: 1-line block ×4, first 2 shown]
	v_cmp_ge_i64_e32 vcc_lo, v[0:1], v[2:3]
	v_cvt_f32_i32_e32 v79, v79
	v_cvt_f32_i32_e32 v80, v80
	;; [unrolled: 1-line block ×4, first 2 shown]
	s_or_b32 s8, vcc_lo, s8
	s_waitcnt vmcnt(3)
	v_bfe_i32 v83, v34, 0, 8
	v_lshrrev_b32_e32 v84, 8, v34
	v_lshrrev_b32_e32 v82, 16, v34
	;; [unrolled: 1-line block ×3, first 2 shown]
	s_waitcnt vmcnt(2)
	v_lshrrev_b32_e32 v85, 16, v9
	v_bfe_i32 v83, v83, 0, 16
	v_bfe_i32 v84, v84, 0, 8
	;; [unrolled: 1-line block ×5, first 2 shown]
	v_cvt_f32_i32_e32 v83, v83
	v_bfe_i32 v84, v84, 0, 16
	v_bfe_i32 v82, v82, 0, 16
	v_lshrrev_b32_e32 v87, 8, v9
	v_lshrrev_b32_e32 v9, 24, v9
	v_fmac_f32_e32 v23, v37, v83
	v_fmac_f32_e32 v21, v36, v83
	v_cvt_f32_i32_e32 v36, v84
	v_fmac_f32_e32 v20, v39, v83
	v_bfe_i32 v34, v34, 0, 16
	v_fmac_f32_e32 v22, v38, v83
	v_cvt_f32_i32_e32 v37, v82
	v_bfe_i32 v87, v87, 0, 8
	v_fmac_f32_e32 v20, v43, v36
	v_bfe_i32 v9, v9, 0, 8
	v_bfe_i32 v86, v86, 0, 16
	v_fmac_f32_e32 v23, v41, v36
	v_fmac_f32_e32 v22, v42, v36
	;; [unrolled: 1-line block ×3, first 2 shown]
	v_cvt_f32_i32_e32 v34, v34
	v_fmac_f32_e32 v20, v11, v37
	v_bfe_i32 v85, v85, 0, 8
	v_fmac_f32_e32 v22, v46, v37
	v_cvt_f32_i32_e32 v86, v86
	v_bfe_i32 v87, v87, 0, 16
	v_bfe_i32 v9, v9, 0, 16
	v_fmac_f32_e32 v21, v44, v37
	v_fmac_f32_e32 v20, v12, v34
	v_bfe_i32 v85, v85, 0, 16
	v_cvt_f32_i32_e32 v12, v87
	v_cvt_f32_i32_e32 v9, v9
	v_fmac_f32_e32 v23, v45, v37
	v_fmac_f32_e32 v20, v13, v86
	v_fmac_f32_e32 v21, v47, v34
	v_cvt_f32_i32_e32 v13, v85
	s_waitcnt vmcnt(0)
	v_bfe_i32 v92, v17, 0, 8
	v_bfe_i32 v89, v10, 0, 8
	v_fmac_f32_e32 v20, v14, v12
	v_fmac_f32_e32 v21, v18, v86
	v_lshrrev_b32_e32 v90, 8, v10
	v_bfe_i32 v92, v92, 0, 16
	v_lshrrev_b32_e32 v88, 16, v10
	v_fmac_f32_e32 v20, v15, v13
	v_dual_fmac_f32 v22, v49, v34 :: v_dual_fmac_f32 v21, v35, v12
	v_bfe_i32 v90, v90, 0, 8
	v_bfe_i32 v89, v89, 0, 16
	v_cvt_f32_i32_e32 v92, v92
	s_delay_alu instid0(VALU_DEP_4) | instskip(SKIP_3) | instid1(VALU_DEP_4)
	v_dual_fmac_f32 v22, v33, v86 :: v_dual_fmac_f32 v21, v52, v13
	v_fmac_f32_e32 v23, v48, v34
	v_lshrrev_b32_e32 v10, 24, v10
	v_bfe_i32 v88, v88, 0, 8
	v_fmac_f32_e32 v22, v51, v12
	v_cvt_f32_i32_e32 v89, v89
	v_fmac_f32_e32 v23, v32, v86
	v_bfe_i32 v90, v90, 0, 16
	v_fmac_f32_e32 v21, v55, v9
	v_fmac_f32_e32 v22, v54, v13
	s_delay_alu instid0(VALU_DEP_4) | instskip(SKIP_2) | instid1(VALU_DEP_4)
	v_dual_fmac_f32 v20, v16, v9 :: v_dual_fmac_f32 v23, v50, v12
	v_bfe_i32 v10, v10, 0, 8
	v_bfe_i32 v88, v88, 0, 16
	v_fmac_f32_e32 v22, v57, v9
	v_fmac_f32_e32 v21, v58, v89
	;; [unrolled: 1-line block ×4, first 2 shown]
	v_lshrrev_b32_e32 v93, 8, v17
	v_fmac_f32_e32 v22, v60, v89
	v_bfe_i32 v10, v10, 0, 16
	v_fmac_f32_e32 v23, v56, v9
	v_cvt_f32_i32_e32 v9, v90
	v_cvt_f32_i32_e32 v13, v88
	v_lshrrev_b32_e32 v91, 16, v17
	v_bfe_i32 v93, v93, 0, 8
	v_fmac_f32_e32 v23, v59, v89
	v_fmac_f32_e32 v21, v61, v9
	;; [unrolled: 1-line block ×4, first 2 shown]
	v_lshrrev_b32_e32 v17, 24, v17
	v_fmac_f32_e32 v23, v62, v9
	v_cvt_f32_i32_e32 v9, v10
	v_fmac_f32_e32 v21, v64, v13
	v_fmac_f32_e32 v22, v66, v13
	v_fmac_f32_e32 v20, v26, v13
	v_fmac_f32_e32 v23, v65, v13
	v_bfe_i32 v91, v91, 0, 8
	v_bfe_i32 v11, v93, 0, 16
	v_fmac_f32_e32 v21, v67, v9
	v_fmac_f32_e32 v22, v69, v9
	;; [unrolled: 1-line block ×4, first 2 shown]
	v_bfe_i32 v17, v17, 0, 8
	v_bfe_i32 v12, v91, 0, 16
	v_cvt_f32_i32_e32 v9, v11
	v_fmac_f32_e32 v21, v70, v92
	v_fmac_f32_e32 v23, v71, v92
	;; [unrolled: 1-line block ×4, first 2 shown]
	v_bfe_i32 v10, v17, 0, 16
	v_cvt_f32_i32_e32 v11, v12
	v_fmac_f32_e32 v21, v73, v9
	v_fmac_f32_e32 v23, v74, v9
	;; [unrolled: 1-line block ×4, first 2 shown]
	v_cvt_f32_i32_e32 v9, v10
	v_fmac_f32_e32 v21, v76, v11
	v_fmac_f32_e32 v23, v77, v11
	;; [unrolled: 1-line block ×3, first 2 shown]
	s_delay_alu instid0(VALU_DEP_3) | instskip(NEXT) | instid1(VALU_DEP_3)
	v_dual_fmac_f32 v20, v30, v11 :: v_dual_fmac_f32 v21, v79, v9
	v_fmac_f32_e32 v23, v80, v9
	s_delay_alu instid0(VALU_DEP_3) | instskip(NEXT) | instid1(VALU_DEP_3)
	v_fmac_f32_e32 v22, v81, v9
	v_fmac_f32_e32 v20, v31, v9
	s_and_not1_b32 exec_lo, exec_lo, s8
	s_cbranch_execnz .LBB80_33
; %bb.34:
	s_or_b32 exec_lo, exec_lo, s8
.LBB80_35:
	s_delay_alu instid0(SALU_CYCLE_1)
	s_or_b32 exec_lo, exec_lo, s10
.LBB80_36:
	s_delay_alu instid0(SALU_CYCLE_1)
	s_or_b32 exec_lo, exec_lo, s5
.LBB80_37:
	v_mbcnt_lo_u32_b32 v0, -1, 0
	s_mov_b32 s2, -1
	s_delay_alu instid0(VALU_DEP_1) | instskip(NEXT) | instid1(VALU_DEP_1)
	v_xor_b32_e32 v1, 2, v0
	v_cmp_gt_i32_e32 vcc_lo, 32, v1
	v_cndmask_b32_e32 v1, v0, v1, vcc_lo
	s_delay_alu instid0(VALU_DEP_1)
	v_lshlrev_b32_e32 v1, 2, v1
	ds_bpermute_b32 v2, v1, v21
	ds_bpermute_b32 v3, v1, v23
	;; [unrolled: 1-line block ×4, first 2 shown]
	v_xor_b32_e32 v1, 1, v0
	s_delay_alu instid0(VALU_DEP_1) | instskip(SKIP_3) | instid1(VALU_DEP_2)
	v_cmp_gt_i32_e32 vcc_lo, 32, v1
	v_cndmask_b32_e32 v0, v0, v1, vcc_lo
	v_cmp_eq_u32_e32 vcc_lo, 3, v19
	s_waitcnt lgkmcnt(0)
	v_dual_add_f32 v1, v23, v3 :: v_dual_lshlrev_b32 v8, 2, v0
	v_add_f32_e32 v0, v21, v2
	v_dual_add_f32 v2, v22, v5 :: v_dual_add_f32 v3, v20, v6
	ds_bpermute_b32 v6, v8, v1
	ds_bpermute_b32 v5, v8, v0
	;; [unrolled: 1-line block ×4, first 2 shown]
	s_and_b32 exec_lo, exec_lo, vcc_lo
	s_cbranch_execz .LBB80_10
; %bb.38:
	s_load_b64 s[0:1], s[0:1], 0x50
	s_waitcnt lgkmcnt(0)
	v_dual_add_f32 v0, v0, v5 :: v_dual_add_f32 v1, v1, v6
	v_dual_add_f32 v2, v2, v7 :: v_dual_add_f32 v3, v3, v8
	v_cmp_eq_f32_e64 s3, s12, 0
	s_delay_alu instid0(VALU_DEP_3) | instskip(NEXT) | instid1(VALU_DEP_3)
	v_dual_mul_f32 v0, s16, v0 :: v_dual_mul_f32 v1, s16, v1
	v_dual_mul_f32 v2, s16, v2 :: v_dual_mul_f32 v3, s16, v3
	v_lshlrev_b32_e32 v4, 2, v4
	s_delay_alu instid0(VALU_DEP_4)
	s_and_b32 vcc_lo, exec_lo, s3
	s_cbranch_vccz .LBB80_40
; %bb.39:
	s_delay_alu instid0(VALU_DEP_1) | instskip(SKIP_1) | instid1(VALU_DEP_1)
	v_ashrrev_i32_e32 v5, 31, v4
	s_mov_b32 s2, 0
	v_lshlrev_b64 v[5:6], 2, v[4:5]
	s_delay_alu instid0(VALU_DEP_1) | instskip(NEXT) | instid1(VALU_DEP_2)
	v_add_co_u32 v5, vcc_lo, s0, v5
	v_add_co_ci_u32_e32 v6, vcc_lo, s1, v6, vcc_lo
	global_store_b128 v[5:6], v[0:3], off
.LBB80_40:
	s_and_not1_b32 vcc_lo, exec_lo, s2
	s_cbranch_vccnz .LBB80_10
; %bb.41:
	v_ashrrev_i32_e32 v5, 31, v4
	s_delay_alu instid0(VALU_DEP_1) | instskip(NEXT) | instid1(VALU_DEP_1)
	v_lshlrev_b64 v[4:5], 2, v[4:5]
	v_add_co_u32 v8, vcc_lo, s0, v4
	s_delay_alu instid0(VALU_DEP_2)
	v_add_co_ci_u32_e32 v9, vcc_lo, s1, v5, vcc_lo
	global_load_b128 v[4:7], v[8:9], off
	s_waitcnt vmcnt(0)
	v_dual_fmac_f32 v0, s12, v4 :: v_dual_fmac_f32 v1, s12, v5
	v_dual_fmac_f32 v2, s12, v6 :: v_dual_fmac_f32 v3, s12, v7
	global_store_b128 v[8:9], v[0:3], off
	s_nop 0
	s_sendmsg sendmsg(MSG_DEALLOC_VGPRS)
	s_endpgm
	.section	.rodata,"a",@progbits
	.p2align	6, 0x0
	.amdhsa_kernel _ZN9rocsparseL18bsrxmvn_4x4_kernelILj128ELj4EfliaafEEvT3_20rocsparse_direction_NS_24const_host_device_scalarIT1_EES1_PKS1_PKT2_SA_S7_PKT4_PKT5_S5_PT6_21rocsparse_index_base_b
		.amdhsa_group_segment_fixed_size 0
		.amdhsa_private_segment_fixed_size 0
		.amdhsa_kernarg_size 96
		.amdhsa_user_sgpr_count 15
		.amdhsa_user_sgpr_dispatch_ptr 0
		.amdhsa_user_sgpr_queue_ptr 0
		.amdhsa_user_sgpr_kernarg_segment_ptr 1
		.amdhsa_user_sgpr_dispatch_id 0
		.amdhsa_user_sgpr_private_segment_size 0
		.amdhsa_wavefront_size32 1
		.amdhsa_uses_dynamic_stack 0
		.amdhsa_enable_private_segment 0
		.amdhsa_system_sgpr_workgroup_id_x 1
		.amdhsa_system_sgpr_workgroup_id_y 0
		.amdhsa_system_sgpr_workgroup_id_z 0
		.amdhsa_system_sgpr_workgroup_info 0
		.amdhsa_system_vgpr_workitem_id 0
		.amdhsa_next_free_vgpr 100
		.amdhsa_next_free_sgpr 20
		.amdhsa_reserve_vcc 1
		.amdhsa_float_round_mode_32 0
		.amdhsa_float_round_mode_16_64 0
		.amdhsa_float_denorm_mode_32 3
		.amdhsa_float_denorm_mode_16_64 3
		.amdhsa_dx10_clamp 1
		.amdhsa_ieee_mode 1
		.amdhsa_fp16_overflow 0
		.amdhsa_workgroup_processor_mode 1
		.amdhsa_memory_ordered 1
		.amdhsa_forward_progress 0
		.amdhsa_shared_vgpr_count 0
		.amdhsa_exception_fp_ieee_invalid_op 0
		.amdhsa_exception_fp_denorm_src 0
		.amdhsa_exception_fp_ieee_div_zero 0
		.amdhsa_exception_fp_ieee_overflow 0
		.amdhsa_exception_fp_ieee_underflow 0
		.amdhsa_exception_fp_ieee_inexact 0
		.amdhsa_exception_int_div_zero 0
	.end_amdhsa_kernel
	.section	.text._ZN9rocsparseL18bsrxmvn_4x4_kernelILj128ELj4EfliaafEEvT3_20rocsparse_direction_NS_24const_host_device_scalarIT1_EES1_PKS1_PKT2_SA_S7_PKT4_PKT5_S5_PT6_21rocsparse_index_base_b,"axG",@progbits,_ZN9rocsparseL18bsrxmvn_4x4_kernelILj128ELj4EfliaafEEvT3_20rocsparse_direction_NS_24const_host_device_scalarIT1_EES1_PKS1_PKT2_SA_S7_PKT4_PKT5_S5_PT6_21rocsparse_index_base_b,comdat
.Lfunc_end80:
	.size	_ZN9rocsparseL18bsrxmvn_4x4_kernelILj128ELj4EfliaafEEvT3_20rocsparse_direction_NS_24const_host_device_scalarIT1_EES1_PKS1_PKT2_SA_S7_PKT4_PKT5_S5_PT6_21rocsparse_index_base_b, .Lfunc_end80-_ZN9rocsparseL18bsrxmvn_4x4_kernelILj128ELj4EfliaafEEvT3_20rocsparse_direction_NS_24const_host_device_scalarIT1_EES1_PKS1_PKT2_SA_S7_PKT4_PKT5_S5_PT6_21rocsparse_index_base_b
                                        ; -- End function
	.section	.AMDGPU.csdata,"",@progbits
; Kernel info:
; codeLenInByte = 7868
; NumSgprs: 22
; NumVgprs: 100
; ScratchSize: 0
; MemoryBound: 0
; FloatMode: 240
; IeeeMode: 1
; LDSByteSize: 0 bytes/workgroup (compile time only)
; SGPRBlocks: 2
; VGPRBlocks: 12
; NumSGPRsForWavesPerEU: 22
; NumVGPRsForWavesPerEU: 100
; Occupancy: 12
; WaveLimiterHint : 1
; COMPUTE_PGM_RSRC2:SCRATCH_EN: 0
; COMPUTE_PGM_RSRC2:USER_SGPR: 15
; COMPUTE_PGM_RSRC2:TRAP_HANDLER: 0
; COMPUTE_PGM_RSRC2:TGID_X_EN: 1
; COMPUTE_PGM_RSRC2:TGID_Y_EN: 0
; COMPUTE_PGM_RSRC2:TGID_Z_EN: 0
; COMPUTE_PGM_RSRC2:TIDIG_COMP_CNT: 0
	.section	.text._ZN9rocsparseL18bsrxmvn_4x4_kernelILj128ELj8EfliaafEEvT3_20rocsparse_direction_NS_24const_host_device_scalarIT1_EES1_PKS1_PKT2_SA_S7_PKT4_PKT5_S5_PT6_21rocsparse_index_base_b,"axG",@progbits,_ZN9rocsparseL18bsrxmvn_4x4_kernelILj128ELj8EfliaafEEvT3_20rocsparse_direction_NS_24const_host_device_scalarIT1_EES1_PKS1_PKT2_SA_S7_PKT4_PKT5_S5_PT6_21rocsparse_index_base_b,comdat
	.globl	_ZN9rocsparseL18bsrxmvn_4x4_kernelILj128ELj8EfliaafEEvT3_20rocsparse_direction_NS_24const_host_device_scalarIT1_EES1_PKS1_PKT2_SA_S7_PKT4_PKT5_S5_PT6_21rocsparse_index_base_b ; -- Begin function _ZN9rocsparseL18bsrxmvn_4x4_kernelILj128ELj8EfliaafEEvT3_20rocsparse_direction_NS_24const_host_device_scalarIT1_EES1_PKS1_PKT2_SA_S7_PKT4_PKT5_S5_PT6_21rocsparse_index_base_b
	.p2align	8
	.type	_ZN9rocsparseL18bsrxmvn_4x4_kernelILj128ELj8EfliaafEEvT3_20rocsparse_direction_NS_24const_host_device_scalarIT1_EES1_PKS1_PKT2_SA_S7_PKT4_PKT5_S5_PT6_21rocsparse_index_base_b,@function
_ZN9rocsparseL18bsrxmvn_4x4_kernelILj128ELj8EfliaafEEvT3_20rocsparse_direction_NS_24const_host_device_scalarIT1_EES1_PKS1_PKT2_SA_S7_PKT4_PKT5_S5_PT6_21rocsparse_index_base_b: ; @_ZN9rocsparseL18bsrxmvn_4x4_kernelILj128ELj8EfliaafEEvT3_20rocsparse_direction_NS_24const_host_device_scalarIT1_EES1_PKS1_PKT2_SA_S7_PKT4_PKT5_S5_PT6_21rocsparse_index_base_b
; %bb.0:
	s_clause 0x2
	s_load_b64 s[18:19], s[0:1], 0x58
	s_load_b64 s[16:17], s[0:1], 0x8
	;; [unrolled: 1-line block ×3, first 2 shown]
	s_waitcnt lgkmcnt(0)
	s_bitcmp1_b32 s19, 0
	s_cselect_b32 s2, -1, 0
	s_delay_alu instid0(SALU_CYCLE_1)
	s_and_b32 vcc_lo, exec_lo, s2
	s_xor_b32 s2, s2, -1
	s_cbranch_vccnz .LBB81_2
; %bb.1:
	s_load_b32 s16, s[16:17], 0x0
.LBB81_2:
	s_and_not1_b32 vcc_lo, exec_lo, s2
	s_cbranch_vccnz .LBB81_4
; %bb.3:
	s_load_b32 s12, s[12:13], 0x0
.LBB81_4:
	s_waitcnt lgkmcnt(0)
	v_cmp_neq_f32_e64 s2, s16, 0
	v_cmp_neq_f32_e64 s3, s12, 1.0
	s_mov_b32 s6, 0
	s_delay_alu instid0(VALU_DEP_1) | instskip(NEXT) | instid1(SALU_CYCLE_1)
	s_or_b32 s2, s2, s3
	s_and_not1_b32 vcc_lo, exec_lo, s2
	s_cbranch_vccnz .LBB81_10
; %bb.5:
	s_clause 0x1
	s_load_b64 s[4:5], s[0:1], 0x18
	s_load_b64 s[2:3], s[0:1], 0x0
	v_lshrrev_b32_e32 v1, 3, v0
	s_delay_alu instid0(VALU_DEP_1)
	v_lshl_or_b32 v4, s15, 4, v1
	s_waitcnt lgkmcnt(0)
	s_cmp_lg_u64 s[4:5], 0
	s_cbranch_scc0 .LBB81_11
; %bb.6:
	s_load_b32 s6, s[0:1], 0x10
	s_mov_b32 s7, 0
                                        ; implicit-def: $vgpr1
	s_waitcnt lgkmcnt(0)
	v_cmp_gt_i32_e32 vcc_lo, s6, v4
	s_mov_b32 s6, 0
	s_and_saveexec_b32 s8, vcc_lo
	s_delay_alu instid0(SALU_CYCLE_1)
	s_xor_b32 s8, exec_lo, s8
	s_cbranch_execz .LBB81_8
; %bb.7:
	v_ashrrev_i32_e32 v5, 31, v4
	s_mov_b32 s6, exec_lo
	s_delay_alu instid0(VALU_DEP_1) | instskip(NEXT) | instid1(VALU_DEP_1)
	v_lshlrev_b64 v[1:2], 2, v[4:5]
	v_add_co_u32 v1, vcc_lo, s4, v1
	s_delay_alu instid0(VALU_DEP_2)
	v_add_co_ci_u32_e32 v2, vcc_lo, s5, v2, vcc_lo
	global_load_b32 v1, v[1:2], off
	s_waitcnt vmcnt(0)
	v_subrev_nc_u32_e32 v1, s18, v1
.LBB81_8:
	s_or_b32 exec_lo, exec_lo, s8
	s_delay_alu instid0(SALU_CYCLE_1)
	s_and_b32 vcc_lo, exec_lo, s7
	s_cbranch_vccz .LBB81_12
.LBB81_9:
	v_cmp_gt_i32_e32 vcc_lo, s2, v4
	s_and_not1_b32 s2, s6, exec_lo
	s_and_b32 s4, vcc_lo, exec_lo
	s_delay_alu instid0(SALU_CYCLE_1) | instskip(NEXT) | instid1(SALU_CYCLE_1)
	s_or_b32 s6, s2, s4
	s_and_saveexec_b32 s2, s6
	s_cbranch_execnz .LBB81_13
.LBB81_10:
	s_nop 0
	s_sendmsg sendmsg(MSG_DEALLOC_VGPRS)
	s_endpgm
.LBB81_11:
                                        ; implicit-def: $vgpr1
	s_cbranch_execnz .LBB81_9
.LBB81_12:
	s_delay_alu instid0(VALU_DEP_1)
	v_mov_b32_e32 v4, v1
	s_and_saveexec_b32 s2, s6
	s_cbranch_execz .LBB81_10
.LBB81_13:
	s_load_b256 s[4:11], s[0:1], 0x20
	s_delay_alu instid0(VALU_DEP_1) | instskip(SKIP_1) | instid1(VALU_DEP_2)
	v_ashrrev_i32_e32 v5, 31, v4
	v_dual_mov_b32 v20, 0 :: v_dual_and_b32 v19, 7, v0
	v_lshlrev_b64 v[1:2], 3, v[4:5]
	s_waitcnt lgkmcnt(0)
	s_delay_alu instid0(VALU_DEP_1) | instskip(NEXT) | instid1(VALU_DEP_2)
	v_add_co_u32 v5, vcc_lo, s4, v1
	v_add_co_ci_u32_e32 v6, vcc_lo, s5, v2, vcc_lo
	v_add_co_u32 v1, vcc_lo, s6, v1
	v_add_co_ci_u32_e32 v2, vcc_lo, s7, v2, vcc_lo
	s_delay_alu instid0(VALU_DEP_4)
	v_add_co_u32 v3, vcc_lo, v5, 8
	global_load_b64 v[7:8], v[5:6], off
	v_add_co_ci_u32_e32 v9, vcc_lo, 0, v6, vcc_lo
	s_cmp_eq_u64 s[6:7], 0
	s_load_b64 s[6:7], s[0:1], 0x40
	s_cselect_b32 vcc_lo, -1, 0
	s_cmp_eq_u32 s3, 1
	v_dual_cndmask_b32 v2, v2, v9 :: v_dual_cndmask_b32 v1, v1, v3
	global_load_b64 v[2:3], v[1:2], off
	s_waitcnt vmcnt(1)
	v_sub_co_u32 v0, vcc_lo, v7, s18
	v_subrev_co_ci_u32_e32 v1, vcc_lo, 0, v8, vcc_lo
	s_delay_alu instid0(VALU_DEP_2) | instskip(NEXT) | instid1(VALU_DEP_2)
	v_add_co_u32 v0, vcc_lo, v0, v19
	v_add_co_ci_u32_e32 v1, vcc_lo, 0, v1, vcc_lo
	s_delay_alu instid0(VALU_DEP_1) | instskip(SKIP_3) | instid1(VALU_DEP_3)
	v_lshlrev_b64 v[5:6], 4, v[0:1]
	s_waitcnt vmcnt(0)
	v_sub_co_u32 v2, vcc_lo, v2, s18
	v_subrev_co_ci_u32_e32 v3, vcc_lo, 0, v3, vcc_lo
	v_add_co_u32 v5, vcc_lo, s10, v5
	s_delay_alu instid0(VALU_DEP_2)
	v_cmp_lt_i64_e64 s2, v[0:1], v[2:3]
	v_add_co_ci_u32_e32 v6, vcc_lo, s11, v6, vcc_lo
	s_mov_b32 s10, 0
	s_cbranch_scc1 .LBB81_25
; %bb.14:
	v_dual_mov_b32 v22, 0 :: v_dual_mov_b32 v23, 0
	v_mov_b32_e32 v21, 0
	s_and_saveexec_b32 s11, s2
	s_cbranch_execz .LBB81_24
; %bb.15:
	v_or_b32_e32 v9, 8, v19
	v_not_b32_e32 v12, v7
	v_not_b32_e32 v11, v8
	v_mov_b32_e32 v23, 0
	v_dual_mov_b32 v21, 0 :: v_dual_mov_b32 v20, 0
	v_sub_co_u32 v9, s3, v9, s18
	s_delay_alu instid0(VALU_DEP_1) | instskip(SKIP_1) | instid1(VALU_DEP_3)
	v_sub_co_ci_u32_e64 v10, null, 0, 0, s3
	v_sub_co_u32 v13, s3, s18, v19
	v_add_co_u32 v9, vcc_lo, v9, v7
	s_delay_alu instid0(VALU_DEP_3) | instskip(SKIP_2) | instid1(VALU_DEP_2)
	v_add_co_ci_u32_e32 v10, vcc_lo, v10, v8, vcc_lo
	v_sub_co_ci_u32_e64 v14, null, 0, 0, s3
	s_mov_b32 s3, exec_lo
	v_cmp_gt_i64_e32 vcc_lo, v[9:10], v[2:3]
	v_mov_b32_e32 v22, 0
	v_dual_cndmask_b32 v10, v3, v10 :: v_dual_cndmask_b32 v9, v2, v9
	v_add_co_u32 v12, vcc_lo, v13, v12
	v_add_co_ci_u32_e32 v11, vcc_lo, v14, v11, vcc_lo
	s_delay_alu instid0(VALU_DEP_2) | instskip(NEXT) | instid1(VALU_DEP_2)
	v_add_co_u32 v13, vcc_lo, v12, v9
	v_add_co_ci_u32_e32 v14, vcc_lo, v11, v10, vcc_lo
	v_mov_b32_e32 v12, v6
	s_delay_alu instid0(VALU_DEP_3) | instskip(SKIP_1) | instid1(VALU_DEP_2)
	v_lshrrev_b32_e32 v9, 3, v13
	v_mov_b32_e32 v11, v5
	v_add_nc_u32_e32 v9, 1, v9
	s_delay_alu instid0(VALU_DEP_1) | instskip(SKIP_1) | instid1(VALU_DEP_2)
	v_dual_mov_b32 v10, v1 :: v_dual_and_b32 v15, 3, v9
	v_mov_b32_e32 v9, v0
	v_cmpx_ne_u32_e32 0, v15
	s_cbranch_execz .LBB81_19
; %bb.16:
	v_lshlrev_b64 v[9:10], 2, v[0:1]
	v_dual_mov_b32 v16, 0 :: v_dual_lshlrev_b32 v15, 2, v15
	v_dual_mov_b32 v12, v6 :: v_dual_mov_b32 v11, v5
	s_mov_b32 s4, 0
	s_delay_alu instid0(VALU_DEP_3) | instskip(NEXT) | instid1(VALU_DEP_4)
	v_add_co_u32 v17, vcc_lo, s8, v9
	v_add_co_ci_u32_e32 v18, vcc_lo, s9, v10, vcc_lo
	v_dual_mov_b32 v10, v1 :: v_dual_mov_b32 v9, v0
	v_mov_b32_e32 v20, v16
	v_mov_b32_e32 v22, v16
	;; [unrolled: 1-line block ×4, first 2 shown]
.LBB81_17:                              ; =>This Inner Loop Header: Depth=1
	global_load_b32 v28, v[17:18], off
	global_load_b128 v[24:27], v[11:12], off
	s_waitcnt vmcnt(1)
	v_subrev_nc_u32_e32 v28, s18, v28
	s_waitcnt vmcnt(0)
	v_lshrrev_b32_e32 v30, 8, v24
	v_lshrrev_b32_e32 v34, 16, v25
	v_bfe_i32 v35, v26, 0, 8
	v_lshrrev_b32_e32 v36, 8, v26
	v_lshlrev_b32_e32 v28, 2, v28
	v_lshrrev_b32_e32 v31, 16, v24
	v_bfe_i32 v32, v25, 0, 8
	v_lshrrev_b32_e32 v33, 8, v25
	v_lshrrev_b32_e32 v25, 24, v25
	v_ashrrev_i32_e32 v29, 31, v28
	s_waitcnt lgkmcnt(0)
	v_add_co_u32 v28, vcc_lo, s6, v28
	v_lshrrev_b32_e32 v37, 16, v26
	v_bfe_i32 v38, v27, 0, 8
	v_add_co_ci_u32_e32 v29, vcc_lo, s7, v29, vcc_lo
	v_lshrrev_b32_e32 v39, 8, v27
	v_lshrrev_b32_e32 v40, 16, v27
	v_bfe_i32 v30, v30, 0, 8
	global_load_b32 v28, v[28:29], off
	v_bfe_i32 v29, v24, 0, 8
	v_bfe_i32 v34, v34, 0, 8
	;; [unrolled: 1-line block ×4, first 2 shown]
	v_lshrrev_b32_e32 v24, 24, v24
	v_bfe_i32 v29, v29, 0, 16
	v_lshrrev_b32_e32 v26, 24, v26
	v_bfe_i32 v31, v31, 0, 8
	v_bfe_i32 v33, v33, 0, 8
	v_bfe_i32 v25, v25, 0, 8
	v_bfe_i32 v37, v37, 0, 8
	v_bfe_i32 v39, v39, 0, 8
	v_bfe_i32 v40, v40, 0, 8
	v_bfe_i32 v32, v32, 0, 16
	v_bfe_i32 v38, v38, 0, 16
	v_cvt_f32_i32_e32 v29, v29
	v_bfe_i32 v30, v30, 0, 16
	v_bfe_i32 v34, v34, 0, 16
	v_cvt_f32_i32_e32 v35, v35
	v_bfe_i32 v36, v36, 0, 16
	v_lshrrev_b32_e32 v27, 24, v27
	v_bfe_i32 v24, v24, 0, 8
	v_bfe_i32 v26, v26, 0, 8
	;; [unrolled: 1-line block ×3, first 2 shown]
	v_cvt_f32_i32_e32 v32, v32
	v_bfe_i32 v33, v33, 0, 16
	v_bfe_i32 v25, v25, 0, 16
	;; [unrolled: 1-line block ×3, first 2 shown]
	v_cvt_f32_i32_e32 v38, v38
	v_bfe_i32 v39, v39, 0, 16
	v_bfe_i32 v40, v40, 0, 16
	v_cvt_f32_i32_e32 v30, v30
	v_cvt_f32_i32_e32 v34, v34
	;; [unrolled: 1-line block ×3, first 2 shown]
	v_add_co_u32 v11, vcc_lo, 0x80, v11
	v_add_co_ci_u32_e32 v12, vcc_lo, 0, v12, vcc_lo
	v_add_co_u32 v9, vcc_lo, v9, 8
	v_bfe_i32 v27, v27, 0, 8
	v_bfe_i32 v24, v24, 0, 16
	;; [unrolled: 1-line block ×3, first 2 shown]
	v_cvt_f32_i32_e32 v31, v31
	v_cvt_f32_i32_e32 v33, v33
	;; [unrolled: 1-line block ×6, first 2 shown]
	v_add_co_ci_u32_e32 v10, vcc_lo, 0, v10, vcc_lo
	v_add_co_u32 v17, vcc_lo, v17, 32
	v_add_co_ci_u32_e32 v18, vcc_lo, 0, v18, vcc_lo
	v_add_co_u32 v15, vcc_lo, v15, -4
	v_bfe_i32 v27, v27, 0, 16
	v_cvt_f32_i32_e32 v24, v24
	v_cvt_f32_i32_e32 v26, v26
	v_add_co_ci_u32_e32 v16, vcc_lo, -1, v16, vcc_lo
	s_delay_alu instid0(VALU_DEP_4) | instskip(NEXT) | instid1(VALU_DEP_2)
	v_cvt_f32_i32_e32 v27, v27
	v_cmp_eq_u64_e32 vcc_lo, 0, v[15:16]
	s_or_b32 s4, vcc_lo, s4
	s_waitcnt vmcnt(0)
	v_bfe_i32 v41, v28, 0, 8
	v_lshrrev_b32_e32 v42, 8, v28
	v_lshrrev_b32_e32 v43, 16, v28
	v_lshrrev_b32_e32 v28, 24, v28
	s_delay_alu instid0(VALU_DEP_4) | instskip(NEXT) | instid1(VALU_DEP_4)
	v_bfe_i32 v41, v41, 0, 16
	v_bfe_i32 v42, v42, 0, 8
	s_delay_alu instid0(VALU_DEP_4) | instskip(NEXT) | instid1(VALU_DEP_4)
	v_bfe_i32 v43, v43, 0, 8
	v_bfe_i32 v28, v28, 0, 8
	s_delay_alu instid0(VALU_DEP_4) | instskip(NEXT) | instid1(VALU_DEP_4)
	v_cvt_f32_i32_e32 v41, v41
	v_bfe_i32 v42, v42, 0, 16
	s_delay_alu instid0(VALU_DEP_4) | instskip(NEXT) | instid1(VALU_DEP_4)
	v_bfe_i32 v43, v43, 0, 16
	v_bfe_i32 v28, v28, 0, 16
	s_delay_alu instid0(VALU_DEP_4) | instskip(NEXT) | instid1(VALU_DEP_4)
	v_fmac_f32_e32 v21, v29, v41
	v_cvt_f32_i32_e32 v29, v42
	v_fmac_f32_e32 v22, v35, v41
	s_delay_alu instid0(VALU_DEP_4) | instskip(NEXT) | instid1(VALU_DEP_2)
	v_cvt_f32_i32_e32 v28, v28
	v_fmac_f32_e32 v22, v36, v29
	v_fmac_f32_e32 v23, v32, v41
	v_cvt_f32_i32_e32 v32, v43
	v_fmac_f32_e32 v21, v30, v29
	v_fmac_f32_e32 v20, v38, v41
	s_delay_alu instid0(VALU_DEP_3) | instskip(NEXT) | instid1(VALU_DEP_3)
	v_fmac_f32_e32 v22, v37, v32
	v_fmac_f32_e32 v21, v31, v32
	;; [unrolled: 1-line block ×3, first 2 shown]
	s_delay_alu instid0(VALU_DEP_4) | instskip(NEXT) | instid1(VALU_DEP_4)
	v_fmac_f32_e32 v20, v39, v29
	v_fmac_f32_e32 v22, v26, v28
	s_delay_alu instid0(VALU_DEP_4) | instskip(NEXT) | instid1(VALU_DEP_4)
	v_fmac_f32_e32 v21, v24, v28
	v_fmac_f32_e32 v23, v34, v32
	s_delay_alu instid0(VALU_DEP_4) | instskip(NEXT) | instid1(VALU_DEP_2)
	v_fmac_f32_e32 v20, v40, v32
	v_fmac_f32_e32 v23, v25, v28
	s_delay_alu instid0(VALU_DEP_2)
	v_fmac_f32_e32 v20, v27, v28
	s_and_not1_b32 exec_lo, exec_lo, s4
	s_cbranch_execnz .LBB81_17
; %bb.18:
	s_or_b32 exec_lo, exec_lo, s4
.LBB81_19:
	s_delay_alu instid0(SALU_CYCLE_1) | instskip(NEXT) | instid1(SALU_CYCLE_1)
	s_or_b32 exec_lo, exec_lo, s3
	s_mov_b32 s13, exec_lo
	v_cmpx_lt_u64_e32 23, v[13:14]
	s_cbranch_execz .LBB81_23
; %bb.20:
	v_lshlrev_b64 v[13:14], 2, v[9:10]
	s_mov_b32 s14, 0
	s_delay_alu instid0(VALU_DEP_1) | instskip(NEXT) | instid1(VALU_DEP_2)
	v_add_co_u32 v13, vcc_lo, v13, s8
	v_add_co_ci_u32_e32 v14, vcc_lo, s9, v14, vcc_lo
	s_delay_alu instid0(VALU_DEP_2) | instskip(NEXT) | instid1(VALU_DEP_2)
	v_add_co_u32 v13, vcc_lo, v13, 64
	v_add_co_ci_u32_e32 v14, vcc_lo, 0, v14, vcc_lo
.LBB81_21:                              ; =>This Inner Loop Header: Depth=1
	s_clause 0x3
	global_load_b32 v36, v[13:14], off offset:-64
	global_load_b32 v37, v[13:14], off offset:-32
	global_load_b32 v38, v[13:14], off
	global_load_b32 v39, v[13:14], off offset:32
	s_clause 0x3
	global_load_b128 v[15:18], v[11:12], off
	global_load_b128 v[24:27], v[11:12], off offset:128
	global_load_b128 v[28:31], v[11:12], off offset:256
	;; [unrolled: 1-line block ×3, first 2 shown]
	v_add_co_u32 v11, vcc_lo, 0x200, v11
	v_add_co_ci_u32_e32 v12, vcc_lo, 0, v12, vcc_lo
	v_add_co_u32 v9, vcc_lo, v9, 32
	v_add_co_ci_u32_e32 v10, vcc_lo, 0, v10, vcc_lo
	;; [unrolled: 2-line block ×3, first 2 shown]
	s_waitcnt vmcnt(7)
	v_subrev_nc_u32_e32 v36, s18, v36
	s_waitcnt vmcnt(3)
	v_lshrrev_b32_e32 v51, 8, v17
	v_bfe_i32 v50, v17, 0, 8
	v_bfe_i32 v53, v18, 0, 8
	;; [unrolled: 1-line block ×3, first 2 shown]
	v_lshrrev_b32_e32 v43, 8, v15
	v_bfe_i32 v51, v51, 0, 8
	v_bfe_i32 v50, v50, 0, 16
	v_lshrrev_b32_e32 v44, 16, v15
	v_lshrrev_b32_e32 v45, 24, v15
	v_subrev_nc_u32_e32 v15, s18, v37
	v_bfe_i32 v53, v53, 0, 16
	v_bfe_i32 v46, v16, 0, 8
	v_lshrrev_b32_e32 v47, 8, v16
	v_lshrrev_b32_e32 v48, 16, v16
	;; [unrolled: 1-line block ×3, first 2 shown]
	v_subrev_nc_u32_e32 v16, s18, v38
	v_bfe_i32 v42, v42, 0, 16
	v_subrev_nc_u32_e32 v37, s18, v39
	v_bfe_i32 v51, v51, 0, 16
	v_cvt_f32_i32_e32 v50, v50
	v_lshlrev_b32_e32 v39, 2, v36
	v_cvt_f32_i32_e32 v53, v53
	v_lshlrev_b32_e32 v15, 2, v15
	;; [unrolled: 2-line block ×4, first 2 shown]
	v_ashrrev_i32_e32 v41, 31, v39
	v_ashrrev_i32_e32 v56, 31, v15
	;; [unrolled: 1-line block ×3, first 2 shown]
	s_waitcnt lgkmcnt(0)
	v_add_co_u32 v40, s5, s6, v39
	v_ashrrev_i32_e32 v58, 31, v37
	v_add_co_u32 v15, vcc_lo, s6, v15
	v_add_co_u32 v36, s3, s6, v16
	v_add_co_ci_u32_e64 v41, s5, s7, v41, s5
	v_add_co_u32 v38, s4, s6, v37
	v_add_co_ci_u32_e32 v16, vcc_lo, s7, v56, vcc_lo
	v_add_co_ci_u32_e64 v37, vcc_lo, s7, v57, s3
	v_add_co_ci_u32_e64 v39, vcc_lo, s7, v58, s4
	s_clause 0x3
	global_load_b32 v40, v[40:41], off
	global_load_b32 v15, v[15:16], off
	;; [unrolled: 1-line block ×4, first 2 shown]
	v_lshrrev_b32_e32 v52, 16, v17
	v_lshrrev_b32_e32 v17, 24, v17
	v_bfe_i32 v46, v46, 0, 16
	v_lshrrev_b32_e32 v54, 8, v18
	v_bfe_i32 v43, v43, 0, 8
	v_bfe_i32 v52, v52, 0, 8
	;; [unrolled: 1-line block ×3, first 2 shown]
	v_cvt_f32_i32_e32 v46, v46
	v_lshrrev_b32_e32 v55, 16, v18
	s_waitcnt vmcnt(6)
	v_bfe_i32 v58, v26, 0, 8
	v_bfe_i32 v52, v52, 0, 16
	;; [unrolled: 1-line block ×6, first 2 shown]
	v_cvt_f32_i32_e32 v52, v52
	v_lshrrev_b32_e32 v18, 24, v18
	v_bfe_i32 v45, v45, 0, 8
	v_bfe_i32 v47, v47, 0, 8
	;; [unrolled: 1-line block ×6, first 2 shown]
	v_cvt_f32_i32_e32 v43, v43
	v_cvt_f32_i32_e32 v17, v17
	v_bfe_i32 v48, v48, 0, 8
	v_bfe_i32 v49, v49, 0, 8
	;; [unrolled: 1-line block ×6, first 2 shown]
	v_cvt_f32_i32_e32 v58, v58
	v_cvt_f32_i32_e32 v44, v44
	;; [unrolled: 1-line block ×3, first 2 shown]
	v_lshrrev_b32_e32 v59, 8, v26
	v_bfe_i32 v61, v27, 0, 8
	v_lshrrev_b32_e32 v62, 8, v27
	v_bfe_i32 v48, v48, 0, 16
	v_bfe_i32 v49, v49, 0, 16
	v_bfe_i32 v18, v18, 0, 16
	v_cvt_f32_i32_e32 v45, v45
	v_cvt_f32_i32_e32 v47, v47
	v_cvt_f32_i32_e32 v55, v55
	v_bfe_i32 v37, v24, 0, 8
	v_lshrrev_b32_e32 v38, 8, v24
	v_bfe_i32 v41, v25, 0, 8
	v_lshrrev_b32_e32 v56, 8, v25
	v_lshrrev_b32_e32 v60, 16, v26
	;; [unrolled: 1-line block ×3, first 2 shown]
	v_bfe_i32 v59, v59, 0, 8
	v_bfe_i32 v62, v62, 0, 8
	;; [unrolled: 1-line block ×3, first 2 shown]
	v_cvt_f32_i32_e32 v48, v48
	v_cvt_f32_i32_e32 v49, v49
	;; [unrolled: 1-line block ×3, first 2 shown]
	v_lshrrev_b32_e32 v39, 16, v24
	v_lshrrev_b32_e32 v57, 16, v25
	;; [unrolled: 1-line block ×4, first 2 shown]
	v_bfe_i32 v38, v38, 0, 8
	v_bfe_i32 v56, v56, 0, 8
	;; [unrolled: 1-line block ×7, first 2 shown]
	v_cvt_f32_i32_e32 v61, v61
	v_bfe_i32 v62, v62, 0, 16
	v_lshrrev_b32_e32 v24, 24, v24
	v_lshrrev_b32_e32 v25, 24, v25
	v_bfe_i32 v39, v39, 0, 8
	v_bfe_i32 v57, v57, 0, 8
	v_bfe_i32 v26, v26, 0, 8
	v_bfe_i32 v27, v27, 0, 8
	v_cvt_f32_i32_e32 v37, v37
	v_bfe_i32 v38, v38, 0, 16
	v_cvt_f32_i32_e32 v41, v41
	v_bfe_i32 v56, v56, 0, 16
	v_bfe_i32 v60, v60, 0, 16
	v_bfe_i32 v63, v63, 0, 16
	v_cvt_f32_i32_e32 v59, v59
	v_cvt_f32_i32_e32 v62, v62
	s_waitcnt vmcnt(5)
	v_lshrrev_b32_e32 v66, 16, v28
	v_lshrrev_b32_e32 v69, 16, v29
	v_bfe_i32 v70, v30, 0, 8
	v_lshrrev_b32_e32 v71, 8, v30
	v_lshrrev_b32_e32 v72, 16, v30
	v_bfe_i32 v73, v31, 0, 8
	;; [unrolled: 3-line block ×3, first 2 shown]
	v_bfe_i32 v25, v25, 0, 8
	v_bfe_i32 v39, v39, 0, 16
	v_bfe_i32 v57, v57, 0, 16
	v_bfe_i32 v26, v26, 0, 16
	v_bfe_i32 v27, v27, 0, 16
	v_cvt_f32_i32_e32 v38, v38
	v_cvt_f32_i32_e32 v56, v56
	;; [unrolled: 1-line block ×4, first 2 shown]
	v_bfe_i32 v66, v66, 0, 8
	v_bfe_i32 v69, v69, 0, 8
	;; [unrolled: 1-line block ×10, first 2 shown]
	v_cvt_f32_i32_e32 v39, v39
	v_cvt_f32_i32_e32 v57, v57
	;; [unrolled: 1-line block ×4, first 2 shown]
	v_bfe_i32 v64, v28, 0, 8
	v_lshrrev_b32_e32 v65, 8, v28
	v_bfe_i32 v67, v29, 0, 8
	v_lshrrev_b32_e32 v68, 8, v29
	s_waitcnt vmcnt(4)
	v_bfe_i32 v76, v32, 0, 8
	v_bfe_i32 v79, v33, 0, 8
	;; [unrolled: 1-line block ×4, first 2 shown]
	v_cvt_f32_i32_e32 v70, v70
	v_bfe_i32 v71, v71, 0, 16
	v_bfe_i32 v72, v72, 0, 16
	v_cvt_f32_i32_e32 v73, v73
	v_bfe_i32 v74, v74, 0, 16
	v_bfe_i32 v75, v75, 0, 16
	v_cvt_f32_i32_e32 v24, v24
	v_cvt_f32_i32_e32 v25, v25
	v_bfe_i32 v82, v34, 0, 8
	v_lshrrev_b32_e32 v84, 16, v34
	v_bfe_i32 v85, v35, 0, 8
	v_lshrrev_b32_e32 v87, 16, v35
	v_bfe_i32 v65, v65, 0, 8
	v_bfe_i32 v68, v68, 0, 8
	;; [unrolled: 1-line block ×6, first 2 shown]
	v_cvt_f32_i32_e32 v66, v66
	v_cvt_f32_i32_e32 v69, v69
	;; [unrolled: 1-line block ×6, first 2 shown]
	v_lshrrev_b32_e32 v28, 24, v28
	v_lshrrev_b32_e32 v29, 24, v29
	v_bfe_i32 v84, v84, 0, 8
	v_bfe_i32 v87, v87, 0, 8
	;; [unrolled: 1-line block ×4, first 2 shown]
	v_cvt_f32_i32_e32 v64, v64
	v_bfe_i32 v65, v65, 0, 16
	v_cvt_f32_i32_e32 v67, v67
	v_bfe_i32 v68, v68, 0, 16
	v_cvt_f32_i32_e32 v76, v76
	v_cvt_f32_i32_e32 v79, v79
	v_lshrrev_b32_e32 v30, 24, v30
	v_lshrrev_b32_e32 v31, 24, v31
	v_bfe_i32 v28, v28, 0, 8
	v_bfe_i32 v29, v29, 0, 8
	v_cvt_f32_i32_e32 v82, v82
	v_bfe_i32 v84, v84, 0, 16
	v_cvt_f32_i32_e32 v85, v85
	;; [unrolled: 2-line block ×3, first 2 shown]
	v_cvt_f32_i32_e32 v68, v68
	v_lshrrev_b32_e32 v77, 8, v32
	v_lshrrev_b32_e32 v78, 16, v32
	;; [unrolled: 1-line block ×4, first 2 shown]
	v_bfe_i32 v30, v30, 0, 8
	v_bfe_i32 v31, v31, 0, 8
	;; [unrolled: 1-line block ×4, first 2 shown]
	v_cvt_f32_i32_e32 v84, v84
	v_cvt_f32_i32_e32 v87, v87
	v_bfe_i32 v77, v77, 0, 8
	v_bfe_i32 v78, v78, 0, 8
	;; [unrolled: 1-line block ×6, first 2 shown]
	v_cvt_f32_i32_e32 v28, v28
	v_cvt_f32_i32_e32 v29, v29
	v_lshrrev_b32_e32 v83, 8, v34
	v_lshrrev_b32_e32 v86, 8, v35
	v_bfe_i32 v77, v77, 0, 16
	v_bfe_i32 v78, v78, 0, 16
	;; [unrolled: 1-line block ×4, first 2 shown]
	v_cvt_f32_i32_e32 v30, v30
	v_cvt_f32_i32_e32 v31, v31
	v_bfe_i32 v83, v83, 0, 8
	v_bfe_i32 v86, v86, 0, 8
	v_cvt_f32_i32_e32 v77, v77
	v_cvt_f32_i32_e32 v78, v78
	;; [unrolled: 1-line block ×4, first 2 shown]
	v_lshrrev_b32_e32 v32, 24, v32
	v_lshrrev_b32_e32 v33, 24, v33
	;; [unrolled: 1-line block ×4, first 2 shown]
	v_bfe_i32 v83, v83, 0, 16
	v_bfe_i32 v86, v86, 0, 16
	;; [unrolled: 1-line block ×6, first 2 shown]
	v_cvt_f32_i32_e32 v83, v83
	v_cvt_f32_i32_e32 v86, v86
	v_bfe_i32 v32, v32, 0, 16
	v_bfe_i32 v33, v33, 0, 16
	;; [unrolled: 1-line block ×4, first 2 shown]
	v_cmp_ge_i64_e32 vcc_lo, v[9:10], v[2:3]
	v_cvt_f32_i32_e32 v32, v32
	v_cvt_f32_i32_e32 v33, v33
	;; [unrolled: 1-line block ×4, first 2 shown]
	s_or_b32 s14, vcc_lo, s14
	s_waitcnt vmcnt(3)
	v_bfe_i32 v89, v40, 0, 8
	v_lshrrev_b32_e32 v90, 8, v40
	v_lshrrev_b32_e32 v88, 16, v40
	v_lshrrev_b32_e32 v40, 24, v40
	s_waitcnt vmcnt(2)
	v_bfe_i32 v92, v15, 0, 8
	v_bfe_i32 v89, v89, 0, 16
	;; [unrolled: 1-line block ×6, first 2 shown]
	v_cvt_f32_i32_e32 v89, v89
	v_bfe_i32 v90, v90, 0, 16
	v_bfe_i32 v88, v88, 0, 16
	;; [unrolled: 1-line block ×3, first 2 shown]
	v_cvt_f32_i32_e32 v92, v92
	v_fmac_f32_e32 v21, v42, v89
	v_cvt_f32_i32_e32 v42, v90
	v_fmac_f32_e32 v22, v50, v89
	;; [unrolled: 2-line block ×3, first 2 shown]
	v_lshrrev_b32_e32 v93, 8, v15
	v_lshrrev_b32_e32 v91, 16, v15
	v_dual_fmac_f32 v22, v51, v42 :: v_dual_fmac_f32 v23, v46, v89
	v_cvt_f32_i32_e32 v46, v88
	s_delay_alu instid0(VALU_DEP_4)
	v_bfe_i32 v93, v93, 0, 8
	v_lshrrev_b32_e32 v15, 24, v15
	v_bfe_i32 v91, v91, 0, 8
	s_waitcnt vmcnt(1)
	v_lshrrev_b32_e32 v94, 16, v16
	v_fmac_f32_e32 v22, v52, v46
	v_fmac_f32_e32 v21, v43, v42
	v_bfe_i32 v93, v93, 0, 16
	v_bfe_i32 v15, v15, 0, 8
	;; [unrolled: 1-line block ×3, first 2 shown]
	s_delay_alu instid0(VALU_DEP_4) | instskip(NEXT) | instid1(VALU_DEP_4)
	v_dual_fmac_f32 v22, v17, v40 :: v_dual_fmac_f32 v21, v44, v46
	v_cvt_f32_i32_e32 v17, v93
	v_bfe_i32 v95, v16, 0, 8
	v_lshrrev_b32_e32 v96, 8, v16
	s_delay_alu instid0(VALU_DEP_4) | instskip(SKIP_2) | instid1(VALU_DEP_4)
	v_fmac_f32_e32 v22, v58, v92
	v_dual_fmac_f32 v20, v54, v42 :: v_dual_fmac_f32 v21, v45, v40
	v_bfe_i32 v15, v15, 0, 16
	v_bfe_i32 v96, v96, 0, 8
	s_delay_alu instid0(VALU_DEP_4) | instskip(NEXT) | instid1(VALU_DEP_4)
	v_fmac_f32_e32 v22, v59, v17
	v_fmac_f32_e32 v20, v55, v46
	;; [unrolled: 1-line block ×4, first 2 shown]
	v_bfe_i32 v94, v94, 0, 8
	v_bfe_i32 v95, v95, 0, 16
	s_delay_alu instid0(VALU_DEP_4) | instskip(SKIP_3) | instid1(VALU_DEP_4)
	v_dual_fmac_f32 v20, v18, v40 :: v_dual_fmac_f32 v23, v48, v46
	v_cvt_f32_i32_e32 v18, v91
	v_fmac_f32_e32 v21, v38, v17
	v_cvt_f32_i32_e32 v15, v15
	v_fmac_f32_e32 v20, v61, v92
	s_delay_alu instid0(VALU_DEP_4) | instskip(SKIP_3) | instid1(VALU_DEP_3)
	v_dual_fmac_f32 v23, v49, v40 :: v_dual_fmac_f32 v22, v60, v18
	s_waitcnt vmcnt(0)
	v_bfe_i32 v98, v36, 0, 8
	v_cvt_f32_i32_e32 v95, v95
	v_dual_fmac_f32 v20, v62, v17 :: v_dual_fmac_f32 v23, v41, v92
	v_bfe_i32 v96, v96, 0, 16
	v_bfe_i32 v94, v94, 0, 16
	v_dual_fmac_f32 v21, v39, v18 :: v_dual_fmac_f32 v22, v26, v15
	s_delay_alu instid0(VALU_DEP_4) | instskip(SKIP_3) | instid1(VALU_DEP_4)
	v_dual_fmac_f32 v23, v56, v17 :: v_dual_fmac_f32 v20, v63, v18
	v_lshrrev_b32_e32 v97, 16, v36
	v_bfe_i32 v98, v98, 0, 16
	v_lshrrev_b32_e32 v16, 24, v16
	v_dual_fmac_f32 v23, v57, v18 :: v_dual_fmac_f32 v20, v27, v15
	v_cvt_f32_i32_e32 v18, v94
	v_fmac_f32_e32 v21, v24, v15
	v_fmac_f32_e32 v22, v70, v95
	s_delay_alu instid0(VALU_DEP_4)
	v_fmac_f32_e32 v23, v25, v15
	v_cvt_f32_i32_e32 v15, v96
	v_fmac_f32_e32 v20, v73, v95
	v_bfe_i32 v97, v97, 0, 8
	v_cvt_f32_i32_e32 v98, v98
	v_bfe_i32 v16, v16, 0, 8
	v_fmac_f32_e32 v22, v71, v15
	v_fmac_f32_e32 v20, v74, v15
	v_bfe_i32 v17, v97, 0, 16
	v_lshrrev_b32_e32 v99, 8, v36
	v_bfe_i32 v16, v16, 0, 16
	v_dual_fmac_f32 v22, v72, v18 :: v_dual_fmac_f32 v23, v67, v95
	v_dual_fmac_f32 v20, v75, v18 :: v_dual_fmac_f32 v21, v64, v95
	v_cvt_f32_i32_e32 v17, v17
	v_bfe_i32 v99, v99, 0, 8
	s_delay_alu instid0(VALU_DEP_4)
	v_fmac_f32_e32 v23, v68, v15
	v_lshrrev_b32_e32 v36, 24, v36
	v_fmac_f32_e32 v21, v65, v15
	v_cvt_f32_i32_e32 v15, v16
	v_bfe_i32 v42, v99, 0, 16
	v_fmac_f32_e32 v23, v69, v18
	v_bfe_i32 v36, v36, 0, 8
	v_fmac_f32_e32 v21, v66, v18
	v_fmac_f32_e32 v22, v30, v15
	;; [unrolled: 1-line block ×4, first 2 shown]
	v_bfe_i32 v16, v36, 0, 16
	v_fmac_f32_e32 v21, v28, v15
	v_cvt_f32_i32_e32 v15, v42
	s_delay_alu instid0(VALU_DEP_4) | instskip(NEXT) | instid1(VALU_DEP_3)
	v_fmac_f32_e32 v23, v79, v98
	v_fmac_f32_e32 v21, v76, v98
	s_delay_alu instid0(VALU_DEP_2) | instskip(NEXT) | instid1(VALU_DEP_2)
	v_fmac_f32_e32 v23, v80, v15
	v_fmac_f32_e32 v21, v77, v15
	s_delay_alu instid0(VALU_DEP_2) | instskip(NEXT) | instid1(VALU_DEP_2)
	v_dual_fmac_f32 v23, v81, v17 :: v_dual_fmac_f32 v22, v82, v98
	v_dual_fmac_f32 v21, v78, v17 :: v_dual_fmac_f32 v20, v85, v98
	s_delay_alu instid0(VALU_DEP_2) | instskip(NEXT) | instid1(VALU_DEP_2)
	v_fmac_f32_e32 v22, v83, v15
	v_fmac_f32_e32 v20, v86, v15
	v_cvt_f32_i32_e32 v15, v16
	s_delay_alu instid0(VALU_DEP_3) | instskip(NEXT) | instid1(VALU_DEP_2)
	v_fmac_f32_e32 v22, v84, v17
	v_dual_fmac_f32 v20, v87, v17 :: v_dual_fmac_f32 v21, v32, v15
	v_fmac_f32_e32 v23, v33, v15
	s_delay_alu instid0(VALU_DEP_3) | instskip(NEXT) | instid1(VALU_DEP_3)
	v_fmac_f32_e32 v22, v34, v15
	v_fmac_f32_e32 v20, v35, v15
	s_and_not1_b32 exec_lo, exec_lo, s14
	s_cbranch_execnz .LBB81_21
; %bb.22:
	s_or_b32 exec_lo, exec_lo, s14
.LBB81_23:
	s_delay_alu instid0(SALU_CYCLE_1)
	s_or_b32 exec_lo, exec_lo, s13
.LBB81_24:
	s_delay_alu instid0(SALU_CYCLE_1) | instskip(NEXT) | instid1(SALU_CYCLE_1)
	s_or_b32 exec_lo, exec_lo, s11
	s_and_not1_b32 vcc_lo, exec_lo, s10
	s_cbranch_vccz .LBB81_26
	s_branch .LBB81_37
.LBB81_25:
                                        ; implicit-def: $vgpr20
                                        ; implicit-def: $vgpr22
                                        ; implicit-def: $vgpr23
                                        ; implicit-def: $vgpr21
.LBB81_26:
	v_dual_mov_b32 v20, 0 :: v_dual_mov_b32 v23, 0
	v_dual_mov_b32 v22, 0 :: v_dual_mov_b32 v21, 0
	s_and_saveexec_b32 s5, s2
	s_cbranch_execz .LBB81_36
; %bb.27:
	v_or_b32_e32 v9, 8, v19
	v_mov_b32_e32 v21, 0
	v_dual_mov_b32 v23, 0 :: v_dual_mov_b32 v22, 0
	v_mov_b32_e32 v20, 0
	s_delay_alu instid0(VALU_DEP_4) | instskip(NEXT) | instid1(VALU_DEP_1)
	v_sub_co_u32 v9, s2, v9, s18
	v_sub_co_ci_u32_e64 v10, null, 0, 0, s2
	v_sub_co_u32 v11, s2, s18, v19
	s_delay_alu instid0(VALU_DEP_3) | instskip(NEXT) | instid1(VALU_DEP_3)
	v_add_co_u32 v9, vcc_lo, v9, v7
	v_add_co_ci_u32_e32 v10, vcc_lo, v10, v8, vcc_lo
	v_not_b32_e32 v7, v7
	v_not_b32_e32 v8, v8
	v_sub_co_ci_u32_e64 v12, null, 0, 0, s2
	s_delay_alu instid0(VALU_DEP_4) | instskip(SKIP_4) | instid1(VALU_DEP_2)
	v_cmp_gt_i64_e32 vcc_lo, v[9:10], v[2:3]
	s_mov_b32 s2, exec_lo
	v_dual_cndmask_b32 v10, v3, v10 :: v_dual_cndmask_b32 v9, v2, v9
	v_add_co_u32 v7, vcc_lo, v11, v7
	v_add_co_ci_u32_e32 v8, vcc_lo, v12, v8, vcc_lo
	v_add_co_u32 v7, vcc_lo, v7, v9
	s_delay_alu instid0(VALU_DEP_2) | instskip(NEXT) | instid1(VALU_DEP_2)
	v_add_co_ci_u32_e32 v8, vcc_lo, v8, v10, vcc_lo
	v_lshrrev_b32_e32 v9, 3, v7
	s_delay_alu instid0(VALU_DEP_1) | instskip(NEXT) | instid1(VALU_DEP_1)
	v_add_nc_u32_e32 v9, 1, v9
	v_and_b32_e32 v9, 3, v9
	s_delay_alu instid0(VALU_DEP_1)
	v_cmpx_ne_u32_e32 0, v9
	s_cbranch_execz .LBB81_31
; %bb.28:
	v_lshlrev_b64 v[11:12], 2, v[0:1]
	v_dual_mov_b32 v10, 0 :: v_dual_lshlrev_b32 v9, 2, v9
	s_mov_b32 s3, 0
	s_delay_alu instid0(VALU_DEP_1) | instskip(NEXT) | instid1(VALU_DEP_3)
	v_mov_b32_e32 v20, v10
	v_add_co_u32 v11, vcc_lo, s8, v11
	s_delay_alu instid0(VALU_DEP_4)
	v_add_co_ci_u32_e32 v12, vcc_lo, s9, v12, vcc_lo
	v_mov_b32_e32 v22, v10
	v_mov_b32_e32 v23, v10
	;; [unrolled: 1-line block ×3, first 2 shown]
.LBB81_29:                              ; =>This Inner Loop Header: Depth=1
	global_load_b32 v17, v[11:12], off
	global_load_b128 v[13:16], v[5:6], off
	s_waitcnt vmcnt(1)
	v_subrev_nc_u32_e32 v17, s18, v17
	s_waitcnt vmcnt(0)
	v_lshrrev_b32_e32 v25, 16, v13
	v_lshrrev_b32_e32 v24, 8, v13
	;; [unrolled: 1-line block ×3, first 2 shown]
	v_bfe_i32 v26, v14, 0, 8
	v_lshrrev_b32_e32 v27, 8, v14
	v_bfe_i32 v25, v25, 0, 8
	v_lshrrev_b32_e32 v14, 24, v14
	v_bfe_i32 v24, v24, 0, 8
	v_bfe_i32 v28, v28, 0, 8
	;; [unrolled: 1-line block ×4, first 2 shown]
	v_lshrrev_b32_e32 v30, 8, v15
	v_lshrrev_b32_e32 v31, 16, v15
	;; [unrolled: 1-line block ×3, first 2 shown]
	v_bfe_i32 v27, v27, 0, 8
	v_cvt_f32_i32_e32 v25, v25
	v_lshlrev_b32_e32 v17, 2, v17
	v_bfe_i32 v14, v14, 0, 8
	v_bfe_i32 v26, v26, 0, 16
	;; [unrolled: 1-line block ×4, first 2 shown]
	v_ashrrev_i32_e32 v18, 31, v17
	s_waitcnt lgkmcnt(0)
	v_add_co_u32 v17, vcc_lo, s6, v17
	v_bfe_i32 v32, v16, 0, 8
	v_lshrrev_b32_e32 v33, 8, v16
	v_add_co_ci_u32_e32 v18, vcc_lo, s7, v18, vcc_lo
	v_lshrrev_b32_e32 v34, 16, v16
	v_lshrrev_b32_e32 v16, 24, v16
	v_bfe_i32 v30, v30, 0, 8
	global_load_b32 v17, v[17:18], off
	v_bfe_i32 v18, v13, 0, 8
	v_lshrrev_b32_e32 v13, 24, v13
	v_bfe_i32 v31, v31, 0, 8
	v_bfe_i32 v15, v15, 0, 8
	v_cvt_f32_i32_e32 v26, v26
	v_bfe_i32 v18, v18, 0, 16
	v_bfe_i32 v13, v13, 0, 8
	;; [unrolled: 1-line block ×4, first 2 shown]
	v_cvt_f32_i32_e32 v24, v24
	v_cvt_f32_i32_e32 v18, v18
	v_bfe_i32 v13, v13, 0, 16
	v_cvt_f32_i32_e32 v28, v28
	v_add_co_u32 v5, vcc_lo, 0x80, v5
	v_add_co_ci_u32_e32 v6, vcc_lo, 0, v6, vcc_lo
	s_delay_alu instid0(VALU_DEP_4)
	v_cvt_f32_i32_e32 v13, v13
	v_add_co_u32 v0, vcc_lo, v0, 8
	v_bfe_i32 v33, v33, 0, 8
	v_bfe_i32 v34, v34, 0, 8
	;; [unrolled: 1-line block ×7, first 2 shown]
	v_cvt_f32_i32_e32 v27, v27
	v_cvt_f32_i32_e32 v14, v14
	v_add_co_ci_u32_e32 v1, vcc_lo, 0, v1, vcc_lo
	v_add_co_u32 v11, vcc_lo, v11, 32
	v_add_co_ci_u32_e32 v12, vcc_lo, 0, v12, vcc_lo
	v_add_co_u32 v9, vcc_lo, v9, -4
	v_bfe_i32 v32, v32, 0, 16
	v_cvt_f32_i32_e32 v29, v29
	v_bfe_i32 v33, v33, 0, 16
	v_bfe_i32 v34, v34, 0, 16
	;; [unrolled: 1-line block ×3, first 2 shown]
	v_cvt_f32_i32_e32 v30, v30
	v_cvt_f32_i32_e32 v31, v31
	;; [unrolled: 1-line block ×3, first 2 shown]
	v_add_co_ci_u32_e32 v10, vcc_lo, -1, v10, vcc_lo
	v_cvt_f32_i32_e32 v32, v32
	v_cvt_f32_i32_e32 v33, v33
	;; [unrolled: 1-line block ×4, first 2 shown]
	v_cmp_eq_u64_e32 vcc_lo, 0, v[9:10]
	s_or_b32 s3, vcc_lo, s3
	s_waitcnt vmcnt(0)
	v_bfe_i32 v35, v17, 0, 8
	v_lshrrev_b32_e32 v36, 8, v17
	v_lshrrev_b32_e32 v37, 16, v17
	;; [unrolled: 1-line block ×3, first 2 shown]
	s_delay_alu instid0(VALU_DEP_4) | instskip(NEXT) | instid1(VALU_DEP_4)
	v_bfe_i32 v35, v35, 0, 16
	v_bfe_i32 v36, v36, 0, 8
	s_delay_alu instid0(VALU_DEP_4) | instskip(NEXT) | instid1(VALU_DEP_4)
	v_bfe_i32 v37, v37, 0, 8
	v_bfe_i32 v17, v17, 0, 8
	s_delay_alu instid0(VALU_DEP_4) | instskip(NEXT) | instid1(VALU_DEP_4)
	v_cvt_f32_i32_e32 v35, v35
	v_bfe_i32 v36, v36, 0, 16
	s_delay_alu instid0(VALU_DEP_4) | instskip(NEXT) | instid1(VALU_DEP_4)
	v_bfe_i32 v37, v37, 0, 16
	v_bfe_i32 v17, v17, 0, 16
	s_delay_alu instid0(VALU_DEP_4) | instskip(SKIP_2) | instid1(VALU_DEP_1)
	v_fmac_f32_e32 v22, v25, v35
	v_fmac_f32_e32 v21, v18, v35
	v_cvt_f32_i32_e32 v18, v36
	v_fmac_f32_e32 v22, v28, v18
	s_delay_alu instid0(VALU_DEP_3) | instskip(SKIP_2) | instid1(VALU_DEP_3)
	v_dual_fmac_f32 v20, v13, v35 :: v_dual_fmac_f32 v21, v26, v18
	v_fmac_f32_e32 v23, v24, v35
	v_cvt_f32_i32_e32 v13, v37
	v_fmac_f32_e32 v20, v14, v18
	v_cvt_f32_i32_e32 v14, v17
	s_delay_alu instid0(VALU_DEP_4) | instskip(NEXT) | instid1(VALU_DEP_4)
	v_fmac_f32_e32 v23, v27, v18
	v_fmac_f32_e32 v22, v31, v13
	;; [unrolled: 1-line block ×4, first 2 shown]
	s_delay_alu instid0(VALU_DEP_4) | instskip(NEXT) | instid1(VALU_DEP_4)
	v_fmac_f32_e32 v23, v30, v13
	v_fmac_f32_e32 v22, v34, v14
	s_delay_alu instid0(VALU_DEP_4) | instskip(NEXT) | instid1(VALU_DEP_4)
	v_fmac_f32_e32 v21, v32, v14
	v_fmac_f32_e32 v20, v16, v14
	s_delay_alu instid0(VALU_DEP_4)
	v_fmac_f32_e32 v23, v33, v14
	s_and_not1_b32 exec_lo, exec_lo, s3
	s_cbranch_execnz .LBB81_29
; %bb.30:
	s_or_b32 exec_lo, exec_lo, s3
.LBB81_31:
	s_delay_alu instid0(SALU_CYCLE_1) | instskip(NEXT) | instid1(SALU_CYCLE_1)
	s_or_b32 exec_lo, exec_lo, s2
	s_mov_b32 s10, exec_lo
	v_cmpx_lt_u64_e32 23, v[7:8]
	s_cbranch_execz .LBB81_35
; %bb.32:
	v_lshlrev_b64 v[7:8], 2, v[0:1]
	s_delay_alu instid0(VALU_DEP_1) | instskip(NEXT) | instid1(VALU_DEP_2)
	v_add_co_u32 v7, vcc_lo, v7, s8
	v_add_co_ci_u32_e32 v8, vcc_lo, s9, v8, vcc_lo
	s_mov_b32 s8, 0
	s_delay_alu instid0(VALU_DEP_2) | instskip(NEXT) | instid1(VALU_DEP_2)
	v_add_co_u32 v7, vcc_lo, v7, 64
	v_add_co_ci_u32_e32 v8, vcc_lo, 0, v8, vcc_lo
.LBB81_33:                              ; =>This Inner Loop Header: Depth=1
	s_clause 0x3
	global_load_b32 v17, v[7:8], off offset:-64
	global_load_b32 v18, v[7:8], off offset:-32
	global_load_b32 v32, v[7:8], off
	global_load_b32 v33, v[7:8], off offset:32
	s_clause 0x3
	global_load_b128 v[9:12], v[5:6], off
	global_load_b128 v[13:16], v[5:6], off offset:128
	global_load_b128 v[24:27], v[5:6], off offset:256
	;; [unrolled: 1-line block ×3, first 2 shown]
	v_add_co_u32 v5, vcc_lo, 0x200, v5
	v_add_co_ci_u32_e32 v6, vcc_lo, 0, v6, vcc_lo
	v_add_co_u32 v0, vcc_lo, v0, 32
	v_add_co_ci_u32_e32 v1, vcc_lo, 0, v1, vcc_lo
	;; [unrolled: 2-line block ×3, first 2 shown]
	s_waitcnt vmcnt(7)
	v_subrev_nc_u32_e32 v17, s18, v17
	s_waitcnt vmcnt(3)
	v_lshrrev_b32_e32 v38, 16, v9
	v_lshrrev_b32_e32 v39, 24, v9
	;; [unrolled: 1-line block ×3, first 2 shown]
	v_bfe_i32 v36, v9, 0, 8
	v_subrev_nc_u32_e32 v9, s18, v18
	v_bfe_i32 v38, v38, 0, 8
	v_bfe_i32 v39, v39, 0, 8
	;; [unrolled: 1-line block ×4, first 2 shown]
	v_lshrrev_b32_e32 v41, 8, v10
	v_bfe_i32 v38, v38, 0, 16
	v_bfe_i32 v39, v39, 0, 16
	v_lshrrev_b32_e32 v42, 16, v10
	v_lshrrev_b32_e32 v43, 24, v10
	v_subrev_nc_u32_e32 v10, s18, v32
	v_bfe_i32 v36, v36, 0, 16
	v_subrev_nc_u32_e32 v18, s18, v33
	v_bfe_i32 v37, v37, 0, 16
	v_cvt_f32_i32_e32 v38, v38
	v_lshlrev_b32_e32 v33, 2, v17
	v_cvt_f32_i32_e32 v39, v39
	v_lshlrev_b32_e32 v9, 2, v9
	;; [unrolled: 2-line block ×4, first 2 shown]
	v_ashrrev_i32_e32 v35, 31, v33
	v_ashrrev_i32_e32 v50, 31, v9
	;; [unrolled: 1-line block ×3, first 2 shown]
	s_waitcnt lgkmcnt(0)
	v_add_co_u32 v34, s4, s6, v33
	v_ashrrev_i32_e32 v52, 31, v18
	v_add_co_u32 v9, vcc_lo, s6, v9
	v_add_co_u32 v17, s2, s6, v10
	v_add_co_ci_u32_e64 v35, s4, s7, v35, s4
	v_add_co_u32 v32, s3, s6, v18
	v_add_co_ci_u32_e32 v10, vcc_lo, s7, v50, vcc_lo
	v_add_co_ci_u32_e64 v18, vcc_lo, s7, v51, s2
	v_add_co_ci_u32_e64 v33, vcc_lo, s7, v52, s3
	s_clause 0x3
	global_load_b32 v34, v[34:35], off
	global_load_b32 v9, v[9:10], off
	;; [unrolled: 1-line block ×4, first 2 shown]
	v_bfe_i32 v44, v11, 0, 8
	v_lshrrev_b32_e32 v45, 8, v11
	v_lshrrev_b32_e32 v46, 16, v11
	;; [unrolled: 1-line block ×3, first 2 shown]
	v_bfe_i32 v43, v43, 0, 8
	v_bfe_i32 v47, v12, 0, 8
	v_lshrrev_b32_e32 v48, 8, v12
	v_lshrrev_b32_e32 v49, 16, v12
	;; [unrolled: 1-line block ×3, first 2 shown]
	v_bfe_i32 v41, v41, 0, 8
	v_bfe_i32 v42, v42, 0, 8
	v_bfe_i32 v45, v45, 0, 8
	v_bfe_i32 v11, v11, 0, 8
	v_bfe_i32 v43, v43, 0, 16
	s_waitcnt vmcnt(6)
	v_bfe_i32 v18, v13, 0, 8
	v_lshrrev_b32_e32 v32, 8, v13
	v_lshrrev_b32_e32 v33, 16, v13
	;; [unrolled: 1-line block ×4, first 2 shown]
	v_bfe_i32 v46, v46, 0, 8
	v_bfe_i32 v12, v12, 0, 8
	;; [unrolled: 1-line block ×7, first 2 shown]
	v_cvt_f32_i32_e32 v43, v43
	v_bfe_i32 v35, v14, 0, 8
	v_lshrrev_b32_e32 v51, 16, v14
	v_lshrrev_b32_e32 v14, 24, v14
	v_bfe_i32 v44, v44, 0, 16
	v_bfe_i32 v13, v13, 0, 8
	;; [unrolled: 1-line block ×3, first 2 shown]
	v_cvt_f32_i32_e32 v40, v40
	v_bfe_i32 v46, v46, 0, 16
	v_bfe_i32 v12, v12, 0, 16
	v_cvt_f32_i32_e32 v41, v41
	v_cvt_f32_i32_e32 v42, v42
	;; [unrolled: 1-line block ×4, first 2 shown]
	v_bfe_i32 v52, v15, 0, 8
	v_lshrrev_b32_e32 v53, 8, v15
	v_lshrrev_b32_e32 v54, 16, v15
	;; [unrolled: 1-line block ×3, first 2 shown]
	v_bfe_i32 v55, v16, 0, 8
	v_bfe_i32 v47, v47, 0, 16
	;; [unrolled: 1-line block ×3, first 2 shown]
	v_cvt_f32_i32_e32 v44, v44
	v_bfe_i32 v13, v13, 0, 16
	v_bfe_i32 v50, v50, 0, 16
	v_cvt_f32_i32_e32 v46, v46
	v_cvt_f32_i32_e32 v12, v12
	v_bfe_i32 v49, v49, 0, 8
	v_bfe_i32 v15, v15, 0, 8
	;; [unrolled: 1-line block ×4, first 2 shown]
	v_cvt_f32_i32_e32 v47, v47
	v_bfe_i32 v14, v14, 0, 16
	v_cvt_f32_i32_e32 v13, v13
	v_cvt_f32_i32_e32 v50, v50
	v_bfe_i32 v48, v48, 0, 8
	v_bfe_i32 v33, v33, 0, 8
	;; [unrolled: 1-line block ×4, first 2 shown]
	v_cvt_f32_i32_e32 v18, v18
	v_bfe_i32 v15, v15, 0, 16
	v_cvt_f32_i32_e32 v55, v55
	v_cvt_f32_i32_e32 v14, v14
	v_bfe_i32 v32, v32, 0, 8
	v_bfe_i32 v51, v51, 0, 8
	;; [unrolled: 1-line block ×5, first 2 shown]
	v_cvt_f32_i32_e32 v35, v35
	v_cvt_f32_i32_e32 v49, v49
	;; [unrolled: 1-line block ×3, first 2 shown]
	v_bfe_i32 v54, v54, 0, 8
	v_bfe_i32 v32, v32, 0, 16
	;; [unrolled: 1-line block ×3, first 2 shown]
	v_cvt_f32_i32_e32 v52, v52
	v_cvt_f32_i32_e32 v48, v48
	;; [unrolled: 1-line block ×3, first 2 shown]
	v_lshrrev_b32_e32 v56, 8, v16
	v_lshrrev_b32_e32 v57, 16, v16
	;; [unrolled: 1-line block ×3, first 2 shown]
	s_waitcnt vmcnt(4)
	v_lshrrev_b32_e32 v72, 16, v28
	v_bfe_i32 v53, v53, 0, 8
	v_bfe_i32 v54, v54, 0, 16
	v_cvt_f32_i32_e32 v32, v32
	v_cvt_f32_i32_e32 v51, v51
	v_bfe_i32 v58, v24, 0, 8
	v_lshrrev_b32_e32 v59, 8, v24
	v_lshrrev_b32_e32 v60, 16, v24
	;; [unrolled: 1-line block ×5, first 2 shown]
	v_bfe_i32 v56, v56, 0, 8
	v_bfe_i32 v57, v57, 0, 8
	;; [unrolled: 1-line block ×5, first 2 shown]
	v_cvt_f32_i32_e32 v54, v54
	v_bfe_i32 v61, v25, 0, 8
	v_lshrrev_b32_e32 v62, 8, v25
	v_lshrrev_b32_e32 v63, 16, v25
	;; [unrolled: 1-line block ×3, first 2 shown]
	v_bfe_i32 v70, v28, 0, 8
	v_lshrrev_b32_e32 v28, 24, v28
	v_bfe_i32 v76, v30, 0, 8
	v_lshrrev_b32_e32 v77, 8, v30
	v_lshrrev_b32_e32 v30, 24, v30
	v_bfe_i32 v59, v59, 0, 8
	v_bfe_i32 v60, v60, 0, 8
	;; [unrolled: 1-line block ×9, first 2 shown]
	v_cvt_f32_i32_e32 v53, v53
	v_bfe_i32 v64, v26, 0, 8
	v_lshrrev_b32_e32 v65, 8, v26
	v_lshrrev_b32_e32 v66, 16, v26
	;; [unrolled: 1-line block ×3, first 2 shown]
	v_bfe_i32 v62, v62, 0, 8
	v_bfe_i32 v63, v63, 0, 8
	v_bfe_i32 v25, v25, 0, 8
	v_bfe_i32 v58, v58, 0, 16
	v_bfe_i32 v28, v28, 0, 8
	v_bfe_i32 v77, v77, 0, 8
	v_bfe_i32 v30, v30, 0, 8
	v_bfe_i32 v70, v70, 0, 16
	v_bfe_i32 v59, v59, 0, 16
	v_bfe_i32 v60, v60, 0, 16
	v_bfe_i32 v24, v24, 0, 16
	v_bfe_i32 v71, v71, 0, 16
	v_bfe_i32 v78, v78, 0, 16
	v_cvt_f32_i32_e32 v56, v56
	v_cvt_f32_i32_e32 v57, v57
	v_cvt_f32_i32_e32 v16, v16
	v_cvt_f32_i32_e32 v72, v72
	v_bfe_i32 v67, v27, 0, 8
	v_lshrrev_b32_e32 v68, 8, v27
	v_lshrrev_b32_e32 v69, 16, v27
	;; [unrolled: 1-line block ×3, first 2 shown]
	v_bfe_i32 v65, v65, 0, 8
	v_bfe_i32 v66, v66, 0, 8
	;; [unrolled: 1-line block ×4, first 2 shown]
	v_cvt_f32_i32_e32 v58, v58
	v_bfe_i32 v62, v62, 0, 16
	v_bfe_i32 v63, v63, 0, 16
	;; [unrolled: 1-line block ×3, first 2 shown]
	v_cvt_f32_i32_e32 v70, v70
	v_bfe_i32 v28, v28, 0, 16
	v_bfe_i32 v77, v77, 0, 16
	;; [unrolled: 1-line block ×3, first 2 shown]
	v_cvt_f32_i32_e32 v59, v59
	v_cvt_f32_i32_e32 v60, v60
	;; [unrolled: 1-line block ×5, first 2 shown]
	v_bfe_i32 v68, v68, 0, 8
	v_bfe_i32 v69, v69, 0, 8
	v_bfe_i32 v27, v27, 0, 8
	v_bfe_i32 v64, v64, 0, 16
	v_bfe_i32 v76, v76, 0, 16
	v_cvt_f32_i32_e32 v61, v61
	v_bfe_i32 v65, v65, 0, 16
	v_bfe_i32 v66, v66, 0, 16
	;; [unrolled: 1-line block ×3, first 2 shown]
	v_cvt_f32_i32_e32 v62, v62
	v_cvt_f32_i32_e32 v63, v63
	;; [unrolled: 1-line block ×6, first 2 shown]
	v_bfe_i32 v73, v29, 0, 8
	v_lshrrev_b32_e32 v74, 8, v29
	v_lshrrev_b32_e32 v75, 16, v29
	;; [unrolled: 1-line block ×3, first 2 shown]
	v_bfe_i32 v67, v67, 0, 16
	v_cvt_f32_i32_e32 v64, v64
	v_bfe_i32 v68, v68, 0, 16
	v_bfe_i32 v69, v69, 0, 16
	;; [unrolled: 1-line block ×3, first 2 shown]
	v_cvt_f32_i32_e32 v76, v76
	v_cvt_f32_i32_e32 v65, v65
	v_cvt_f32_i32_e32 v66, v66
	v_cvt_f32_i32_e32 v26, v26
	v_bfe_i32 v74, v74, 0, 8
	v_bfe_i32 v75, v75, 0, 8
	;; [unrolled: 1-line block ×3, first 2 shown]
	v_cvt_f32_i32_e32 v67, v67
	v_cvt_f32_i32_e32 v68, v68
	;; [unrolled: 1-line block ×4, first 2 shown]
	v_bfe_i32 v79, v31, 0, 8
	v_lshrrev_b32_e32 v80, 8, v31
	v_lshrrev_b32_e32 v81, 16, v31
	;; [unrolled: 1-line block ×3, first 2 shown]
	v_bfe_i32 v73, v73, 0, 16
	v_bfe_i32 v74, v74, 0, 16
	;; [unrolled: 1-line block ×7, first 2 shown]
	v_cvt_f32_i32_e32 v73, v73
	v_cvt_f32_i32_e32 v74, v74
	;; [unrolled: 1-line block ×4, first 2 shown]
	v_bfe_i32 v79, v79, 0, 16
	v_bfe_i32 v80, v80, 0, 16
	;; [unrolled: 1-line block ×4, first 2 shown]
	v_cmp_ge_i64_e32 vcc_lo, v[0:1], v[2:3]
	v_cvt_f32_i32_e32 v79, v79
	v_cvt_f32_i32_e32 v80, v80
	v_cvt_f32_i32_e32 v81, v81
	v_cvt_f32_i32_e32 v31, v31
	s_or_b32 s8, vcc_lo, s8
	s_waitcnt vmcnt(3)
	v_bfe_i32 v83, v34, 0, 8
	v_lshrrev_b32_e32 v84, 8, v34
	v_lshrrev_b32_e32 v82, 16, v34
	;; [unrolled: 1-line block ×3, first 2 shown]
	s_waitcnt vmcnt(2)
	v_lshrrev_b32_e32 v85, 16, v9
	v_bfe_i32 v83, v83, 0, 16
	v_bfe_i32 v84, v84, 0, 8
	v_bfe_i32 v82, v82, 0, 8
	v_bfe_i32 v34, v34, 0, 8
	v_bfe_i32 v86, v9, 0, 8
	v_cvt_f32_i32_e32 v83, v83
	v_bfe_i32 v84, v84, 0, 16
	v_bfe_i32 v82, v82, 0, 16
	v_lshrrev_b32_e32 v87, 8, v9
	v_lshrrev_b32_e32 v9, 24, v9
	v_fmac_f32_e32 v23, v37, v83
	v_fmac_f32_e32 v21, v36, v83
	v_cvt_f32_i32_e32 v36, v84
	v_fmac_f32_e32 v20, v39, v83
	v_bfe_i32 v34, v34, 0, 16
	v_fmac_f32_e32 v22, v38, v83
	v_cvt_f32_i32_e32 v37, v82
	v_bfe_i32 v87, v87, 0, 8
	v_fmac_f32_e32 v20, v43, v36
	v_bfe_i32 v9, v9, 0, 8
	v_bfe_i32 v86, v86, 0, 16
	v_fmac_f32_e32 v23, v41, v36
	v_fmac_f32_e32 v22, v42, v36
	;; [unrolled: 1-line block ×3, first 2 shown]
	v_cvt_f32_i32_e32 v34, v34
	v_fmac_f32_e32 v20, v11, v37
	v_bfe_i32 v85, v85, 0, 8
	v_fmac_f32_e32 v22, v46, v37
	v_cvt_f32_i32_e32 v86, v86
	v_bfe_i32 v87, v87, 0, 16
	v_bfe_i32 v9, v9, 0, 16
	v_fmac_f32_e32 v21, v44, v37
	v_fmac_f32_e32 v20, v12, v34
	v_bfe_i32 v85, v85, 0, 16
	v_cvt_f32_i32_e32 v12, v87
	v_cvt_f32_i32_e32 v9, v9
	v_fmac_f32_e32 v23, v45, v37
	v_fmac_f32_e32 v20, v13, v86
	;; [unrolled: 1-line block ×3, first 2 shown]
	v_cvt_f32_i32_e32 v13, v85
	s_waitcnt vmcnt(0)
	v_bfe_i32 v92, v17, 0, 8
	v_bfe_i32 v89, v10, 0, 8
	v_fmac_f32_e32 v20, v14, v12
	v_fmac_f32_e32 v21, v18, v86
	v_lshrrev_b32_e32 v90, 8, v10
	v_bfe_i32 v92, v92, 0, 16
	v_lshrrev_b32_e32 v88, 16, v10
	v_fmac_f32_e32 v20, v15, v13
	v_dual_fmac_f32 v22, v49, v34 :: v_dual_fmac_f32 v21, v35, v12
	v_bfe_i32 v90, v90, 0, 8
	v_bfe_i32 v89, v89, 0, 16
	v_cvt_f32_i32_e32 v92, v92
	s_delay_alu instid0(VALU_DEP_4) | instskip(SKIP_3) | instid1(VALU_DEP_4)
	v_dual_fmac_f32 v22, v33, v86 :: v_dual_fmac_f32 v21, v52, v13
	v_fmac_f32_e32 v23, v48, v34
	v_lshrrev_b32_e32 v10, 24, v10
	v_bfe_i32 v88, v88, 0, 8
	v_fmac_f32_e32 v22, v51, v12
	v_cvt_f32_i32_e32 v89, v89
	v_fmac_f32_e32 v23, v32, v86
	v_bfe_i32 v90, v90, 0, 16
	v_fmac_f32_e32 v21, v55, v9
	v_fmac_f32_e32 v22, v54, v13
	s_delay_alu instid0(VALU_DEP_4) | instskip(SKIP_2) | instid1(VALU_DEP_4)
	v_dual_fmac_f32 v20, v16, v9 :: v_dual_fmac_f32 v23, v50, v12
	v_bfe_i32 v10, v10, 0, 8
	v_bfe_i32 v88, v88, 0, 16
	v_fmac_f32_e32 v22, v57, v9
	v_fmac_f32_e32 v21, v58, v89
	;; [unrolled: 1-line block ×4, first 2 shown]
	v_lshrrev_b32_e32 v93, 8, v17
	v_fmac_f32_e32 v22, v60, v89
	v_bfe_i32 v10, v10, 0, 16
	v_fmac_f32_e32 v23, v56, v9
	v_cvt_f32_i32_e32 v9, v90
	v_cvt_f32_i32_e32 v13, v88
	v_lshrrev_b32_e32 v91, 16, v17
	v_bfe_i32 v93, v93, 0, 8
	v_fmac_f32_e32 v23, v59, v89
	v_fmac_f32_e32 v21, v61, v9
	;; [unrolled: 1-line block ×4, first 2 shown]
	v_lshrrev_b32_e32 v17, 24, v17
	v_fmac_f32_e32 v23, v62, v9
	v_cvt_f32_i32_e32 v9, v10
	v_fmac_f32_e32 v21, v64, v13
	v_fmac_f32_e32 v22, v66, v13
	;; [unrolled: 1-line block ×4, first 2 shown]
	v_bfe_i32 v91, v91, 0, 8
	v_bfe_i32 v11, v93, 0, 16
	v_fmac_f32_e32 v21, v67, v9
	v_fmac_f32_e32 v22, v69, v9
	;; [unrolled: 1-line block ×4, first 2 shown]
	v_bfe_i32 v17, v17, 0, 8
	v_bfe_i32 v12, v91, 0, 16
	v_cvt_f32_i32_e32 v9, v11
	v_fmac_f32_e32 v21, v70, v92
	v_fmac_f32_e32 v23, v71, v92
	;; [unrolled: 1-line block ×4, first 2 shown]
	v_bfe_i32 v10, v17, 0, 16
	v_cvt_f32_i32_e32 v11, v12
	v_fmac_f32_e32 v21, v73, v9
	v_fmac_f32_e32 v23, v74, v9
	;; [unrolled: 1-line block ×4, first 2 shown]
	v_cvt_f32_i32_e32 v9, v10
	v_fmac_f32_e32 v21, v76, v11
	v_fmac_f32_e32 v23, v77, v11
	;; [unrolled: 1-line block ×3, first 2 shown]
	s_delay_alu instid0(VALU_DEP_3) | instskip(NEXT) | instid1(VALU_DEP_3)
	v_dual_fmac_f32 v20, v30, v11 :: v_dual_fmac_f32 v21, v79, v9
	v_fmac_f32_e32 v23, v80, v9
	s_delay_alu instid0(VALU_DEP_3) | instskip(NEXT) | instid1(VALU_DEP_3)
	v_fmac_f32_e32 v22, v81, v9
	v_fmac_f32_e32 v20, v31, v9
	s_and_not1_b32 exec_lo, exec_lo, s8
	s_cbranch_execnz .LBB81_33
; %bb.34:
	s_or_b32 exec_lo, exec_lo, s8
.LBB81_35:
	s_delay_alu instid0(SALU_CYCLE_1)
	s_or_b32 exec_lo, exec_lo, s10
.LBB81_36:
	s_delay_alu instid0(SALU_CYCLE_1)
	s_or_b32 exec_lo, exec_lo, s5
.LBB81_37:
	v_mbcnt_lo_u32_b32 v0, -1, 0
	s_mov_b32 s2, -1
	s_delay_alu instid0(VALU_DEP_1) | instskip(SKIP_2) | instid1(VALU_DEP_3)
	v_xor_b32_e32 v1, 4, v0
	v_xor_b32_e32 v6, 2, v0
	;; [unrolled: 1-line block ×3, first 2 shown]
	v_cmp_gt_i32_e32 vcc_lo, 32, v1
	v_cndmask_b32_e32 v1, v0, v1, vcc_lo
	s_delay_alu instid0(VALU_DEP_4) | instskip(SKIP_2) | instid1(VALU_DEP_2)
	v_cmp_gt_i32_e32 vcc_lo, 32, v6
	v_cndmask_b32_e32 v6, v0, v6, vcc_lo
	v_cmp_gt_i32_e32 vcc_lo, 32, v10
	v_lshlrev_b32_e32 v6, 2, v6
	v_dual_cndmask_b32 v0, v0, v10 :: v_dual_lshlrev_b32 v1, 2, v1
	v_cmp_eq_u32_e32 vcc_lo, 7, v19
	ds_bpermute_b32 v2, v1, v21
	v_lshlrev_b32_e32 v10, 2, v0
	s_waitcnt lgkmcnt(0)
	v_add_f32_e32 v2, v21, v2
	ds_bpermute_b32 v3, v1, v23
	ds_bpermute_b32 v5, v1, v22
	ds_bpermute_b32 v1, v1, v20
	s_waitcnt lgkmcnt(2)
	v_add_f32_e32 v3, v23, v3
	s_waitcnt lgkmcnt(1)
	v_add_f32_e32 v5, v22, v5
	;; [unrolled: 2-line block ×3, first 2 shown]
	ds_bpermute_b32 v1, v6, v2
	ds_bpermute_b32 v8, v6, v3
	;; [unrolled: 1-line block ×4, first 2 shown]
	s_waitcnt lgkmcnt(2)
	v_dual_add_f32 v0, v2, v1 :: v_dual_add_f32 v1, v3, v8
	s_waitcnt lgkmcnt(0)
	v_dual_add_f32 v2, v5, v9 :: v_dual_add_f32 v3, v7, v6
	ds_bpermute_b32 v5, v10, v0
	ds_bpermute_b32 v6, v10, v1
	;; [unrolled: 1-line block ×4, first 2 shown]
	s_and_b32 exec_lo, exec_lo, vcc_lo
	s_cbranch_execz .LBB81_10
; %bb.38:
	s_load_b64 s[0:1], s[0:1], 0x50
	s_waitcnt lgkmcnt(0)
	v_dual_add_f32 v0, v0, v5 :: v_dual_add_f32 v1, v1, v6
	v_dual_add_f32 v2, v2, v7 :: v_dual_add_f32 v3, v3, v8
	v_cmp_eq_f32_e64 s3, s12, 0
	s_delay_alu instid0(VALU_DEP_3) | instskip(NEXT) | instid1(VALU_DEP_3)
	v_dual_mul_f32 v0, s16, v0 :: v_dual_mul_f32 v1, s16, v1
	v_dual_mul_f32 v2, s16, v2 :: v_dual_mul_f32 v3, s16, v3
	v_lshlrev_b32_e32 v4, 2, v4
	s_delay_alu instid0(VALU_DEP_4)
	s_and_b32 vcc_lo, exec_lo, s3
	s_cbranch_vccz .LBB81_40
; %bb.39:
	s_delay_alu instid0(VALU_DEP_1) | instskip(SKIP_1) | instid1(VALU_DEP_1)
	v_ashrrev_i32_e32 v5, 31, v4
	s_mov_b32 s2, 0
	v_lshlrev_b64 v[5:6], 2, v[4:5]
	s_delay_alu instid0(VALU_DEP_1) | instskip(NEXT) | instid1(VALU_DEP_2)
	v_add_co_u32 v5, vcc_lo, s0, v5
	v_add_co_ci_u32_e32 v6, vcc_lo, s1, v6, vcc_lo
	global_store_b128 v[5:6], v[0:3], off
.LBB81_40:
	s_and_not1_b32 vcc_lo, exec_lo, s2
	s_cbranch_vccnz .LBB81_10
; %bb.41:
	v_ashrrev_i32_e32 v5, 31, v4
	s_delay_alu instid0(VALU_DEP_1) | instskip(NEXT) | instid1(VALU_DEP_1)
	v_lshlrev_b64 v[4:5], 2, v[4:5]
	v_add_co_u32 v8, vcc_lo, s0, v4
	s_delay_alu instid0(VALU_DEP_2)
	v_add_co_ci_u32_e32 v9, vcc_lo, s1, v5, vcc_lo
	global_load_b128 v[4:7], v[8:9], off
	s_waitcnt vmcnt(0)
	v_dual_fmac_f32 v0, s12, v4 :: v_dual_fmac_f32 v1, s12, v5
	v_dual_fmac_f32 v2, s12, v6 :: v_dual_fmac_f32 v3, s12, v7
	global_store_b128 v[8:9], v[0:3], off
	s_nop 0
	s_sendmsg sendmsg(MSG_DEALLOC_VGPRS)
	s_endpgm
	.section	.rodata,"a",@progbits
	.p2align	6, 0x0
	.amdhsa_kernel _ZN9rocsparseL18bsrxmvn_4x4_kernelILj128ELj8EfliaafEEvT3_20rocsparse_direction_NS_24const_host_device_scalarIT1_EES1_PKS1_PKT2_SA_S7_PKT4_PKT5_S5_PT6_21rocsparse_index_base_b
		.amdhsa_group_segment_fixed_size 0
		.amdhsa_private_segment_fixed_size 0
		.amdhsa_kernarg_size 96
		.amdhsa_user_sgpr_count 15
		.amdhsa_user_sgpr_dispatch_ptr 0
		.amdhsa_user_sgpr_queue_ptr 0
		.amdhsa_user_sgpr_kernarg_segment_ptr 1
		.amdhsa_user_sgpr_dispatch_id 0
		.amdhsa_user_sgpr_private_segment_size 0
		.amdhsa_wavefront_size32 1
		.amdhsa_uses_dynamic_stack 0
		.amdhsa_enable_private_segment 0
		.amdhsa_system_sgpr_workgroup_id_x 1
		.amdhsa_system_sgpr_workgroup_id_y 0
		.amdhsa_system_sgpr_workgroup_id_z 0
		.amdhsa_system_sgpr_workgroup_info 0
		.amdhsa_system_vgpr_workitem_id 0
		.amdhsa_next_free_vgpr 100
		.amdhsa_next_free_sgpr 20
		.amdhsa_reserve_vcc 1
		.amdhsa_float_round_mode_32 0
		.amdhsa_float_round_mode_16_64 0
		.amdhsa_float_denorm_mode_32 3
		.amdhsa_float_denorm_mode_16_64 3
		.amdhsa_dx10_clamp 1
		.amdhsa_ieee_mode 1
		.amdhsa_fp16_overflow 0
		.amdhsa_workgroup_processor_mode 1
		.amdhsa_memory_ordered 1
		.amdhsa_forward_progress 0
		.amdhsa_shared_vgpr_count 0
		.amdhsa_exception_fp_ieee_invalid_op 0
		.amdhsa_exception_fp_denorm_src 0
		.amdhsa_exception_fp_ieee_div_zero 0
		.amdhsa_exception_fp_ieee_overflow 0
		.amdhsa_exception_fp_ieee_underflow 0
		.amdhsa_exception_fp_ieee_inexact 0
		.amdhsa_exception_int_div_zero 0
	.end_amdhsa_kernel
	.section	.text._ZN9rocsparseL18bsrxmvn_4x4_kernelILj128ELj8EfliaafEEvT3_20rocsparse_direction_NS_24const_host_device_scalarIT1_EES1_PKS1_PKT2_SA_S7_PKT4_PKT5_S5_PT6_21rocsparse_index_base_b,"axG",@progbits,_ZN9rocsparseL18bsrxmvn_4x4_kernelILj128ELj8EfliaafEEvT3_20rocsparse_direction_NS_24const_host_device_scalarIT1_EES1_PKS1_PKT2_SA_S7_PKT4_PKT5_S5_PT6_21rocsparse_index_base_b,comdat
.Lfunc_end81:
	.size	_ZN9rocsparseL18bsrxmvn_4x4_kernelILj128ELj8EfliaafEEvT3_20rocsparse_direction_NS_24const_host_device_scalarIT1_EES1_PKS1_PKT2_SA_S7_PKT4_PKT5_S5_PT6_21rocsparse_index_base_b, .Lfunc_end81-_ZN9rocsparseL18bsrxmvn_4x4_kernelILj128ELj8EfliaafEEvT3_20rocsparse_direction_NS_24const_host_device_scalarIT1_EES1_PKS1_PKT2_SA_S7_PKT4_PKT5_S5_PT6_21rocsparse_index_base_b
                                        ; -- End function
	.section	.AMDGPU.csdata,"",@progbits
; Kernel info:
; codeLenInByte = 7964
; NumSgprs: 22
; NumVgprs: 100
; ScratchSize: 0
; MemoryBound: 0
; FloatMode: 240
; IeeeMode: 1
; LDSByteSize: 0 bytes/workgroup (compile time only)
; SGPRBlocks: 2
; VGPRBlocks: 12
; NumSGPRsForWavesPerEU: 22
; NumVGPRsForWavesPerEU: 100
; Occupancy: 12
; WaveLimiterHint : 1
; COMPUTE_PGM_RSRC2:SCRATCH_EN: 0
; COMPUTE_PGM_RSRC2:USER_SGPR: 15
; COMPUTE_PGM_RSRC2:TRAP_HANDLER: 0
; COMPUTE_PGM_RSRC2:TGID_X_EN: 1
; COMPUTE_PGM_RSRC2:TGID_Y_EN: 0
; COMPUTE_PGM_RSRC2:TGID_Z_EN: 0
; COMPUTE_PGM_RSRC2:TIDIG_COMP_CNT: 0
	.section	.text._ZN9rocsparseL18bsrxmvn_4x4_kernelILj128ELj16EfliaafEEvT3_20rocsparse_direction_NS_24const_host_device_scalarIT1_EES1_PKS1_PKT2_SA_S7_PKT4_PKT5_S5_PT6_21rocsparse_index_base_b,"axG",@progbits,_ZN9rocsparseL18bsrxmvn_4x4_kernelILj128ELj16EfliaafEEvT3_20rocsparse_direction_NS_24const_host_device_scalarIT1_EES1_PKS1_PKT2_SA_S7_PKT4_PKT5_S5_PT6_21rocsparse_index_base_b,comdat
	.globl	_ZN9rocsparseL18bsrxmvn_4x4_kernelILj128ELj16EfliaafEEvT3_20rocsparse_direction_NS_24const_host_device_scalarIT1_EES1_PKS1_PKT2_SA_S7_PKT4_PKT5_S5_PT6_21rocsparse_index_base_b ; -- Begin function _ZN9rocsparseL18bsrxmvn_4x4_kernelILj128ELj16EfliaafEEvT3_20rocsparse_direction_NS_24const_host_device_scalarIT1_EES1_PKS1_PKT2_SA_S7_PKT4_PKT5_S5_PT6_21rocsparse_index_base_b
	.p2align	8
	.type	_ZN9rocsparseL18bsrxmvn_4x4_kernelILj128ELj16EfliaafEEvT3_20rocsparse_direction_NS_24const_host_device_scalarIT1_EES1_PKS1_PKT2_SA_S7_PKT4_PKT5_S5_PT6_21rocsparse_index_base_b,@function
_ZN9rocsparseL18bsrxmvn_4x4_kernelILj128ELj16EfliaafEEvT3_20rocsparse_direction_NS_24const_host_device_scalarIT1_EES1_PKS1_PKT2_SA_S7_PKT4_PKT5_S5_PT6_21rocsparse_index_base_b: ; @_ZN9rocsparseL18bsrxmvn_4x4_kernelILj128ELj16EfliaafEEvT3_20rocsparse_direction_NS_24const_host_device_scalarIT1_EES1_PKS1_PKT2_SA_S7_PKT4_PKT5_S5_PT6_21rocsparse_index_base_b
; %bb.0:
	s_clause 0x2
	s_load_b64 s[18:19], s[0:1], 0x58
	s_load_b64 s[16:17], s[0:1], 0x8
	;; [unrolled: 1-line block ×3, first 2 shown]
	s_waitcnt lgkmcnt(0)
	s_bitcmp1_b32 s19, 0
	s_cselect_b32 s2, -1, 0
	s_delay_alu instid0(SALU_CYCLE_1)
	s_and_b32 vcc_lo, exec_lo, s2
	s_xor_b32 s2, s2, -1
	s_cbranch_vccnz .LBB82_2
; %bb.1:
	s_load_b32 s16, s[16:17], 0x0
.LBB82_2:
	s_and_not1_b32 vcc_lo, exec_lo, s2
	s_cbranch_vccnz .LBB82_4
; %bb.3:
	s_load_b32 s12, s[12:13], 0x0
.LBB82_4:
	s_waitcnt lgkmcnt(0)
	v_cmp_neq_f32_e64 s2, s16, 0
	v_cmp_neq_f32_e64 s3, s12, 1.0
	s_mov_b32 s6, 0
	s_delay_alu instid0(VALU_DEP_1) | instskip(NEXT) | instid1(SALU_CYCLE_1)
	s_or_b32 s2, s2, s3
	s_and_not1_b32 vcc_lo, exec_lo, s2
	s_cbranch_vccnz .LBB82_10
; %bb.5:
	s_clause 0x1
	s_load_b64 s[4:5], s[0:1], 0x18
	s_load_b64 s[2:3], s[0:1], 0x0
	v_lshrrev_b32_e32 v1, 4, v0
	s_delay_alu instid0(VALU_DEP_1)
	v_lshl_or_b32 v4, s15, 3, v1
	s_waitcnt lgkmcnt(0)
	s_cmp_lg_u64 s[4:5], 0
	s_cbranch_scc0 .LBB82_11
; %bb.6:
	s_load_b32 s6, s[0:1], 0x10
	s_mov_b32 s7, 0
                                        ; implicit-def: $vgpr1
	s_waitcnt lgkmcnt(0)
	v_cmp_gt_i32_e32 vcc_lo, s6, v4
	s_mov_b32 s6, 0
	s_and_saveexec_b32 s8, vcc_lo
	s_delay_alu instid0(SALU_CYCLE_1)
	s_xor_b32 s8, exec_lo, s8
	s_cbranch_execz .LBB82_8
; %bb.7:
	v_ashrrev_i32_e32 v5, 31, v4
	s_mov_b32 s6, exec_lo
	s_delay_alu instid0(VALU_DEP_1) | instskip(NEXT) | instid1(VALU_DEP_1)
	v_lshlrev_b64 v[1:2], 2, v[4:5]
	v_add_co_u32 v1, vcc_lo, s4, v1
	s_delay_alu instid0(VALU_DEP_2)
	v_add_co_ci_u32_e32 v2, vcc_lo, s5, v2, vcc_lo
	global_load_b32 v1, v[1:2], off
	s_waitcnt vmcnt(0)
	v_subrev_nc_u32_e32 v1, s18, v1
.LBB82_8:
	s_or_b32 exec_lo, exec_lo, s8
	s_delay_alu instid0(SALU_CYCLE_1)
	s_and_b32 vcc_lo, exec_lo, s7
	s_cbranch_vccz .LBB82_12
.LBB82_9:
	v_cmp_gt_i32_e32 vcc_lo, s2, v4
	s_and_not1_b32 s2, s6, exec_lo
	s_and_b32 s4, vcc_lo, exec_lo
	s_delay_alu instid0(SALU_CYCLE_1) | instskip(NEXT) | instid1(SALU_CYCLE_1)
	s_or_b32 s6, s2, s4
	s_and_saveexec_b32 s2, s6
	s_cbranch_execnz .LBB82_13
.LBB82_10:
	s_nop 0
	s_sendmsg sendmsg(MSG_DEALLOC_VGPRS)
	s_endpgm
.LBB82_11:
                                        ; implicit-def: $vgpr1
	s_cbranch_execnz .LBB82_9
.LBB82_12:
	s_delay_alu instid0(VALU_DEP_1)
	v_mov_b32_e32 v4, v1
	s_and_saveexec_b32 s2, s6
	s_cbranch_execz .LBB82_10
.LBB82_13:
	s_load_b256 s[4:11], s[0:1], 0x20
	s_delay_alu instid0(VALU_DEP_1) | instskip(SKIP_1) | instid1(VALU_DEP_2)
	v_ashrrev_i32_e32 v5, 31, v4
	v_dual_mov_b32 v20, 0 :: v_dual_and_b32 v19, 15, v0
	v_lshlrev_b64 v[1:2], 3, v[4:5]
	s_waitcnt lgkmcnt(0)
	s_delay_alu instid0(VALU_DEP_1) | instskip(NEXT) | instid1(VALU_DEP_2)
	v_add_co_u32 v5, vcc_lo, s4, v1
	v_add_co_ci_u32_e32 v6, vcc_lo, s5, v2, vcc_lo
	v_add_co_u32 v1, vcc_lo, s6, v1
	v_add_co_ci_u32_e32 v2, vcc_lo, s7, v2, vcc_lo
	s_delay_alu instid0(VALU_DEP_4)
	v_add_co_u32 v3, vcc_lo, v5, 8
	global_load_b64 v[7:8], v[5:6], off
	v_add_co_ci_u32_e32 v9, vcc_lo, 0, v6, vcc_lo
	s_cmp_eq_u64 s[6:7], 0
	s_load_b64 s[6:7], s[0:1], 0x40
	s_cselect_b32 vcc_lo, -1, 0
	s_cmp_eq_u32 s3, 1
	v_dual_cndmask_b32 v2, v2, v9 :: v_dual_cndmask_b32 v1, v1, v3
	global_load_b64 v[2:3], v[1:2], off
	s_waitcnt vmcnt(1)
	v_sub_co_u32 v0, vcc_lo, v7, s18
	v_subrev_co_ci_u32_e32 v1, vcc_lo, 0, v8, vcc_lo
	s_delay_alu instid0(VALU_DEP_2) | instskip(NEXT) | instid1(VALU_DEP_2)
	v_add_co_u32 v0, vcc_lo, v0, v19
	v_add_co_ci_u32_e32 v1, vcc_lo, 0, v1, vcc_lo
	s_delay_alu instid0(VALU_DEP_1) | instskip(SKIP_3) | instid1(VALU_DEP_3)
	v_lshlrev_b64 v[5:6], 4, v[0:1]
	s_waitcnt vmcnt(0)
	v_sub_co_u32 v2, vcc_lo, v2, s18
	v_subrev_co_ci_u32_e32 v3, vcc_lo, 0, v3, vcc_lo
	v_add_co_u32 v5, vcc_lo, s10, v5
	s_delay_alu instid0(VALU_DEP_2)
	v_cmp_lt_i64_e64 s2, v[0:1], v[2:3]
	v_add_co_ci_u32_e32 v6, vcc_lo, s11, v6, vcc_lo
	s_mov_b32 s10, 0
	s_cbranch_scc1 .LBB82_25
; %bb.14:
	v_dual_mov_b32 v22, 0 :: v_dual_mov_b32 v23, 0
	v_mov_b32_e32 v21, 0
	s_and_saveexec_b32 s11, s2
	s_cbranch_execz .LBB82_24
; %bb.15:
	v_or_b32_e32 v9, 16, v19
	v_not_b32_e32 v12, v7
	v_not_b32_e32 v11, v8
	v_mov_b32_e32 v23, 0
	v_dual_mov_b32 v21, 0 :: v_dual_mov_b32 v20, 0
	v_sub_co_u32 v9, s3, v9, s18
	s_delay_alu instid0(VALU_DEP_1) | instskip(SKIP_1) | instid1(VALU_DEP_3)
	v_sub_co_ci_u32_e64 v10, null, 0, 0, s3
	v_sub_co_u32 v13, s3, s18, v19
	v_add_co_u32 v9, vcc_lo, v9, v7
	s_delay_alu instid0(VALU_DEP_3) | instskip(SKIP_2) | instid1(VALU_DEP_2)
	v_add_co_ci_u32_e32 v10, vcc_lo, v10, v8, vcc_lo
	v_sub_co_ci_u32_e64 v14, null, 0, 0, s3
	s_mov_b32 s3, exec_lo
	v_cmp_gt_i64_e32 vcc_lo, v[9:10], v[2:3]
	v_mov_b32_e32 v22, 0
	v_dual_cndmask_b32 v10, v3, v10 :: v_dual_cndmask_b32 v9, v2, v9
	v_add_co_u32 v12, vcc_lo, v13, v12
	v_add_co_ci_u32_e32 v11, vcc_lo, v14, v11, vcc_lo
	s_delay_alu instid0(VALU_DEP_2) | instskip(NEXT) | instid1(VALU_DEP_2)
	v_add_co_u32 v13, vcc_lo, v12, v9
	v_add_co_ci_u32_e32 v14, vcc_lo, v11, v10, vcc_lo
	v_mov_b32_e32 v12, v6
	s_delay_alu instid0(VALU_DEP_3) | instskip(SKIP_1) | instid1(VALU_DEP_2)
	v_lshrrev_b32_e32 v9, 4, v13
	v_mov_b32_e32 v11, v5
	v_add_nc_u32_e32 v9, 1, v9
	s_delay_alu instid0(VALU_DEP_1) | instskip(SKIP_1) | instid1(VALU_DEP_2)
	v_dual_mov_b32 v10, v1 :: v_dual_and_b32 v15, 3, v9
	v_mov_b32_e32 v9, v0
	v_cmpx_ne_u32_e32 0, v15
	s_cbranch_execz .LBB82_19
; %bb.16:
	v_lshlrev_b64 v[9:10], 2, v[0:1]
	v_dual_mov_b32 v16, 0 :: v_dual_lshlrev_b32 v15, 2, v15
	v_dual_mov_b32 v12, v6 :: v_dual_mov_b32 v11, v5
	s_mov_b32 s4, 0
	s_delay_alu instid0(VALU_DEP_3) | instskip(NEXT) | instid1(VALU_DEP_4)
	v_add_co_u32 v17, vcc_lo, s8, v9
	v_add_co_ci_u32_e32 v18, vcc_lo, s9, v10, vcc_lo
	v_dual_mov_b32 v10, v1 :: v_dual_mov_b32 v9, v0
	v_mov_b32_e32 v20, v16
	v_mov_b32_e32 v22, v16
	;; [unrolled: 1-line block ×4, first 2 shown]
.LBB82_17:                              ; =>This Inner Loop Header: Depth=1
	global_load_b32 v28, v[17:18], off
	global_load_b128 v[24:27], v[11:12], off
	s_waitcnt vmcnt(1)
	v_subrev_nc_u32_e32 v28, s18, v28
	s_waitcnt vmcnt(0)
	v_lshrrev_b32_e32 v30, 8, v24
	v_lshrrev_b32_e32 v34, 16, v25
	v_bfe_i32 v35, v26, 0, 8
	v_lshrrev_b32_e32 v36, 8, v26
	v_lshlrev_b32_e32 v28, 2, v28
	v_lshrrev_b32_e32 v31, 16, v24
	v_bfe_i32 v32, v25, 0, 8
	v_lshrrev_b32_e32 v33, 8, v25
	v_lshrrev_b32_e32 v25, 24, v25
	v_ashrrev_i32_e32 v29, 31, v28
	s_waitcnt lgkmcnt(0)
	v_add_co_u32 v28, vcc_lo, s6, v28
	v_lshrrev_b32_e32 v37, 16, v26
	v_bfe_i32 v38, v27, 0, 8
	v_add_co_ci_u32_e32 v29, vcc_lo, s7, v29, vcc_lo
	v_lshrrev_b32_e32 v39, 8, v27
	v_lshrrev_b32_e32 v40, 16, v27
	v_bfe_i32 v30, v30, 0, 8
	global_load_b32 v28, v[28:29], off
	v_bfe_i32 v29, v24, 0, 8
	v_bfe_i32 v34, v34, 0, 8
	;; [unrolled: 1-line block ×4, first 2 shown]
	v_lshrrev_b32_e32 v24, 24, v24
	v_bfe_i32 v29, v29, 0, 16
	v_lshrrev_b32_e32 v26, 24, v26
	v_bfe_i32 v31, v31, 0, 8
	v_bfe_i32 v33, v33, 0, 8
	v_bfe_i32 v25, v25, 0, 8
	v_bfe_i32 v37, v37, 0, 8
	v_bfe_i32 v39, v39, 0, 8
	v_bfe_i32 v40, v40, 0, 8
	v_bfe_i32 v32, v32, 0, 16
	v_bfe_i32 v38, v38, 0, 16
	v_cvt_f32_i32_e32 v29, v29
	v_bfe_i32 v30, v30, 0, 16
	v_bfe_i32 v34, v34, 0, 16
	v_cvt_f32_i32_e32 v35, v35
	v_bfe_i32 v36, v36, 0, 16
	v_lshrrev_b32_e32 v27, 24, v27
	v_bfe_i32 v24, v24, 0, 8
	v_bfe_i32 v26, v26, 0, 8
	;; [unrolled: 1-line block ×3, first 2 shown]
	v_cvt_f32_i32_e32 v32, v32
	v_bfe_i32 v33, v33, 0, 16
	v_bfe_i32 v25, v25, 0, 16
	;; [unrolled: 1-line block ×3, first 2 shown]
	v_cvt_f32_i32_e32 v38, v38
	v_bfe_i32 v39, v39, 0, 16
	v_bfe_i32 v40, v40, 0, 16
	v_cvt_f32_i32_e32 v30, v30
	v_cvt_f32_i32_e32 v34, v34
	;; [unrolled: 1-line block ×3, first 2 shown]
	v_add_co_u32 v11, vcc_lo, 0x100, v11
	v_add_co_ci_u32_e32 v12, vcc_lo, 0, v12, vcc_lo
	v_add_co_u32 v9, vcc_lo, v9, 16
	v_bfe_i32 v27, v27, 0, 8
	v_bfe_i32 v24, v24, 0, 16
	;; [unrolled: 1-line block ×3, first 2 shown]
	v_cvt_f32_i32_e32 v31, v31
	v_cvt_f32_i32_e32 v33, v33
	;; [unrolled: 1-line block ×6, first 2 shown]
	v_add_co_ci_u32_e32 v10, vcc_lo, 0, v10, vcc_lo
	v_add_co_u32 v17, vcc_lo, v17, 64
	v_add_co_ci_u32_e32 v18, vcc_lo, 0, v18, vcc_lo
	v_add_co_u32 v15, vcc_lo, v15, -4
	v_bfe_i32 v27, v27, 0, 16
	v_cvt_f32_i32_e32 v24, v24
	v_cvt_f32_i32_e32 v26, v26
	v_add_co_ci_u32_e32 v16, vcc_lo, -1, v16, vcc_lo
	s_delay_alu instid0(VALU_DEP_4) | instskip(NEXT) | instid1(VALU_DEP_2)
	v_cvt_f32_i32_e32 v27, v27
	v_cmp_eq_u64_e32 vcc_lo, 0, v[15:16]
	s_or_b32 s4, vcc_lo, s4
	s_waitcnt vmcnt(0)
	v_bfe_i32 v41, v28, 0, 8
	v_lshrrev_b32_e32 v42, 8, v28
	v_lshrrev_b32_e32 v43, 16, v28
	;; [unrolled: 1-line block ×3, first 2 shown]
	s_delay_alu instid0(VALU_DEP_4) | instskip(NEXT) | instid1(VALU_DEP_4)
	v_bfe_i32 v41, v41, 0, 16
	v_bfe_i32 v42, v42, 0, 8
	s_delay_alu instid0(VALU_DEP_4) | instskip(NEXT) | instid1(VALU_DEP_4)
	v_bfe_i32 v43, v43, 0, 8
	v_bfe_i32 v28, v28, 0, 8
	s_delay_alu instid0(VALU_DEP_4) | instskip(NEXT) | instid1(VALU_DEP_4)
	v_cvt_f32_i32_e32 v41, v41
	v_bfe_i32 v42, v42, 0, 16
	s_delay_alu instid0(VALU_DEP_4) | instskip(NEXT) | instid1(VALU_DEP_4)
	v_bfe_i32 v43, v43, 0, 16
	v_bfe_i32 v28, v28, 0, 16
	s_delay_alu instid0(VALU_DEP_4) | instskip(NEXT) | instid1(VALU_DEP_4)
	v_fmac_f32_e32 v21, v29, v41
	v_cvt_f32_i32_e32 v29, v42
	v_fmac_f32_e32 v22, v35, v41
	s_delay_alu instid0(VALU_DEP_4) | instskip(NEXT) | instid1(VALU_DEP_2)
	v_cvt_f32_i32_e32 v28, v28
	v_fmac_f32_e32 v22, v36, v29
	v_fmac_f32_e32 v23, v32, v41
	v_cvt_f32_i32_e32 v32, v43
	v_fmac_f32_e32 v21, v30, v29
	v_fmac_f32_e32 v20, v38, v41
	s_delay_alu instid0(VALU_DEP_3) | instskip(NEXT) | instid1(VALU_DEP_3)
	v_fmac_f32_e32 v22, v37, v32
	v_fmac_f32_e32 v21, v31, v32
	;; [unrolled: 1-line block ×3, first 2 shown]
	s_delay_alu instid0(VALU_DEP_4) | instskip(NEXT) | instid1(VALU_DEP_4)
	v_fmac_f32_e32 v20, v39, v29
	v_fmac_f32_e32 v22, v26, v28
	s_delay_alu instid0(VALU_DEP_4) | instskip(NEXT) | instid1(VALU_DEP_4)
	v_fmac_f32_e32 v21, v24, v28
	v_fmac_f32_e32 v23, v34, v32
	s_delay_alu instid0(VALU_DEP_4) | instskip(NEXT) | instid1(VALU_DEP_2)
	v_fmac_f32_e32 v20, v40, v32
	v_fmac_f32_e32 v23, v25, v28
	s_delay_alu instid0(VALU_DEP_2)
	v_fmac_f32_e32 v20, v27, v28
	s_and_not1_b32 exec_lo, exec_lo, s4
	s_cbranch_execnz .LBB82_17
; %bb.18:
	s_or_b32 exec_lo, exec_lo, s4
.LBB82_19:
	s_delay_alu instid0(SALU_CYCLE_1) | instskip(NEXT) | instid1(SALU_CYCLE_1)
	s_or_b32 exec_lo, exec_lo, s3
	s_mov_b32 s13, exec_lo
	v_cmpx_lt_u64_e32 47, v[13:14]
	s_cbranch_execz .LBB82_23
; %bb.20:
	v_lshlrev_b64 v[13:14], 2, v[9:10]
	s_mov_b32 s14, 0
	s_delay_alu instid0(VALU_DEP_1) | instskip(NEXT) | instid1(VALU_DEP_2)
	v_add_co_u32 v13, vcc_lo, v13, s8
	v_add_co_ci_u32_e32 v14, vcc_lo, s9, v14, vcc_lo
	s_delay_alu instid0(VALU_DEP_2) | instskip(NEXT) | instid1(VALU_DEP_2)
	v_add_co_u32 v13, vcc_lo, 0x80, v13
	v_add_co_ci_u32_e32 v14, vcc_lo, 0, v14, vcc_lo
.LBB82_21:                              ; =>This Inner Loop Header: Depth=1
	s_clause 0x3
	global_load_b32 v36, v[13:14], off offset:-128
	global_load_b32 v37, v[13:14], off offset:-64
	global_load_b32 v38, v[13:14], off
	global_load_b32 v39, v[13:14], off offset:64
	s_clause 0x3
	global_load_b128 v[15:18], v[11:12], off
	global_load_b128 v[24:27], v[11:12], off offset:256
	global_load_b128 v[28:31], v[11:12], off offset:512
	;; [unrolled: 1-line block ×3, first 2 shown]
	v_add_co_u32 v11, vcc_lo, 0x400, v11
	v_add_co_ci_u32_e32 v12, vcc_lo, 0, v12, vcc_lo
	v_add_co_u32 v9, vcc_lo, v9, 64
	v_add_co_ci_u32_e32 v10, vcc_lo, 0, v10, vcc_lo
	;; [unrolled: 2-line block ×3, first 2 shown]
	s_waitcnt vmcnt(7)
	v_subrev_nc_u32_e32 v36, s18, v36
	s_waitcnt vmcnt(3)
	v_lshrrev_b32_e32 v51, 8, v17
	v_bfe_i32 v50, v17, 0, 8
	v_bfe_i32 v53, v18, 0, 8
	;; [unrolled: 1-line block ×3, first 2 shown]
	v_lshrrev_b32_e32 v43, 8, v15
	v_bfe_i32 v51, v51, 0, 8
	v_bfe_i32 v50, v50, 0, 16
	v_lshrrev_b32_e32 v44, 16, v15
	v_lshrrev_b32_e32 v45, 24, v15
	v_subrev_nc_u32_e32 v15, s18, v37
	v_bfe_i32 v53, v53, 0, 16
	v_bfe_i32 v46, v16, 0, 8
	v_lshrrev_b32_e32 v47, 8, v16
	v_lshrrev_b32_e32 v48, 16, v16
	;; [unrolled: 1-line block ×3, first 2 shown]
	v_subrev_nc_u32_e32 v16, s18, v38
	v_bfe_i32 v42, v42, 0, 16
	v_subrev_nc_u32_e32 v37, s18, v39
	v_bfe_i32 v51, v51, 0, 16
	v_cvt_f32_i32_e32 v50, v50
	v_lshlrev_b32_e32 v39, 2, v36
	v_cvt_f32_i32_e32 v53, v53
	v_lshlrev_b32_e32 v15, 2, v15
	;; [unrolled: 2-line block ×4, first 2 shown]
	v_ashrrev_i32_e32 v41, 31, v39
	v_ashrrev_i32_e32 v56, 31, v15
	;; [unrolled: 1-line block ×3, first 2 shown]
	s_waitcnt lgkmcnt(0)
	v_add_co_u32 v40, s5, s6, v39
	v_ashrrev_i32_e32 v58, 31, v37
	v_add_co_u32 v15, vcc_lo, s6, v15
	v_add_co_u32 v36, s3, s6, v16
	v_add_co_ci_u32_e64 v41, s5, s7, v41, s5
	v_add_co_u32 v38, s4, s6, v37
	v_add_co_ci_u32_e32 v16, vcc_lo, s7, v56, vcc_lo
	v_add_co_ci_u32_e64 v37, vcc_lo, s7, v57, s3
	v_add_co_ci_u32_e64 v39, vcc_lo, s7, v58, s4
	s_clause 0x3
	global_load_b32 v40, v[40:41], off
	global_load_b32 v15, v[15:16], off
	;; [unrolled: 1-line block ×4, first 2 shown]
	v_lshrrev_b32_e32 v52, 16, v17
	v_lshrrev_b32_e32 v17, 24, v17
	v_bfe_i32 v46, v46, 0, 16
	v_lshrrev_b32_e32 v54, 8, v18
	v_bfe_i32 v43, v43, 0, 8
	v_bfe_i32 v52, v52, 0, 8
	;; [unrolled: 1-line block ×3, first 2 shown]
	v_cvt_f32_i32_e32 v46, v46
	v_lshrrev_b32_e32 v55, 16, v18
	s_waitcnt vmcnt(6)
	v_bfe_i32 v58, v26, 0, 8
	v_bfe_i32 v52, v52, 0, 16
	v_bfe_i32 v44, v44, 0, 8
	v_bfe_i32 v54, v54, 0, 8
	v_bfe_i32 v43, v43, 0, 16
	v_bfe_i32 v17, v17, 0, 16
	v_cvt_f32_i32_e32 v52, v52
	v_lshrrev_b32_e32 v18, 24, v18
	v_bfe_i32 v45, v45, 0, 8
	v_bfe_i32 v47, v47, 0, 8
	;; [unrolled: 1-line block ×6, first 2 shown]
	v_cvt_f32_i32_e32 v43, v43
	v_cvt_f32_i32_e32 v17, v17
	v_bfe_i32 v48, v48, 0, 8
	v_bfe_i32 v49, v49, 0, 8
	;; [unrolled: 1-line block ×6, first 2 shown]
	v_cvt_f32_i32_e32 v58, v58
	v_cvt_f32_i32_e32 v44, v44
	;; [unrolled: 1-line block ×3, first 2 shown]
	v_lshrrev_b32_e32 v59, 8, v26
	v_bfe_i32 v61, v27, 0, 8
	v_lshrrev_b32_e32 v62, 8, v27
	v_bfe_i32 v48, v48, 0, 16
	v_bfe_i32 v49, v49, 0, 16
	;; [unrolled: 1-line block ×3, first 2 shown]
	v_cvt_f32_i32_e32 v45, v45
	v_cvt_f32_i32_e32 v47, v47
	;; [unrolled: 1-line block ×3, first 2 shown]
	v_bfe_i32 v37, v24, 0, 8
	v_lshrrev_b32_e32 v38, 8, v24
	v_bfe_i32 v41, v25, 0, 8
	v_lshrrev_b32_e32 v56, 8, v25
	v_lshrrev_b32_e32 v60, 16, v26
	;; [unrolled: 1-line block ×3, first 2 shown]
	v_bfe_i32 v59, v59, 0, 8
	v_bfe_i32 v62, v62, 0, 8
	;; [unrolled: 1-line block ×3, first 2 shown]
	v_cvt_f32_i32_e32 v48, v48
	v_cvt_f32_i32_e32 v49, v49
	;; [unrolled: 1-line block ×3, first 2 shown]
	v_lshrrev_b32_e32 v39, 16, v24
	v_lshrrev_b32_e32 v57, 16, v25
	;; [unrolled: 1-line block ×4, first 2 shown]
	v_bfe_i32 v38, v38, 0, 8
	v_bfe_i32 v56, v56, 0, 8
	;; [unrolled: 1-line block ×7, first 2 shown]
	v_cvt_f32_i32_e32 v61, v61
	v_bfe_i32 v62, v62, 0, 16
	v_lshrrev_b32_e32 v24, 24, v24
	v_lshrrev_b32_e32 v25, 24, v25
	v_bfe_i32 v39, v39, 0, 8
	v_bfe_i32 v57, v57, 0, 8
	;; [unrolled: 1-line block ×4, first 2 shown]
	v_cvt_f32_i32_e32 v37, v37
	v_bfe_i32 v38, v38, 0, 16
	v_cvt_f32_i32_e32 v41, v41
	v_bfe_i32 v56, v56, 0, 16
	v_bfe_i32 v60, v60, 0, 16
	;; [unrolled: 1-line block ×3, first 2 shown]
	v_cvt_f32_i32_e32 v59, v59
	v_cvt_f32_i32_e32 v62, v62
	s_waitcnt vmcnt(5)
	v_lshrrev_b32_e32 v66, 16, v28
	v_lshrrev_b32_e32 v69, 16, v29
	v_bfe_i32 v70, v30, 0, 8
	v_lshrrev_b32_e32 v71, 8, v30
	v_lshrrev_b32_e32 v72, 16, v30
	v_bfe_i32 v73, v31, 0, 8
	;; [unrolled: 3-line block ×3, first 2 shown]
	v_bfe_i32 v25, v25, 0, 8
	v_bfe_i32 v39, v39, 0, 16
	;; [unrolled: 1-line block ×5, first 2 shown]
	v_cvt_f32_i32_e32 v38, v38
	v_cvt_f32_i32_e32 v56, v56
	;; [unrolled: 1-line block ×4, first 2 shown]
	v_bfe_i32 v66, v66, 0, 8
	v_bfe_i32 v69, v69, 0, 8
	;; [unrolled: 1-line block ×10, first 2 shown]
	v_cvt_f32_i32_e32 v39, v39
	v_cvt_f32_i32_e32 v57, v57
	v_cvt_f32_i32_e32 v26, v26
	v_cvt_f32_i32_e32 v27, v27
	v_bfe_i32 v64, v28, 0, 8
	v_lshrrev_b32_e32 v65, 8, v28
	v_bfe_i32 v67, v29, 0, 8
	v_lshrrev_b32_e32 v68, 8, v29
	s_waitcnt vmcnt(4)
	v_bfe_i32 v76, v32, 0, 8
	v_bfe_i32 v79, v33, 0, 8
	;; [unrolled: 1-line block ×4, first 2 shown]
	v_cvt_f32_i32_e32 v70, v70
	v_bfe_i32 v71, v71, 0, 16
	v_bfe_i32 v72, v72, 0, 16
	v_cvt_f32_i32_e32 v73, v73
	v_bfe_i32 v74, v74, 0, 16
	v_bfe_i32 v75, v75, 0, 16
	v_cvt_f32_i32_e32 v24, v24
	v_cvt_f32_i32_e32 v25, v25
	v_bfe_i32 v82, v34, 0, 8
	v_lshrrev_b32_e32 v84, 16, v34
	v_bfe_i32 v85, v35, 0, 8
	v_lshrrev_b32_e32 v87, 16, v35
	v_bfe_i32 v65, v65, 0, 8
	v_bfe_i32 v68, v68, 0, 8
	;; [unrolled: 1-line block ×6, first 2 shown]
	v_cvt_f32_i32_e32 v66, v66
	v_cvt_f32_i32_e32 v69, v69
	;; [unrolled: 1-line block ×6, first 2 shown]
	v_lshrrev_b32_e32 v28, 24, v28
	v_lshrrev_b32_e32 v29, 24, v29
	v_bfe_i32 v84, v84, 0, 8
	v_bfe_i32 v87, v87, 0, 8
	;; [unrolled: 1-line block ×4, first 2 shown]
	v_cvt_f32_i32_e32 v64, v64
	v_bfe_i32 v65, v65, 0, 16
	v_cvt_f32_i32_e32 v67, v67
	v_bfe_i32 v68, v68, 0, 16
	v_cvt_f32_i32_e32 v76, v76
	v_cvt_f32_i32_e32 v79, v79
	v_lshrrev_b32_e32 v30, 24, v30
	v_lshrrev_b32_e32 v31, 24, v31
	v_bfe_i32 v28, v28, 0, 8
	v_bfe_i32 v29, v29, 0, 8
	v_cvt_f32_i32_e32 v82, v82
	v_bfe_i32 v84, v84, 0, 16
	v_cvt_f32_i32_e32 v85, v85
	v_bfe_i32 v87, v87, 0, 16
	v_cvt_f32_i32_e32 v65, v65
	v_cvt_f32_i32_e32 v68, v68
	v_lshrrev_b32_e32 v77, 8, v32
	v_lshrrev_b32_e32 v78, 16, v32
	;; [unrolled: 1-line block ×4, first 2 shown]
	v_bfe_i32 v30, v30, 0, 8
	v_bfe_i32 v31, v31, 0, 8
	;; [unrolled: 1-line block ×4, first 2 shown]
	v_cvt_f32_i32_e32 v84, v84
	v_cvt_f32_i32_e32 v87, v87
	v_bfe_i32 v77, v77, 0, 8
	v_bfe_i32 v78, v78, 0, 8
	v_bfe_i32 v80, v80, 0, 8
	v_bfe_i32 v81, v81, 0, 8
	v_bfe_i32 v30, v30, 0, 16
	v_bfe_i32 v31, v31, 0, 16
	v_cvt_f32_i32_e32 v28, v28
	v_cvt_f32_i32_e32 v29, v29
	v_lshrrev_b32_e32 v83, 8, v34
	v_lshrrev_b32_e32 v86, 8, v35
	v_bfe_i32 v77, v77, 0, 16
	v_bfe_i32 v78, v78, 0, 16
	;; [unrolled: 1-line block ×4, first 2 shown]
	v_cvt_f32_i32_e32 v30, v30
	v_cvt_f32_i32_e32 v31, v31
	v_bfe_i32 v83, v83, 0, 8
	v_bfe_i32 v86, v86, 0, 8
	v_cvt_f32_i32_e32 v77, v77
	v_cvt_f32_i32_e32 v78, v78
	v_cvt_f32_i32_e32 v80, v80
	v_cvt_f32_i32_e32 v81, v81
	v_lshrrev_b32_e32 v32, 24, v32
	v_lshrrev_b32_e32 v33, 24, v33
	v_lshrrev_b32_e32 v34, 24, v34
	v_lshrrev_b32_e32 v35, 24, v35
	v_bfe_i32 v83, v83, 0, 16
	v_bfe_i32 v86, v86, 0, 16
	;; [unrolled: 1-line block ×6, first 2 shown]
	v_cvt_f32_i32_e32 v83, v83
	v_cvt_f32_i32_e32 v86, v86
	v_bfe_i32 v32, v32, 0, 16
	v_bfe_i32 v33, v33, 0, 16
	;; [unrolled: 1-line block ×4, first 2 shown]
	v_cmp_ge_i64_e32 vcc_lo, v[9:10], v[2:3]
	v_cvt_f32_i32_e32 v32, v32
	v_cvt_f32_i32_e32 v33, v33
	;; [unrolled: 1-line block ×4, first 2 shown]
	s_or_b32 s14, vcc_lo, s14
	s_waitcnt vmcnt(3)
	v_bfe_i32 v89, v40, 0, 8
	v_lshrrev_b32_e32 v90, 8, v40
	v_lshrrev_b32_e32 v88, 16, v40
	v_lshrrev_b32_e32 v40, 24, v40
	s_waitcnt vmcnt(2)
	v_bfe_i32 v92, v15, 0, 8
	v_bfe_i32 v89, v89, 0, 16
	;; [unrolled: 1-line block ×6, first 2 shown]
	v_cvt_f32_i32_e32 v89, v89
	v_bfe_i32 v90, v90, 0, 16
	v_bfe_i32 v88, v88, 0, 16
	v_bfe_i32 v40, v40, 0, 16
	v_cvt_f32_i32_e32 v92, v92
	v_fmac_f32_e32 v21, v42, v89
	v_cvt_f32_i32_e32 v42, v90
	v_fmac_f32_e32 v22, v50, v89
	;; [unrolled: 2-line block ×3, first 2 shown]
	v_lshrrev_b32_e32 v93, 8, v15
	v_lshrrev_b32_e32 v91, 16, v15
	v_dual_fmac_f32 v22, v51, v42 :: v_dual_fmac_f32 v23, v46, v89
	v_cvt_f32_i32_e32 v46, v88
	s_delay_alu instid0(VALU_DEP_4)
	v_bfe_i32 v93, v93, 0, 8
	v_lshrrev_b32_e32 v15, 24, v15
	v_bfe_i32 v91, v91, 0, 8
	s_waitcnt vmcnt(1)
	v_lshrrev_b32_e32 v94, 16, v16
	v_fmac_f32_e32 v22, v52, v46
	v_fmac_f32_e32 v21, v43, v42
	v_bfe_i32 v93, v93, 0, 16
	v_bfe_i32 v15, v15, 0, 8
	;; [unrolled: 1-line block ×3, first 2 shown]
	s_delay_alu instid0(VALU_DEP_4) | instskip(NEXT) | instid1(VALU_DEP_4)
	v_dual_fmac_f32 v22, v17, v40 :: v_dual_fmac_f32 v21, v44, v46
	v_cvt_f32_i32_e32 v17, v93
	v_bfe_i32 v95, v16, 0, 8
	v_lshrrev_b32_e32 v96, 8, v16
	s_delay_alu instid0(VALU_DEP_4) | instskip(SKIP_2) | instid1(VALU_DEP_4)
	v_fmac_f32_e32 v22, v58, v92
	v_dual_fmac_f32 v20, v54, v42 :: v_dual_fmac_f32 v21, v45, v40
	v_bfe_i32 v15, v15, 0, 16
	v_bfe_i32 v96, v96, 0, 8
	s_delay_alu instid0(VALU_DEP_4) | instskip(NEXT) | instid1(VALU_DEP_4)
	v_fmac_f32_e32 v22, v59, v17
	v_fmac_f32_e32 v20, v55, v46
	;; [unrolled: 1-line block ×4, first 2 shown]
	v_bfe_i32 v94, v94, 0, 8
	v_bfe_i32 v95, v95, 0, 16
	s_delay_alu instid0(VALU_DEP_4) | instskip(SKIP_3) | instid1(VALU_DEP_4)
	v_dual_fmac_f32 v20, v18, v40 :: v_dual_fmac_f32 v23, v48, v46
	v_cvt_f32_i32_e32 v18, v91
	v_fmac_f32_e32 v21, v38, v17
	v_cvt_f32_i32_e32 v15, v15
	v_fmac_f32_e32 v20, v61, v92
	s_delay_alu instid0(VALU_DEP_4) | instskip(SKIP_3) | instid1(VALU_DEP_3)
	v_dual_fmac_f32 v23, v49, v40 :: v_dual_fmac_f32 v22, v60, v18
	s_waitcnt vmcnt(0)
	v_bfe_i32 v98, v36, 0, 8
	v_cvt_f32_i32_e32 v95, v95
	v_dual_fmac_f32 v20, v62, v17 :: v_dual_fmac_f32 v23, v41, v92
	v_bfe_i32 v96, v96, 0, 16
	v_bfe_i32 v94, v94, 0, 16
	v_dual_fmac_f32 v21, v39, v18 :: v_dual_fmac_f32 v22, v26, v15
	s_delay_alu instid0(VALU_DEP_4) | instskip(SKIP_3) | instid1(VALU_DEP_4)
	v_dual_fmac_f32 v23, v56, v17 :: v_dual_fmac_f32 v20, v63, v18
	v_lshrrev_b32_e32 v97, 16, v36
	v_bfe_i32 v98, v98, 0, 16
	v_lshrrev_b32_e32 v16, 24, v16
	v_dual_fmac_f32 v23, v57, v18 :: v_dual_fmac_f32 v20, v27, v15
	v_cvt_f32_i32_e32 v18, v94
	v_fmac_f32_e32 v21, v24, v15
	v_fmac_f32_e32 v22, v70, v95
	s_delay_alu instid0(VALU_DEP_4)
	v_fmac_f32_e32 v23, v25, v15
	v_cvt_f32_i32_e32 v15, v96
	v_fmac_f32_e32 v20, v73, v95
	v_bfe_i32 v97, v97, 0, 8
	v_cvt_f32_i32_e32 v98, v98
	v_bfe_i32 v16, v16, 0, 8
	v_fmac_f32_e32 v22, v71, v15
	v_fmac_f32_e32 v20, v74, v15
	v_bfe_i32 v17, v97, 0, 16
	v_lshrrev_b32_e32 v99, 8, v36
	v_bfe_i32 v16, v16, 0, 16
	v_dual_fmac_f32 v22, v72, v18 :: v_dual_fmac_f32 v23, v67, v95
	v_dual_fmac_f32 v20, v75, v18 :: v_dual_fmac_f32 v21, v64, v95
	v_cvt_f32_i32_e32 v17, v17
	v_bfe_i32 v99, v99, 0, 8
	s_delay_alu instid0(VALU_DEP_4)
	v_fmac_f32_e32 v23, v68, v15
	v_lshrrev_b32_e32 v36, 24, v36
	v_fmac_f32_e32 v21, v65, v15
	v_cvt_f32_i32_e32 v15, v16
	v_bfe_i32 v42, v99, 0, 16
	v_fmac_f32_e32 v23, v69, v18
	v_bfe_i32 v36, v36, 0, 8
	v_fmac_f32_e32 v21, v66, v18
	v_fmac_f32_e32 v22, v30, v15
	;; [unrolled: 1-line block ×4, first 2 shown]
	v_bfe_i32 v16, v36, 0, 16
	v_fmac_f32_e32 v21, v28, v15
	v_cvt_f32_i32_e32 v15, v42
	s_delay_alu instid0(VALU_DEP_4) | instskip(NEXT) | instid1(VALU_DEP_3)
	v_fmac_f32_e32 v23, v79, v98
	v_fmac_f32_e32 v21, v76, v98
	s_delay_alu instid0(VALU_DEP_2) | instskip(NEXT) | instid1(VALU_DEP_2)
	v_fmac_f32_e32 v23, v80, v15
	v_fmac_f32_e32 v21, v77, v15
	s_delay_alu instid0(VALU_DEP_2) | instskip(NEXT) | instid1(VALU_DEP_2)
	v_dual_fmac_f32 v23, v81, v17 :: v_dual_fmac_f32 v22, v82, v98
	v_dual_fmac_f32 v21, v78, v17 :: v_dual_fmac_f32 v20, v85, v98
	s_delay_alu instid0(VALU_DEP_2) | instskip(NEXT) | instid1(VALU_DEP_2)
	v_fmac_f32_e32 v22, v83, v15
	v_fmac_f32_e32 v20, v86, v15
	v_cvt_f32_i32_e32 v15, v16
	s_delay_alu instid0(VALU_DEP_3) | instskip(NEXT) | instid1(VALU_DEP_2)
	v_fmac_f32_e32 v22, v84, v17
	v_dual_fmac_f32 v20, v87, v17 :: v_dual_fmac_f32 v21, v32, v15
	v_fmac_f32_e32 v23, v33, v15
	s_delay_alu instid0(VALU_DEP_3) | instskip(NEXT) | instid1(VALU_DEP_3)
	v_fmac_f32_e32 v22, v34, v15
	v_fmac_f32_e32 v20, v35, v15
	s_and_not1_b32 exec_lo, exec_lo, s14
	s_cbranch_execnz .LBB82_21
; %bb.22:
	s_or_b32 exec_lo, exec_lo, s14
.LBB82_23:
	s_delay_alu instid0(SALU_CYCLE_1)
	s_or_b32 exec_lo, exec_lo, s13
.LBB82_24:
	s_delay_alu instid0(SALU_CYCLE_1) | instskip(NEXT) | instid1(SALU_CYCLE_1)
	s_or_b32 exec_lo, exec_lo, s11
	s_and_not1_b32 vcc_lo, exec_lo, s10
	s_cbranch_vccz .LBB82_26
	s_branch .LBB82_37
.LBB82_25:
                                        ; implicit-def: $vgpr20
                                        ; implicit-def: $vgpr22
                                        ; implicit-def: $vgpr23
                                        ; implicit-def: $vgpr21
.LBB82_26:
	v_dual_mov_b32 v20, 0 :: v_dual_mov_b32 v23, 0
	v_dual_mov_b32 v22, 0 :: v_dual_mov_b32 v21, 0
	s_and_saveexec_b32 s5, s2
	s_cbranch_execz .LBB82_36
; %bb.27:
	v_or_b32_e32 v9, 16, v19
	v_mov_b32_e32 v21, 0
	v_dual_mov_b32 v23, 0 :: v_dual_mov_b32 v22, 0
	v_mov_b32_e32 v20, 0
	s_delay_alu instid0(VALU_DEP_4) | instskip(NEXT) | instid1(VALU_DEP_1)
	v_sub_co_u32 v9, s2, v9, s18
	v_sub_co_ci_u32_e64 v10, null, 0, 0, s2
	v_sub_co_u32 v11, s2, s18, v19
	s_delay_alu instid0(VALU_DEP_3) | instskip(NEXT) | instid1(VALU_DEP_3)
	v_add_co_u32 v9, vcc_lo, v9, v7
	v_add_co_ci_u32_e32 v10, vcc_lo, v10, v8, vcc_lo
	v_not_b32_e32 v7, v7
	v_not_b32_e32 v8, v8
	v_sub_co_ci_u32_e64 v12, null, 0, 0, s2
	s_delay_alu instid0(VALU_DEP_4) | instskip(SKIP_4) | instid1(VALU_DEP_2)
	v_cmp_gt_i64_e32 vcc_lo, v[9:10], v[2:3]
	s_mov_b32 s2, exec_lo
	v_dual_cndmask_b32 v10, v3, v10 :: v_dual_cndmask_b32 v9, v2, v9
	v_add_co_u32 v7, vcc_lo, v11, v7
	v_add_co_ci_u32_e32 v8, vcc_lo, v12, v8, vcc_lo
	v_add_co_u32 v7, vcc_lo, v7, v9
	s_delay_alu instid0(VALU_DEP_2) | instskip(NEXT) | instid1(VALU_DEP_2)
	v_add_co_ci_u32_e32 v8, vcc_lo, v8, v10, vcc_lo
	v_lshrrev_b32_e32 v9, 4, v7
	s_delay_alu instid0(VALU_DEP_1) | instskip(NEXT) | instid1(VALU_DEP_1)
	v_add_nc_u32_e32 v9, 1, v9
	v_and_b32_e32 v9, 3, v9
	s_delay_alu instid0(VALU_DEP_1)
	v_cmpx_ne_u32_e32 0, v9
	s_cbranch_execz .LBB82_31
; %bb.28:
	v_lshlrev_b64 v[11:12], 2, v[0:1]
	v_dual_mov_b32 v10, 0 :: v_dual_lshlrev_b32 v9, 2, v9
	s_mov_b32 s3, 0
	s_delay_alu instid0(VALU_DEP_1) | instskip(NEXT) | instid1(VALU_DEP_3)
	v_mov_b32_e32 v20, v10
	v_add_co_u32 v11, vcc_lo, s8, v11
	s_delay_alu instid0(VALU_DEP_4)
	v_add_co_ci_u32_e32 v12, vcc_lo, s9, v12, vcc_lo
	v_mov_b32_e32 v22, v10
	v_mov_b32_e32 v23, v10
	v_mov_b32_e32 v21, v10
.LBB82_29:                              ; =>This Inner Loop Header: Depth=1
	global_load_b32 v17, v[11:12], off
	global_load_b128 v[13:16], v[5:6], off
	s_waitcnt vmcnt(1)
	v_subrev_nc_u32_e32 v17, s18, v17
	s_waitcnt vmcnt(0)
	v_lshrrev_b32_e32 v25, 16, v13
	v_lshrrev_b32_e32 v24, 8, v13
	;; [unrolled: 1-line block ×3, first 2 shown]
	v_bfe_i32 v26, v14, 0, 8
	v_lshrrev_b32_e32 v27, 8, v14
	v_bfe_i32 v25, v25, 0, 8
	v_lshrrev_b32_e32 v14, 24, v14
	v_bfe_i32 v24, v24, 0, 8
	v_bfe_i32 v28, v28, 0, 8
	;; [unrolled: 1-line block ×4, first 2 shown]
	v_lshrrev_b32_e32 v30, 8, v15
	v_lshrrev_b32_e32 v31, 16, v15
	;; [unrolled: 1-line block ×3, first 2 shown]
	v_bfe_i32 v27, v27, 0, 8
	v_cvt_f32_i32_e32 v25, v25
	v_lshlrev_b32_e32 v17, 2, v17
	v_bfe_i32 v14, v14, 0, 8
	v_bfe_i32 v26, v26, 0, 16
	;; [unrolled: 1-line block ×4, first 2 shown]
	v_ashrrev_i32_e32 v18, 31, v17
	s_waitcnt lgkmcnt(0)
	v_add_co_u32 v17, vcc_lo, s6, v17
	v_bfe_i32 v32, v16, 0, 8
	v_lshrrev_b32_e32 v33, 8, v16
	v_add_co_ci_u32_e32 v18, vcc_lo, s7, v18, vcc_lo
	v_lshrrev_b32_e32 v34, 16, v16
	v_lshrrev_b32_e32 v16, 24, v16
	v_bfe_i32 v30, v30, 0, 8
	global_load_b32 v17, v[17:18], off
	v_bfe_i32 v18, v13, 0, 8
	v_lshrrev_b32_e32 v13, 24, v13
	v_bfe_i32 v31, v31, 0, 8
	v_bfe_i32 v15, v15, 0, 8
	v_cvt_f32_i32_e32 v26, v26
	v_bfe_i32 v18, v18, 0, 16
	v_bfe_i32 v13, v13, 0, 8
	;; [unrolled: 1-line block ×4, first 2 shown]
	v_cvt_f32_i32_e32 v24, v24
	v_cvt_f32_i32_e32 v18, v18
	v_bfe_i32 v13, v13, 0, 16
	v_cvt_f32_i32_e32 v28, v28
	v_add_co_u32 v5, vcc_lo, 0x100, v5
	v_add_co_ci_u32_e32 v6, vcc_lo, 0, v6, vcc_lo
	s_delay_alu instid0(VALU_DEP_4)
	v_cvt_f32_i32_e32 v13, v13
	v_add_co_u32 v0, vcc_lo, v0, 16
	v_bfe_i32 v33, v33, 0, 8
	v_bfe_i32 v34, v34, 0, 8
	;; [unrolled: 1-line block ×7, first 2 shown]
	v_cvt_f32_i32_e32 v27, v27
	v_cvt_f32_i32_e32 v14, v14
	v_add_co_ci_u32_e32 v1, vcc_lo, 0, v1, vcc_lo
	v_add_co_u32 v11, vcc_lo, v11, 64
	v_add_co_ci_u32_e32 v12, vcc_lo, 0, v12, vcc_lo
	v_add_co_u32 v9, vcc_lo, v9, -4
	v_bfe_i32 v32, v32, 0, 16
	v_cvt_f32_i32_e32 v29, v29
	v_bfe_i32 v33, v33, 0, 16
	v_bfe_i32 v34, v34, 0, 16
	;; [unrolled: 1-line block ×3, first 2 shown]
	v_cvt_f32_i32_e32 v30, v30
	v_cvt_f32_i32_e32 v31, v31
	;; [unrolled: 1-line block ×3, first 2 shown]
	v_add_co_ci_u32_e32 v10, vcc_lo, -1, v10, vcc_lo
	v_cvt_f32_i32_e32 v32, v32
	v_cvt_f32_i32_e32 v33, v33
	;; [unrolled: 1-line block ×4, first 2 shown]
	v_cmp_eq_u64_e32 vcc_lo, 0, v[9:10]
	s_or_b32 s3, vcc_lo, s3
	s_waitcnt vmcnt(0)
	v_bfe_i32 v35, v17, 0, 8
	v_lshrrev_b32_e32 v36, 8, v17
	v_lshrrev_b32_e32 v37, 16, v17
	;; [unrolled: 1-line block ×3, first 2 shown]
	s_delay_alu instid0(VALU_DEP_4) | instskip(NEXT) | instid1(VALU_DEP_4)
	v_bfe_i32 v35, v35, 0, 16
	v_bfe_i32 v36, v36, 0, 8
	s_delay_alu instid0(VALU_DEP_4) | instskip(NEXT) | instid1(VALU_DEP_4)
	v_bfe_i32 v37, v37, 0, 8
	v_bfe_i32 v17, v17, 0, 8
	s_delay_alu instid0(VALU_DEP_4) | instskip(NEXT) | instid1(VALU_DEP_4)
	v_cvt_f32_i32_e32 v35, v35
	v_bfe_i32 v36, v36, 0, 16
	s_delay_alu instid0(VALU_DEP_4) | instskip(NEXT) | instid1(VALU_DEP_4)
	v_bfe_i32 v37, v37, 0, 16
	v_bfe_i32 v17, v17, 0, 16
	s_delay_alu instid0(VALU_DEP_4) | instskip(SKIP_2) | instid1(VALU_DEP_1)
	v_fmac_f32_e32 v22, v25, v35
	v_fmac_f32_e32 v21, v18, v35
	v_cvt_f32_i32_e32 v18, v36
	v_fmac_f32_e32 v22, v28, v18
	s_delay_alu instid0(VALU_DEP_3) | instskip(SKIP_2) | instid1(VALU_DEP_3)
	v_dual_fmac_f32 v20, v13, v35 :: v_dual_fmac_f32 v21, v26, v18
	v_fmac_f32_e32 v23, v24, v35
	v_cvt_f32_i32_e32 v13, v37
	v_fmac_f32_e32 v20, v14, v18
	v_cvt_f32_i32_e32 v14, v17
	s_delay_alu instid0(VALU_DEP_4) | instskip(NEXT) | instid1(VALU_DEP_4)
	v_fmac_f32_e32 v23, v27, v18
	v_fmac_f32_e32 v22, v31, v13
	;; [unrolled: 1-line block ×4, first 2 shown]
	s_delay_alu instid0(VALU_DEP_4) | instskip(NEXT) | instid1(VALU_DEP_4)
	v_fmac_f32_e32 v23, v30, v13
	v_fmac_f32_e32 v22, v34, v14
	s_delay_alu instid0(VALU_DEP_4) | instskip(NEXT) | instid1(VALU_DEP_4)
	v_fmac_f32_e32 v21, v32, v14
	v_fmac_f32_e32 v20, v16, v14
	s_delay_alu instid0(VALU_DEP_4)
	v_fmac_f32_e32 v23, v33, v14
	s_and_not1_b32 exec_lo, exec_lo, s3
	s_cbranch_execnz .LBB82_29
; %bb.30:
	s_or_b32 exec_lo, exec_lo, s3
.LBB82_31:
	s_delay_alu instid0(SALU_CYCLE_1) | instskip(NEXT) | instid1(SALU_CYCLE_1)
	s_or_b32 exec_lo, exec_lo, s2
	s_mov_b32 s10, exec_lo
	v_cmpx_lt_u64_e32 47, v[7:8]
	s_cbranch_execz .LBB82_35
; %bb.32:
	v_lshlrev_b64 v[7:8], 2, v[0:1]
	s_delay_alu instid0(VALU_DEP_1) | instskip(NEXT) | instid1(VALU_DEP_2)
	v_add_co_u32 v7, vcc_lo, v7, s8
	v_add_co_ci_u32_e32 v8, vcc_lo, s9, v8, vcc_lo
	s_mov_b32 s8, 0
	s_delay_alu instid0(VALU_DEP_2) | instskip(NEXT) | instid1(VALU_DEP_2)
	v_add_co_u32 v7, vcc_lo, 0x80, v7
	v_add_co_ci_u32_e32 v8, vcc_lo, 0, v8, vcc_lo
.LBB82_33:                              ; =>This Inner Loop Header: Depth=1
	s_clause 0x3
	global_load_b32 v17, v[7:8], off offset:-128
	global_load_b32 v18, v[7:8], off offset:-64
	global_load_b32 v32, v[7:8], off
	global_load_b32 v33, v[7:8], off offset:64
	s_clause 0x3
	global_load_b128 v[9:12], v[5:6], off
	global_load_b128 v[13:16], v[5:6], off offset:256
	global_load_b128 v[24:27], v[5:6], off offset:512
	;; [unrolled: 1-line block ×3, first 2 shown]
	v_add_co_u32 v5, vcc_lo, 0x400, v5
	v_add_co_ci_u32_e32 v6, vcc_lo, 0, v6, vcc_lo
	v_add_co_u32 v0, vcc_lo, v0, 64
	v_add_co_ci_u32_e32 v1, vcc_lo, 0, v1, vcc_lo
	;; [unrolled: 2-line block ×3, first 2 shown]
	s_waitcnt vmcnt(7)
	v_subrev_nc_u32_e32 v17, s18, v17
	s_waitcnt vmcnt(3)
	v_lshrrev_b32_e32 v38, 16, v9
	v_lshrrev_b32_e32 v39, 24, v9
	;; [unrolled: 1-line block ×3, first 2 shown]
	v_bfe_i32 v36, v9, 0, 8
	v_subrev_nc_u32_e32 v9, s18, v18
	v_bfe_i32 v38, v38, 0, 8
	v_bfe_i32 v39, v39, 0, 8
	;; [unrolled: 1-line block ×4, first 2 shown]
	v_lshrrev_b32_e32 v41, 8, v10
	v_bfe_i32 v38, v38, 0, 16
	v_bfe_i32 v39, v39, 0, 16
	v_lshrrev_b32_e32 v42, 16, v10
	v_lshrrev_b32_e32 v43, 24, v10
	v_subrev_nc_u32_e32 v10, s18, v32
	v_bfe_i32 v36, v36, 0, 16
	v_subrev_nc_u32_e32 v18, s18, v33
	v_bfe_i32 v37, v37, 0, 16
	v_cvt_f32_i32_e32 v38, v38
	v_lshlrev_b32_e32 v33, 2, v17
	v_cvt_f32_i32_e32 v39, v39
	v_lshlrev_b32_e32 v9, 2, v9
	v_cvt_f32_i32_e32 v36, v36
	v_lshlrev_b32_e32 v10, 2, v10
	v_cvt_f32_i32_e32 v37, v37
	v_lshlrev_b32_e32 v18, 2, v18
	v_ashrrev_i32_e32 v35, 31, v33
	v_ashrrev_i32_e32 v50, 31, v9
	v_ashrrev_i32_e32 v51, 31, v10
	s_waitcnt lgkmcnt(0)
	v_add_co_u32 v34, s4, s6, v33
	v_ashrrev_i32_e32 v52, 31, v18
	v_add_co_u32 v9, vcc_lo, s6, v9
	v_add_co_u32 v17, s2, s6, v10
	v_add_co_ci_u32_e64 v35, s4, s7, v35, s4
	v_add_co_u32 v32, s3, s6, v18
	v_add_co_ci_u32_e32 v10, vcc_lo, s7, v50, vcc_lo
	v_add_co_ci_u32_e64 v18, vcc_lo, s7, v51, s2
	v_add_co_ci_u32_e64 v33, vcc_lo, s7, v52, s3
	s_clause 0x3
	global_load_b32 v34, v[34:35], off
	global_load_b32 v9, v[9:10], off
	;; [unrolled: 1-line block ×4, first 2 shown]
	v_bfe_i32 v44, v11, 0, 8
	v_lshrrev_b32_e32 v45, 8, v11
	v_lshrrev_b32_e32 v46, 16, v11
	;; [unrolled: 1-line block ×3, first 2 shown]
	v_bfe_i32 v43, v43, 0, 8
	v_bfe_i32 v47, v12, 0, 8
	v_lshrrev_b32_e32 v48, 8, v12
	v_lshrrev_b32_e32 v49, 16, v12
	;; [unrolled: 1-line block ×3, first 2 shown]
	v_bfe_i32 v41, v41, 0, 8
	v_bfe_i32 v42, v42, 0, 8
	;; [unrolled: 1-line block ×5, first 2 shown]
	s_waitcnt vmcnt(6)
	v_bfe_i32 v18, v13, 0, 8
	v_lshrrev_b32_e32 v32, 8, v13
	v_lshrrev_b32_e32 v33, 16, v13
	;; [unrolled: 1-line block ×4, first 2 shown]
	v_bfe_i32 v46, v46, 0, 8
	v_bfe_i32 v12, v12, 0, 8
	;; [unrolled: 1-line block ×7, first 2 shown]
	v_cvt_f32_i32_e32 v43, v43
	v_bfe_i32 v35, v14, 0, 8
	v_lshrrev_b32_e32 v51, 16, v14
	v_lshrrev_b32_e32 v14, 24, v14
	v_bfe_i32 v44, v44, 0, 16
	v_bfe_i32 v13, v13, 0, 8
	;; [unrolled: 1-line block ×3, first 2 shown]
	v_cvt_f32_i32_e32 v40, v40
	v_bfe_i32 v46, v46, 0, 16
	v_bfe_i32 v12, v12, 0, 16
	v_cvt_f32_i32_e32 v41, v41
	v_cvt_f32_i32_e32 v42, v42
	;; [unrolled: 1-line block ×4, first 2 shown]
	v_bfe_i32 v52, v15, 0, 8
	v_lshrrev_b32_e32 v53, 8, v15
	v_lshrrev_b32_e32 v54, 16, v15
	;; [unrolled: 1-line block ×3, first 2 shown]
	v_bfe_i32 v55, v16, 0, 8
	v_bfe_i32 v47, v47, 0, 16
	;; [unrolled: 1-line block ×3, first 2 shown]
	v_cvt_f32_i32_e32 v44, v44
	v_bfe_i32 v13, v13, 0, 16
	v_bfe_i32 v50, v50, 0, 16
	v_cvt_f32_i32_e32 v46, v46
	v_cvt_f32_i32_e32 v12, v12
	v_bfe_i32 v49, v49, 0, 8
	v_bfe_i32 v15, v15, 0, 8
	;; [unrolled: 1-line block ×4, first 2 shown]
	v_cvt_f32_i32_e32 v47, v47
	v_bfe_i32 v14, v14, 0, 16
	v_cvt_f32_i32_e32 v13, v13
	v_cvt_f32_i32_e32 v50, v50
	v_bfe_i32 v48, v48, 0, 8
	v_bfe_i32 v33, v33, 0, 8
	;; [unrolled: 1-line block ×4, first 2 shown]
	v_cvt_f32_i32_e32 v18, v18
	v_bfe_i32 v15, v15, 0, 16
	v_cvt_f32_i32_e32 v55, v55
	v_cvt_f32_i32_e32 v14, v14
	v_bfe_i32 v32, v32, 0, 8
	v_bfe_i32 v51, v51, 0, 8
	;; [unrolled: 1-line block ×5, first 2 shown]
	v_cvt_f32_i32_e32 v35, v35
	v_cvt_f32_i32_e32 v49, v49
	;; [unrolled: 1-line block ×3, first 2 shown]
	v_bfe_i32 v54, v54, 0, 8
	v_bfe_i32 v32, v32, 0, 16
	;; [unrolled: 1-line block ×3, first 2 shown]
	v_cvt_f32_i32_e32 v52, v52
	v_cvt_f32_i32_e32 v48, v48
	;; [unrolled: 1-line block ×3, first 2 shown]
	v_lshrrev_b32_e32 v56, 8, v16
	v_lshrrev_b32_e32 v57, 16, v16
	;; [unrolled: 1-line block ×3, first 2 shown]
	s_waitcnt vmcnt(4)
	v_lshrrev_b32_e32 v72, 16, v28
	v_bfe_i32 v53, v53, 0, 8
	v_bfe_i32 v54, v54, 0, 16
	v_cvt_f32_i32_e32 v32, v32
	v_cvt_f32_i32_e32 v51, v51
	v_bfe_i32 v58, v24, 0, 8
	v_lshrrev_b32_e32 v59, 8, v24
	v_lshrrev_b32_e32 v60, 16, v24
	;; [unrolled: 1-line block ×5, first 2 shown]
	v_bfe_i32 v56, v56, 0, 8
	v_bfe_i32 v57, v57, 0, 8
	;; [unrolled: 1-line block ×5, first 2 shown]
	v_cvt_f32_i32_e32 v54, v54
	v_bfe_i32 v61, v25, 0, 8
	v_lshrrev_b32_e32 v62, 8, v25
	v_lshrrev_b32_e32 v63, 16, v25
	;; [unrolled: 1-line block ×3, first 2 shown]
	v_bfe_i32 v70, v28, 0, 8
	v_lshrrev_b32_e32 v28, 24, v28
	v_bfe_i32 v76, v30, 0, 8
	v_lshrrev_b32_e32 v77, 8, v30
	v_lshrrev_b32_e32 v30, 24, v30
	v_bfe_i32 v59, v59, 0, 8
	v_bfe_i32 v60, v60, 0, 8
	v_bfe_i32 v24, v24, 0, 8
	v_bfe_i32 v71, v71, 0, 8
	v_bfe_i32 v78, v78, 0, 8
	v_bfe_i32 v56, v56, 0, 16
	v_bfe_i32 v57, v57, 0, 16
	v_bfe_i32 v16, v16, 0, 16
	v_bfe_i32 v72, v72, 0, 16
	v_cvt_f32_i32_e32 v53, v53
	v_bfe_i32 v64, v26, 0, 8
	v_lshrrev_b32_e32 v65, 8, v26
	v_lshrrev_b32_e32 v66, 16, v26
	;; [unrolled: 1-line block ×3, first 2 shown]
	v_bfe_i32 v62, v62, 0, 8
	v_bfe_i32 v63, v63, 0, 8
	;; [unrolled: 1-line block ×13, first 2 shown]
	v_cvt_f32_i32_e32 v56, v56
	v_cvt_f32_i32_e32 v57, v57
	;; [unrolled: 1-line block ×4, first 2 shown]
	v_bfe_i32 v67, v27, 0, 8
	v_lshrrev_b32_e32 v68, 8, v27
	v_lshrrev_b32_e32 v69, 16, v27
	;; [unrolled: 1-line block ×3, first 2 shown]
	v_bfe_i32 v65, v65, 0, 8
	v_bfe_i32 v66, v66, 0, 8
	v_bfe_i32 v26, v26, 0, 8
	v_bfe_i32 v61, v61, 0, 16
	v_cvt_f32_i32_e32 v58, v58
	v_bfe_i32 v62, v62, 0, 16
	v_bfe_i32 v63, v63, 0, 16
	;; [unrolled: 1-line block ×3, first 2 shown]
	v_cvt_f32_i32_e32 v70, v70
	v_bfe_i32 v28, v28, 0, 16
	v_bfe_i32 v77, v77, 0, 16
	;; [unrolled: 1-line block ×3, first 2 shown]
	v_cvt_f32_i32_e32 v59, v59
	v_cvt_f32_i32_e32 v60, v60
	;; [unrolled: 1-line block ×5, first 2 shown]
	v_bfe_i32 v68, v68, 0, 8
	v_bfe_i32 v69, v69, 0, 8
	;; [unrolled: 1-line block ×5, first 2 shown]
	v_cvt_f32_i32_e32 v61, v61
	v_bfe_i32 v65, v65, 0, 16
	v_bfe_i32 v66, v66, 0, 16
	;; [unrolled: 1-line block ×3, first 2 shown]
	v_cvt_f32_i32_e32 v62, v62
	v_cvt_f32_i32_e32 v63, v63
	;; [unrolled: 1-line block ×6, first 2 shown]
	v_bfe_i32 v73, v29, 0, 8
	v_lshrrev_b32_e32 v74, 8, v29
	v_lshrrev_b32_e32 v75, 16, v29
	;; [unrolled: 1-line block ×3, first 2 shown]
	v_bfe_i32 v67, v67, 0, 16
	v_cvt_f32_i32_e32 v64, v64
	v_bfe_i32 v68, v68, 0, 16
	v_bfe_i32 v69, v69, 0, 16
	v_bfe_i32 v27, v27, 0, 16
	v_cvt_f32_i32_e32 v76, v76
	v_cvt_f32_i32_e32 v65, v65
	v_cvt_f32_i32_e32 v66, v66
	v_cvt_f32_i32_e32 v26, v26
	v_bfe_i32 v74, v74, 0, 8
	v_bfe_i32 v75, v75, 0, 8
	v_bfe_i32 v29, v29, 0, 8
	v_cvt_f32_i32_e32 v67, v67
	v_cvt_f32_i32_e32 v68, v68
	;; [unrolled: 1-line block ×4, first 2 shown]
	v_bfe_i32 v79, v31, 0, 8
	v_lshrrev_b32_e32 v80, 8, v31
	v_lshrrev_b32_e32 v81, 16, v31
	;; [unrolled: 1-line block ×3, first 2 shown]
	v_bfe_i32 v73, v73, 0, 16
	v_bfe_i32 v74, v74, 0, 16
	;; [unrolled: 1-line block ×7, first 2 shown]
	v_cvt_f32_i32_e32 v73, v73
	v_cvt_f32_i32_e32 v74, v74
	v_cvt_f32_i32_e32 v75, v75
	v_cvt_f32_i32_e32 v29, v29
	v_bfe_i32 v79, v79, 0, 16
	v_bfe_i32 v80, v80, 0, 16
	;; [unrolled: 1-line block ×4, first 2 shown]
	v_cmp_ge_i64_e32 vcc_lo, v[0:1], v[2:3]
	v_cvt_f32_i32_e32 v79, v79
	v_cvt_f32_i32_e32 v80, v80
	;; [unrolled: 1-line block ×4, first 2 shown]
	s_or_b32 s8, vcc_lo, s8
	s_waitcnt vmcnt(3)
	v_bfe_i32 v83, v34, 0, 8
	v_lshrrev_b32_e32 v84, 8, v34
	v_lshrrev_b32_e32 v82, 16, v34
	;; [unrolled: 1-line block ×3, first 2 shown]
	s_waitcnt vmcnt(2)
	v_lshrrev_b32_e32 v85, 16, v9
	v_bfe_i32 v83, v83, 0, 16
	v_bfe_i32 v84, v84, 0, 8
	;; [unrolled: 1-line block ×5, first 2 shown]
	v_cvt_f32_i32_e32 v83, v83
	v_bfe_i32 v84, v84, 0, 16
	v_bfe_i32 v82, v82, 0, 16
	v_lshrrev_b32_e32 v87, 8, v9
	v_lshrrev_b32_e32 v9, 24, v9
	v_fmac_f32_e32 v23, v37, v83
	v_fmac_f32_e32 v21, v36, v83
	v_cvt_f32_i32_e32 v36, v84
	v_fmac_f32_e32 v20, v39, v83
	v_bfe_i32 v34, v34, 0, 16
	v_fmac_f32_e32 v22, v38, v83
	v_cvt_f32_i32_e32 v37, v82
	v_bfe_i32 v87, v87, 0, 8
	v_fmac_f32_e32 v20, v43, v36
	v_bfe_i32 v9, v9, 0, 8
	v_bfe_i32 v86, v86, 0, 16
	v_fmac_f32_e32 v23, v41, v36
	v_fmac_f32_e32 v22, v42, v36
	;; [unrolled: 1-line block ×3, first 2 shown]
	v_cvt_f32_i32_e32 v34, v34
	v_fmac_f32_e32 v20, v11, v37
	v_bfe_i32 v85, v85, 0, 8
	v_fmac_f32_e32 v22, v46, v37
	v_cvt_f32_i32_e32 v86, v86
	v_bfe_i32 v87, v87, 0, 16
	v_bfe_i32 v9, v9, 0, 16
	v_fmac_f32_e32 v21, v44, v37
	v_fmac_f32_e32 v20, v12, v34
	v_bfe_i32 v85, v85, 0, 16
	v_cvt_f32_i32_e32 v12, v87
	v_cvt_f32_i32_e32 v9, v9
	v_fmac_f32_e32 v23, v45, v37
	v_fmac_f32_e32 v20, v13, v86
	;; [unrolled: 1-line block ×3, first 2 shown]
	v_cvt_f32_i32_e32 v13, v85
	s_waitcnt vmcnt(0)
	v_bfe_i32 v92, v17, 0, 8
	v_bfe_i32 v89, v10, 0, 8
	v_fmac_f32_e32 v20, v14, v12
	v_fmac_f32_e32 v21, v18, v86
	v_lshrrev_b32_e32 v90, 8, v10
	v_bfe_i32 v92, v92, 0, 16
	v_lshrrev_b32_e32 v88, 16, v10
	v_fmac_f32_e32 v20, v15, v13
	v_dual_fmac_f32 v22, v49, v34 :: v_dual_fmac_f32 v21, v35, v12
	v_bfe_i32 v90, v90, 0, 8
	v_bfe_i32 v89, v89, 0, 16
	v_cvt_f32_i32_e32 v92, v92
	s_delay_alu instid0(VALU_DEP_4) | instskip(SKIP_3) | instid1(VALU_DEP_4)
	v_dual_fmac_f32 v22, v33, v86 :: v_dual_fmac_f32 v21, v52, v13
	v_fmac_f32_e32 v23, v48, v34
	v_lshrrev_b32_e32 v10, 24, v10
	v_bfe_i32 v88, v88, 0, 8
	v_fmac_f32_e32 v22, v51, v12
	v_cvt_f32_i32_e32 v89, v89
	v_fmac_f32_e32 v23, v32, v86
	v_bfe_i32 v90, v90, 0, 16
	v_fmac_f32_e32 v21, v55, v9
	v_fmac_f32_e32 v22, v54, v13
	s_delay_alu instid0(VALU_DEP_4) | instskip(SKIP_2) | instid1(VALU_DEP_4)
	v_dual_fmac_f32 v20, v16, v9 :: v_dual_fmac_f32 v23, v50, v12
	v_bfe_i32 v10, v10, 0, 8
	v_bfe_i32 v88, v88, 0, 16
	v_fmac_f32_e32 v22, v57, v9
	v_fmac_f32_e32 v21, v58, v89
	;; [unrolled: 1-line block ×4, first 2 shown]
	v_lshrrev_b32_e32 v93, 8, v17
	v_fmac_f32_e32 v22, v60, v89
	v_bfe_i32 v10, v10, 0, 16
	v_fmac_f32_e32 v23, v56, v9
	v_cvt_f32_i32_e32 v9, v90
	v_cvt_f32_i32_e32 v13, v88
	v_lshrrev_b32_e32 v91, 16, v17
	v_bfe_i32 v93, v93, 0, 8
	v_fmac_f32_e32 v23, v59, v89
	v_fmac_f32_e32 v21, v61, v9
	;; [unrolled: 1-line block ×4, first 2 shown]
	v_lshrrev_b32_e32 v17, 24, v17
	v_fmac_f32_e32 v23, v62, v9
	v_cvt_f32_i32_e32 v9, v10
	v_fmac_f32_e32 v21, v64, v13
	v_fmac_f32_e32 v22, v66, v13
	;; [unrolled: 1-line block ×4, first 2 shown]
	v_bfe_i32 v91, v91, 0, 8
	v_bfe_i32 v11, v93, 0, 16
	v_fmac_f32_e32 v21, v67, v9
	v_fmac_f32_e32 v22, v69, v9
	;; [unrolled: 1-line block ×4, first 2 shown]
	v_bfe_i32 v17, v17, 0, 8
	v_bfe_i32 v12, v91, 0, 16
	v_cvt_f32_i32_e32 v9, v11
	v_fmac_f32_e32 v21, v70, v92
	v_fmac_f32_e32 v23, v71, v92
	;; [unrolled: 1-line block ×4, first 2 shown]
	v_bfe_i32 v10, v17, 0, 16
	v_cvt_f32_i32_e32 v11, v12
	v_fmac_f32_e32 v21, v73, v9
	v_fmac_f32_e32 v23, v74, v9
	;; [unrolled: 1-line block ×4, first 2 shown]
	v_cvt_f32_i32_e32 v9, v10
	v_fmac_f32_e32 v21, v76, v11
	v_fmac_f32_e32 v23, v77, v11
	;; [unrolled: 1-line block ×3, first 2 shown]
	s_delay_alu instid0(VALU_DEP_3) | instskip(NEXT) | instid1(VALU_DEP_3)
	v_dual_fmac_f32 v20, v30, v11 :: v_dual_fmac_f32 v21, v79, v9
	v_fmac_f32_e32 v23, v80, v9
	s_delay_alu instid0(VALU_DEP_3) | instskip(NEXT) | instid1(VALU_DEP_3)
	v_fmac_f32_e32 v22, v81, v9
	v_fmac_f32_e32 v20, v31, v9
	s_and_not1_b32 exec_lo, exec_lo, s8
	s_cbranch_execnz .LBB82_33
; %bb.34:
	s_or_b32 exec_lo, exec_lo, s8
.LBB82_35:
	s_delay_alu instid0(SALU_CYCLE_1)
	s_or_b32 exec_lo, exec_lo, s10
.LBB82_36:
	s_delay_alu instid0(SALU_CYCLE_1)
	s_or_b32 exec_lo, exec_lo, s5
.LBB82_37:
	v_mbcnt_lo_u32_b32 v0, -1, 0
	s_mov_b32 s2, -1
	s_delay_alu instid0(VALU_DEP_1) | instskip(SKIP_2) | instid1(VALU_DEP_3)
	v_xor_b32_e32 v1, 8, v0
	v_xor_b32_e32 v6, 4, v0
	;; [unrolled: 1-line block ×3, first 2 shown]
	v_cmp_gt_i32_e32 vcc_lo, 32, v1
	v_cndmask_b32_e32 v1, v0, v1, vcc_lo
	s_delay_alu instid0(VALU_DEP_4) | instskip(SKIP_2) | instid1(VALU_DEP_2)
	v_cmp_gt_i32_e32 vcc_lo, 32, v6
	v_cndmask_b32_e32 v6, v0, v6, vcc_lo
	v_cmp_gt_i32_e32 vcc_lo, 32, v10
	v_lshlrev_b32_e32 v6, 2, v6
	v_dual_cndmask_b32 v10, v0, v10 :: v_dual_lshlrev_b32 v1, 2, v1
	ds_bpermute_b32 v2, v1, v21
	v_lshlrev_b32_e32 v10, 2, v10
	s_waitcnt lgkmcnt(0)
	v_add_f32_e32 v2, v21, v2
	ds_bpermute_b32 v3, v1, v23
	ds_bpermute_b32 v5, v1, v22
	;; [unrolled: 1-line block ×4, first 2 shown]
	s_waitcnt lgkmcnt(3)
	v_add_f32_e32 v3, v23, v3
	s_waitcnt lgkmcnt(2)
	v_add_f32_e32 v5, v22, v5
	;; [unrolled: 2-line block ×3, first 2 shown]
	ds_bpermute_b32 v8, v6, v3
	ds_bpermute_b32 v9, v6, v5
	;; [unrolled: 1-line block ×3, first 2 shown]
	s_waitcnt lgkmcnt(2)
	v_dual_add_f32 v2, v2, v7 :: v_dual_add_f32 v3, v3, v8
	s_waitcnt lgkmcnt(1)
	v_add_f32_e32 v5, v5, v9
	ds_bpermute_b32 v7, v10, v3
	s_waitcnt lgkmcnt(1)
	v_add_f32_e32 v6, v1, v6
	ds_bpermute_b32 v1, v10, v2
	ds_bpermute_b32 v8, v10, v5
	;; [unrolled: 1-line block ×3, first 2 shown]
	v_xor_b32_e32 v10, 1, v0
	s_delay_alu instid0(VALU_DEP_1) | instskip(SKIP_2) | instid1(VALU_DEP_2)
	v_cmp_gt_i32_e32 vcc_lo, 32, v10
	v_cndmask_b32_e32 v0, v0, v10, vcc_lo
	v_cmp_eq_u32_e32 vcc_lo, 15, v19
	v_lshlrev_b32_e32 v10, 2, v0
	s_waitcnt lgkmcnt(2)
	v_dual_add_f32 v0, v2, v1 :: v_dual_add_f32 v1, v3, v7
	s_waitcnt lgkmcnt(0)
	v_dual_add_f32 v2, v5, v8 :: v_dual_add_f32 v3, v6, v9
	ds_bpermute_b32 v5, v10, v0
	ds_bpermute_b32 v6, v10, v1
	;; [unrolled: 1-line block ×4, first 2 shown]
	s_and_b32 exec_lo, exec_lo, vcc_lo
	s_cbranch_execz .LBB82_10
; %bb.38:
	s_load_b64 s[0:1], s[0:1], 0x50
	s_waitcnt lgkmcnt(0)
	v_dual_add_f32 v0, v0, v5 :: v_dual_add_f32 v1, v1, v6
	v_dual_add_f32 v2, v2, v7 :: v_dual_add_f32 v3, v3, v8
	v_cmp_eq_f32_e64 s3, s12, 0
	s_delay_alu instid0(VALU_DEP_3) | instskip(NEXT) | instid1(VALU_DEP_3)
	v_dual_mul_f32 v0, s16, v0 :: v_dual_mul_f32 v1, s16, v1
	v_dual_mul_f32 v2, s16, v2 :: v_dual_mul_f32 v3, s16, v3
	v_lshlrev_b32_e32 v4, 2, v4
	s_delay_alu instid0(VALU_DEP_4)
	s_and_b32 vcc_lo, exec_lo, s3
	s_cbranch_vccz .LBB82_40
; %bb.39:
	s_delay_alu instid0(VALU_DEP_1) | instskip(SKIP_1) | instid1(VALU_DEP_1)
	v_ashrrev_i32_e32 v5, 31, v4
	s_mov_b32 s2, 0
	v_lshlrev_b64 v[5:6], 2, v[4:5]
	s_delay_alu instid0(VALU_DEP_1) | instskip(NEXT) | instid1(VALU_DEP_2)
	v_add_co_u32 v5, vcc_lo, s0, v5
	v_add_co_ci_u32_e32 v6, vcc_lo, s1, v6, vcc_lo
	global_store_b128 v[5:6], v[0:3], off
.LBB82_40:
	s_and_not1_b32 vcc_lo, exec_lo, s2
	s_cbranch_vccnz .LBB82_10
; %bb.41:
	v_ashrrev_i32_e32 v5, 31, v4
	s_delay_alu instid0(VALU_DEP_1) | instskip(NEXT) | instid1(VALU_DEP_1)
	v_lshlrev_b64 v[4:5], 2, v[4:5]
	v_add_co_u32 v8, vcc_lo, s0, v4
	s_delay_alu instid0(VALU_DEP_2)
	v_add_co_ci_u32_e32 v9, vcc_lo, s1, v5, vcc_lo
	global_load_b128 v[4:7], v[8:9], off
	s_waitcnt vmcnt(0)
	v_dual_fmac_f32 v0, s12, v4 :: v_dual_fmac_f32 v1, s12, v5
	v_dual_fmac_f32 v2, s12, v6 :: v_dual_fmac_f32 v3, s12, v7
	global_store_b128 v[8:9], v[0:3], off
	s_nop 0
	s_sendmsg sendmsg(MSG_DEALLOC_VGPRS)
	s_endpgm
	.section	.rodata,"a",@progbits
	.p2align	6, 0x0
	.amdhsa_kernel _ZN9rocsparseL18bsrxmvn_4x4_kernelILj128ELj16EfliaafEEvT3_20rocsparse_direction_NS_24const_host_device_scalarIT1_EES1_PKS1_PKT2_SA_S7_PKT4_PKT5_S5_PT6_21rocsparse_index_base_b
		.amdhsa_group_segment_fixed_size 0
		.amdhsa_private_segment_fixed_size 0
		.amdhsa_kernarg_size 96
		.amdhsa_user_sgpr_count 15
		.amdhsa_user_sgpr_dispatch_ptr 0
		.amdhsa_user_sgpr_queue_ptr 0
		.amdhsa_user_sgpr_kernarg_segment_ptr 1
		.amdhsa_user_sgpr_dispatch_id 0
		.amdhsa_user_sgpr_private_segment_size 0
		.amdhsa_wavefront_size32 1
		.amdhsa_uses_dynamic_stack 0
		.amdhsa_enable_private_segment 0
		.amdhsa_system_sgpr_workgroup_id_x 1
		.amdhsa_system_sgpr_workgroup_id_y 0
		.amdhsa_system_sgpr_workgroup_id_z 0
		.amdhsa_system_sgpr_workgroup_info 0
		.amdhsa_system_vgpr_workitem_id 0
		.amdhsa_next_free_vgpr 100
		.amdhsa_next_free_sgpr 20
		.amdhsa_reserve_vcc 1
		.amdhsa_float_round_mode_32 0
		.amdhsa_float_round_mode_16_64 0
		.amdhsa_float_denorm_mode_32 3
		.amdhsa_float_denorm_mode_16_64 3
		.amdhsa_dx10_clamp 1
		.amdhsa_ieee_mode 1
		.amdhsa_fp16_overflow 0
		.amdhsa_workgroup_processor_mode 1
		.amdhsa_memory_ordered 1
		.amdhsa_forward_progress 0
		.amdhsa_shared_vgpr_count 0
		.amdhsa_exception_fp_ieee_invalid_op 0
		.amdhsa_exception_fp_denorm_src 0
		.amdhsa_exception_fp_ieee_div_zero 0
		.amdhsa_exception_fp_ieee_overflow 0
		.amdhsa_exception_fp_ieee_underflow 0
		.amdhsa_exception_fp_ieee_inexact 0
		.amdhsa_exception_int_div_zero 0
	.end_amdhsa_kernel
	.section	.text._ZN9rocsparseL18bsrxmvn_4x4_kernelILj128ELj16EfliaafEEvT3_20rocsparse_direction_NS_24const_host_device_scalarIT1_EES1_PKS1_PKT2_SA_S7_PKT4_PKT5_S5_PT6_21rocsparse_index_base_b,"axG",@progbits,_ZN9rocsparseL18bsrxmvn_4x4_kernelILj128ELj16EfliaafEEvT3_20rocsparse_direction_NS_24const_host_device_scalarIT1_EES1_PKS1_PKT2_SA_S7_PKT4_PKT5_S5_PT6_21rocsparse_index_base_b,comdat
.Lfunc_end82:
	.size	_ZN9rocsparseL18bsrxmvn_4x4_kernelILj128ELj16EfliaafEEvT3_20rocsparse_direction_NS_24const_host_device_scalarIT1_EES1_PKS1_PKT2_SA_S7_PKT4_PKT5_S5_PT6_21rocsparse_index_base_b, .Lfunc_end82-_ZN9rocsparseL18bsrxmvn_4x4_kernelILj128ELj16EfliaafEEvT3_20rocsparse_direction_NS_24const_host_device_scalarIT1_EES1_PKS1_PKT2_SA_S7_PKT4_PKT5_S5_PT6_21rocsparse_index_base_b
                                        ; -- End function
	.section	.AMDGPU.csdata,"",@progbits
; Kernel info:
; codeLenInByte = 8052
; NumSgprs: 22
; NumVgprs: 100
; ScratchSize: 0
; MemoryBound: 0
; FloatMode: 240
; IeeeMode: 1
; LDSByteSize: 0 bytes/workgroup (compile time only)
; SGPRBlocks: 2
; VGPRBlocks: 12
; NumSGPRsForWavesPerEU: 22
; NumVGPRsForWavesPerEU: 100
; Occupancy: 12
; WaveLimiterHint : 1
; COMPUTE_PGM_RSRC2:SCRATCH_EN: 0
; COMPUTE_PGM_RSRC2:USER_SGPR: 15
; COMPUTE_PGM_RSRC2:TRAP_HANDLER: 0
; COMPUTE_PGM_RSRC2:TGID_X_EN: 1
; COMPUTE_PGM_RSRC2:TGID_Y_EN: 0
; COMPUTE_PGM_RSRC2:TGID_Z_EN: 0
; COMPUTE_PGM_RSRC2:TIDIG_COMP_CNT: 0
	.section	.text._ZN9rocsparseL18bsrxmvn_4x4_kernelILj128ELj32EfliaafEEvT3_20rocsparse_direction_NS_24const_host_device_scalarIT1_EES1_PKS1_PKT2_SA_S7_PKT4_PKT5_S5_PT6_21rocsparse_index_base_b,"axG",@progbits,_ZN9rocsparseL18bsrxmvn_4x4_kernelILj128ELj32EfliaafEEvT3_20rocsparse_direction_NS_24const_host_device_scalarIT1_EES1_PKS1_PKT2_SA_S7_PKT4_PKT5_S5_PT6_21rocsparse_index_base_b,comdat
	.globl	_ZN9rocsparseL18bsrxmvn_4x4_kernelILj128ELj32EfliaafEEvT3_20rocsparse_direction_NS_24const_host_device_scalarIT1_EES1_PKS1_PKT2_SA_S7_PKT4_PKT5_S5_PT6_21rocsparse_index_base_b ; -- Begin function _ZN9rocsparseL18bsrxmvn_4x4_kernelILj128ELj32EfliaafEEvT3_20rocsparse_direction_NS_24const_host_device_scalarIT1_EES1_PKS1_PKT2_SA_S7_PKT4_PKT5_S5_PT6_21rocsparse_index_base_b
	.p2align	8
	.type	_ZN9rocsparseL18bsrxmvn_4x4_kernelILj128ELj32EfliaafEEvT3_20rocsparse_direction_NS_24const_host_device_scalarIT1_EES1_PKS1_PKT2_SA_S7_PKT4_PKT5_S5_PT6_21rocsparse_index_base_b,@function
_ZN9rocsparseL18bsrxmvn_4x4_kernelILj128ELj32EfliaafEEvT3_20rocsparse_direction_NS_24const_host_device_scalarIT1_EES1_PKS1_PKT2_SA_S7_PKT4_PKT5_S5_PT6_21rocsparse_index_base_b: ; @_ZN9rocsparseL18bsrxmvn_4x4_kernelILj128ELj32EfliaafEEvT3_20rocsparse_direction_NS_24const_host_device_scalarIT1_EES1_PKS1_PKT2_SA_S7_PKT4_PKT5_S5_PT6_21rocsparse_index_base_b
; %bb.0:
	s_clause 0x2
	s_load_b64 s[18:19], s[0:1], 0x58
	s_load_b64 s[16:17], s[0:1], 0x8
	s_load_b64 s[12:13], s[0:1], 0x48
	s_waitcnt lgkmcnt(0)
	s_bitcmp1_b32 s19, 0
	s_cselect_b32 s2, -1, 0
	s_delay_alu instid0(SALU_CYCLE_1)
	s_and_b32 vcc_lo, exec_lo, s2
	s_xor_b32 s2, s2, -1
	s_cbranch_vccnz .LBB83_2
; %bb.1:
	s_load_b32 s16, s[16:17], 0x0
.LBB83_2:
	s_and_not1_b32 vcc_lo, exec_lo, s2
	s_cbranch_vccnz .LBB83_4
; %bb.3:
	s_load_b32 s12, s[12:13], 0x0
.LBB83_4:
	s_waitcnt lgkmcnt(0)
	v_cmp_neq_f32_e64 s2, s16, 0
	v_cmp_neq_f32_e64 s3, s12, 1.0
	s_mov_b32 s6, 0
	s_delay_alu instid0(VALU_DEP_1) | instskip(NEXT) | instid1(SALU_CYCLE_1)
	s_or_b32 s2, s2, s3
	s_and_not1_b32 vcc_lo, exec_lo, s2
	s_cbranch_vccnz .LBB83_10
; %bb.5:
	s_clause 0x1
	s_load_b64 s[4:5], s[0:1], 0x18
	s_load_b64 s[2:3], s[0:1], 0x0
	v_lshrrev_b32_e32 v1, 5, v0
	s_delay_alu instid0(VALU_DEP_1)
	v_lshl_or_b32 v4, s15, 2, v1
	s_waitcnt lgkmcnt(0)
	s_cmp_lg_u64 s[4:5], 0
	s_cbranch_scc0 .LBB83_11
; %bb.6:
	s_load_b32 s6, s[0:1], 0x10
	s_mov_b32 s7, 0
                                        ; implicit-def: $vgpr1
	s_waitcnt lgkmcnt(0)
	v_cmp_gt_i32_e32 vcc_lo, s6, v4
	s_mov_b32 s6, 0
	s_and_saveexec_b32 s8, vcc_lo
	s_delay_alu instid0(SALU_CYCLE_1)
	s_xor_b32 s8, exec_lo, s8
	s_cbranch_execz .LBB83_8
; %bb.7:
	v_ashrrev_i32_e32 v5, 31, v4
	s_mov_b32 s6, exec_lo
	s_delay_alu instid0(VALU_DEP_1) | instskip(NEXT) | instid1(VALU_DEP_1)
	v_lshlrev_b64 v[1:2], 2, v[4:5]
	v_add_co_u32 v1, vcc_lo, s4, v1
	s_delay_alu instid0(VALU_DEP_2)
	v_add_co_ci_u32_e32 v2, vcc_lo, s5, v2, vcc_lo
	global_load_b32 v1, v[1:2], off
	s_waitcnt vmcnt(0)
	v_subrev_nc_u32_e32 v1, s18, v1
.LBB83_8:
	s_or_b32 exec_lo, exec_lo, s8
	s_delay_alu instid0(SALU_CYCLE_1)
	s_and_b32 vcc_lo, exec_lo, s7
	s_cbranch_vccz .LBB83_12
.LBB83_9:
	v_cmp_gt_i32_e32 vcc_lo, s2, v4
	s_and_not1_b32 s2, s6, exec_lo
	s_and_b32 s4, vcc_lo, exec_lo
	s_delay_alu instid0(SALU_CYCLE_1) | instskip(NEXT) | instid1(SALU_CYCLE_1)
	s_or_b32 s6, s2, s4
	s_and_saveexec_b32 s2, s6
	s_cbranch_execnz .LBB83_13
.LBB83_10:
	s_nop 0
	s_sendmsg sendmsg(MSG_DEALLOC_VGPRS)
	s_endpgm
.LBB83_11:
                                        ; implicit-def: $vgpr1
	s_cbranch_execnz .LBB83_9
.LBB83_12:
	s_delay_alu instid0(VALU_DEP_1)
	v_mov_b32_e32 v4, v1
	s_and_saveexec_b32 s2, s6
	s_cbranch_execz .LBB83_10
.LBB83_13:
	s_load_b256 s[4:11], s[0:1], 0x20
	s_delay_alu instid0(VALU_DEP_1) | instskip(SKIP_1) | instid1(VALU_DEP_2)
	v_ashrrev_i32_e32 v5, 31, v4
	v_dual_mov_b32 v20, 0 :: v_dual_and_b32 v19, 31, v0
	v_lshlrev_b64 v[1:2], 3, v[4:5]
	s_waitcnt lgkmcnt(0)
	s_delay_alu instid0(VALU_DEP_1) | instskip(NEXT) | instid1(VALU_DEP_2)
	v_add_co_u32 v5, vcc_lo, s4, v1
	v_add_co_ci_u32_e32 v6, vcc_lo, s5, v2, vcc_lo
	v_add_co_u32 v1, vcc_lo, s6, v1
	v_add_co_ci_u32_e32 v2, vcc_lo, s7, v2, vcc_lo
	s_delay_alu instid0(VALU_DEP_4)
	v_add_co_u32 v3, vcc_lo, v5, 8
	global_load_b64 v[7:8], v[5:6], off
	v_add_co_ci_u32_e32 v9, vcc_lo, 0, v6, vcc_lo
	s_cmp_eq_u64 s[6:7], 0
	s_load_b64 s[6:7], s[0:1], 0x40
	s_cselect_b32 vcc_lo, -1, 0
	s_cmp_eq_u32 s3, 1
	v_dual_cndmask_b32 v2, v2, v9 :: v_dual_cndmask_b32 v1, v1, v3
	global_load_b64 v[2:3], v[1:2], off
	s_waitcnt vmcnt(1)
	v_sub_co_u32 v0, vcc_lo, v7, s18
	v_subrev_co_ci_u32_e32 v1, vcc_lo, 0, v8, vcc_lo
	s_delay_alu instid0(VALU_DEP_2) | instskip(NEXT) | instid1(VALU_DEP_2)
	v_add_co_u32 v0, vcc_lo, v0, v19
	v_add_co_ci_u32_e32 v1, vcc_lo, 0, v1, vcc_lo
	s_delay_alu instid0(VALU_DEP_1) | instskip(SKIP_3) | instid1(VALU_DEP_3)
	v_lshlrev_b64 v[5:6], 4, v[0:1]
	s_waitcnt vmcnt(0)
	v_sub_co_u32 v2, vcc_lo, v2, s18
	v_subrev_co_ci_u32_e32 v3, vcc_lo, 0, v3, vcc_lo
	v_add_co_u32 v5, vcc_lo, s10, v5
	s_delay_alu instid0(VALU_DEP_2)
	v_cmp_lt_i64_e64 s2, v[0:1], v[2:3]
	v_add_co_ci_u32_e32 v6, vcc_lo, s11, v6, vcc_lo
	s_mov_b32 s10, 0
	s_cbranch_scc1 .LBB83_25
; %bb.14:
	v_dual_mov_b32 v22, 0 :: v_dual_mov_b32 v23, 0
	v_mov_b32_e32 v21, 0
	s_and_saveexec_b32 s11, s2
	s_cbranch_execz .LBB83_24
; %bb.15:
	v_or_b32_e32 v9, 32, v19
	v_not_b32_e32 v12, v7
	v_not_b32_e32 v11, v8
	v_mov_b32_e32 v23, 0
	v_dual_mov_b32 v21, 0 :: v_dual_mov_b32 v20, 0
	v_sub_co_u32 v9, s3, v9, s18
	s_delay_alu instid0(VALU_DEP_1) | instskip(SKIP_1) | instid1(VALU_DEP_3)
	v_sub_co_ci_u32_e64 v10, null, 0, 0, s3
	v_sub_co_u32 v13, s3, s18, v19
	v_add_co_u32 v9, vcc_lo, v9, v7
	s_delay_alu instid0(VALU_DEP_3) | instskip(SKIP_2) | instid1(VALU_DEP_2)
	v_add_co_ci_u32_e32 v10, vcc_lo, v10, v8, vcc_lo
	v_sub_co_ci_u32_e64 v14, null, 0, 0, s3
	s_mov_b32 s3, exec_lo
	v_cmp_gt_i64_e32 vcc_lo, v[9:10], v[2:3]
	v_mov_b32_e32 v22, 0
	v_dual_cndmask_b32 v10, v3, v10 :: v_dual_cndmask_b32 v9, v2, v9
	v_add_co_u32 v12, vcc_lo, v13, v12
	v_add_co_ci_u32_e32 v11, vcc_lo, v14, v11, vcc_lo
	s_delay_alu instid0(VALU_DEP_2) | instskip(NEXT) | instid1(VALU_DEP_2)
	v_add_co_u32 v13, vcc_lo, v12, v9
	v_add_co_ci_u32_e32 v14, vcc_lo, v11, v10, vcc_lo
	v_mov_b32_e32 v12, v6
	s_delay_alu instid0(VALU_DEP_3) | instskip(SKIP_1) | instid1(VALU_DEP_2)
	v_lshrrev_b32_e32 v9, 5, v13
	v_mov_b32_e32 v11, v5
	v_add_nc_u32_e32 v9, 1, v9
	s_delay_alu instid0(VALU_DEP_1) | instskip(SKIP_1) | instid1(VALU_DEP_2)
	v_dual_mov_b32 v10, v1 :: v_dual_and_b32 v15, 3, v9
	v_mov_b32_e32 v9, v0
	v_cmpx_ne_u32_e32 0, v15
	s_cbranch_execz .LBB83_19
; %bb.16:
	v_lshlrev_b64 v[9:10], 2, v[0:1]
	v_dual_mov_b32 v16, 0 :: v_dual_lshlrev_b32 v15, 2, v15
	v_dual_mov_b32 v12, v6 :: v_dual_mov_b32 v11, v5
	s_mov_b32 s4, 0
	s_delay_alu instid0(VALU_DEP_3) | instskip(NEXT) | instid1(VALU_DEP_4)
	v_add_co_u32 v17, vcc_lo, s8, v9
	v_add_co_ci_u32_e32 v18, vcc_lo, s9, v10, vcc_lo
	v_dual_mov_b32 v10, v1 :: v_dual_mov_b32 v9, v0
	v_mov_b32_e32 v20, v16
	v_mov_b32_e32 v22, v16
	;; [unrolled: 1-line block ×4, first 2 shown]
.LBB83_17:                              ; =>This Inner Loop Header: Depth=1
	global_load_b32 v28, v[17:18], off
	global_load_b128 v[24:27], v[11:12], off
	s_waitcnt vmcnt(1)
	v_subrev_nc_u32_e32 v28, s18, v28
	s_waitcnt vmcnt(0)
	v_lshrrev_b32_e32 v30, 8, v24
	v_lshrrev_b32_e32 v34, 16, v25
	v_bfe_i32 v35, v26, 0, 8
	v_lshrrev_b32_e32 v36, 8, v26
	v_lshlrev_b32_e32 v28, 2, v28
	v_lshrrev_b32_e32 v31, 16, v24
	v_bfe_i32 v32, v25, 0, 8
	v_lshrrev_b32_e32 v33, 8, v25
	v_lshrrev_b32_e32 v25, 24, v25
	v_ashrrev_i32_e32 v29, 31, v28
	s_waitcnt lgkmcnt(0)
	v_add_co_u32 v28, vcc_lo, s6, v28
	v_lshrrev_b32_e32 v37, 16, v26
	v_bfe_i32 v38, v27, 0, 8
	v_add_co_ci_u32_e32 v29, vcc_lo, s7, v29, vcc_lo
	v_lshrrev_b32_e32 v39, 8, v27
	v_lshrrev_b32_e32 v40, 16, v27
	v_bfe_i32 v30, v30, 0, 8
	global_load_b32 v28, v[28:29], off
	v_bfe_i32 v29, v24, 0, 8
	v_bfe_i32 v34, v34, 0, 8
	;; [unrolled: 1-line block ×4, first 2 shown]
	v_lshrrev_b32_e32 v24, 24, v24
	v_bfe_i32 v29, v29, 0, 16
	v_lshrrev_b32_e32 v26, 24, v26
	v_bfe_i32 v31, v31, 0, 8
	v_bfe_i32 v33, v33, 0, 8
	;; [unrolled: 1-line block ×8, first 2 shown]
	v_cvt_f32_i32_e32 v29, v29
	v_bfe_i32 v30, v30, 0, 16
	v_bfe_i32 v34, v34, 0, 16
	v_cvt_f32_i32_e32 v35, v35
	v_bfe_i32 v36, v36, 0, 16
	v_lshrrev_b32_e32 v27, 24, v27
	v_bfe_i32 v24, v24, 0, 8
	v_bfe_i32 v26, v26, 0, 8
	;; [unrolled: 1-line block ×3, first 2 shown]
	v_cvt_f32_i32_e32 v32, v32
	v_bfe_i32 v33, v33, 0, 16
	v_bfe_i32 v25, v25, 0, 16
	;; [unrolled: 1-line block ×3, first 2 shown]
	v_cvt_f32_i32_e32 v38, v38
	v_bfe_i32 v39, v39, 0, 16
	v_bfe_i32 v40, v40, 0, 16
	v_cvt_f32_i32_e32 v30, v30
	v_cvt_f32_i32_e32 v34, v34
	;; [unrolled: 1-line block ×3, first 2 shown]
	v_add_co_u32 v11, vcc_lo, 0x200, v11
	v_add_co_ci_u32_e32 v12, vcc_lo, 0, v12, vcc_lo
	v_add_co_u32 v9, vcc_lo, v9, 32
	v_bfe_i32 v27, v27, 0, 8
	v_bfe_i32 v24, v24, 0, 16
	;; [unrolled: 1-line block ×3, first 2 shown]
	v_cvt_f32_i32_e32 v31, v31
	v_cvt_f32_i32_e32 v33, v33
	;; [unrolled: 1-line block ×6, first 2 shown]
	v_add_co_ci_u32_e32 v10, vcc_lo, 0, v10, vcc_lo
	v_add_co_u32 v17, vcc_lo, 0x80, v17
	v_add_co_ci_u32_e32 v18, vcc_lo, 0, v18, vcc_lo
	v_add_co_u32 v15, vcc_lo, v15, -4
	v_bfe_i32 v27, v27, 0, 16
	v_cvt_f32_i32_e32 v24, v24
	v_cvt_f32_i32_e32 v26, v26
	v_add_co_ci_u32_e32 v16, vcc_lo, -1, v16, vcc_lo
	s_delay_alu instid0(VALU_DEP_4) | instskip(NEXT) | instid1(VALU_DEP_2)
	v_cvt_f32_i32_e32 v27, v27
	v_cmp_eq_u64_e32 vcc_lo, 0, v[15:16]
	s_or_b32 s4, vcc_lo, s4
	s_waitcnt vmcnt(0)
	v_bfe_i32 v41, v28, 0, 8
	v_lshrrev_b32_e32 v42, 8, v28
	v_lshrrev_b32_e32 v43, 16, v28
	;; [unrolled: 1-line block ×3, first 2 shown]
	s_delay_alu instid0(VALU_DEP_4) | instskip(NEXT) | instid1(VALU_DEP_4)
	v_bfe_i32 v41, v41, 0, 16
	v_bfe_i32 v42, v42, 0, 8
	s_delay_alu instid0(VALU_DEP_4) | instskip(NEXT) | instid1(VALU_DEP_4)
	v_bfe_i32 v43, v43, 0, 8
	v_bfe_i32 v28, v28, 0, 8
	s_delay_alu instid0(VALU_DEP_4) | instskip(NEXT) | instid1(VALU_DEP_4)
	v_cvt_f32_i32_e32 v41, v41
	v_bfe_i32 v42, v42, 0, 16
	s_delay_alu instid0(VALU_DEP_4) | instskip(NEXT) | instid1(VALU_DEP_4)
	v_bfe_i32 v43, v43, 0, 16
	v_bfe_i32 v28, v28, 0, 16
	s_delay_alu instid0(VALU_DEP_4) | instskip(NEXT) | instid1(VALU_DEP_4)
	v_fmac_f32_e32 v21, v29, v41
	v_cvt_f32_i32_e32 v29, v42
	v_fmac_f32_e32 v22, v35, v41
	s_delay_alu instid0(VALU_DEP_4) | instskip(NEXT) | instid1(VALU_DEP_2)
	v_cvt_f32_i32_e32 v28, v28
	v_fmac_f32_e32 v22, v36, v29
	v_fmac_f32_e32 v23, v32, v41
	v_cvt_f32_i32_e32 v32, v43
	v_fmac_f32_e32 v21, v30, v29
	v_fmac_f32_e32 v20, v38, v41
	s_delay_alu instid0(VALU_DEP_3) | instskip(NEXT) | instid1(VALU_DEP_3)
	v_fmac_f32_e32 v22, v37, v32
	v_fmac_f32_e32 v21, v31, v32
	;; [unrolled: 1-line block ×3, first 2 shown]
	s_delay_alu instid0(VALU_DEP_4) | instskip(NEXT) | instid1(VALU_DEP_4)
	v_fmac_f32_e32 v20, v39, v29
	v_fmac_f32_e32 v22, v26, v28
	s_delay_alu instid0(VALU_DEP_4) | instskip(NEXT) | instid1(VALU_DEP_4)
	v_fmac_f32_e32 v21, v24, v28
	v_fmac_f32_e32 v23, v34, v32
	s_delay_alu instid0(VALU_DEP_4) | instskip(NEXT) | instid1(VALU_DEP_2)
	v_fmac_f32_e32 v20, v40, v32
	v_fmac_f32_e32 v23, v25, v28
	s_delay_alu instid0(VALU_DEP_2)
	v_fmac_f32_e32 v20, v27, v28
	s_and_not1_b32 exec_lo, exec_lo, s4
	s_cbranch_execnz .LBB83_17
; %bb.18:
	s_or_b32 exec_lo, exec_lo, s4
.LBB83_19:
	s_delay_alu instid0(SALU_CYCLE_1) | instskip(NEXT) | instid1(SALU_CYCLE_1)
	s_or_b32 exec_lo, exec_lo, s3
	s_mov_b32 s13, exec_lo
	v_cmpx_lt_u64_e32 0x5f, v[13:14]
	s_cbranch_execz .LBB83_23
; %bb.20:
	v_lshlrev_b64 v[13:14], 2, v[9:10]
	s_mov_b32 s14, 0
	s_delay_alu instid0(VALU_DEP_1) | instskip(NEXT) | instid1(VALU_DEP_2)
	v_add_co_u32 v13, vcc_lo, v13, s8
	v_add_co_ci_u32_e32 v14, vcc_lo, s9, v14, vcc_lo
	s_delay_alu instid0(VALU_DEP_2) | instskip(NEXT) | instid1(VALU_DEP_2)
	v_add_co_u32 v13, vcc_lo, 0x100, v13
	v_add_co_ci_u32_e32 v14, vcc_lo, 0, v14, vcc_lo
.LBB83_21:                              ; =>This Inner Loop Header: Depth=1
	s_clause 0x3
	global_load_b32 v36, v[13:14], off offset:-256
	global_load_b32 v37, v[13:14], off offset:-128
	global_load_b32 v38, v[13:14], off
	global_load_b32 v39, v[13:14], off offset:128
	s_clause 0x3
	global_load_b128 v[15:18], v[11:12], off
	global_load_b128 v[24:27], v[11:12], off offset:512
	global_load_b128 v[28:31], v[11:12], off offset:1024
	;; [unrolled: 1-line block ×3, first 2 shown]
	v_add_co_u32 v11, vcc_lo, 0x800, v11
	v_add_co_ci_u32_e32 v12, vcc_lo, 0, v12, vcc_lo
	v_add_co_u32 v9, vcc_lo, 0x80, v9
	v_add_co_ci_u32_e32 v10, vcc_lo, 0, v10, vcc_lo
	;; [unrolled: 2-line block ×3, first 2 shown]
	s_waitcnt vmcnt(7)
	v_subrev_nc_u32_e32 v36, s18, v36
	s_waitcnt vmcnt(3)
	v_lshrrev_b32_e32 v51, 8, v17
	v_bfe_i32 v50, v17, 0, 8
	v_bfe_i32 v53, v18, 0, 8
	;; [unrolled: 1-line block ×3, first 2 shown]
	v_lshrrev_b32_e32 v43, 8, v15
	v_bfe_i32 v51, v51, 0, 8
	v_bfe_i32 v50, v50, 0, 16
	v_lshrrev_b32_e32 v44, 16, v15
	v_lshrrev_b32_e32 v45, 24, v15
	v_subrev_nc_u32_e32 v15, s18, v37
	v_bfe_i32 v53, v53, 0, 16
	v_bfe_i32 v46, v16, 0, 8
	v_lshrrev_b32_e32 v47, 8, v16
	v_lshrrev_b32_e32 v48, 16, v16
	;; [unrolled: 1-line block ×3, first 2 shown]
	v_subrev_nc_u32_e32 v16, s18, v38
	v_bfe_i32 v42, v42, 0, 16
	v_subrev_nc_u32_e32 v37, s18, v39
	v_bfe_i32 v51, v51, 0, 16
	v_cvt_f32_i32_e32 v50, v50
	v_lshlrev_b32_e32 v39, 2, v36
	v_cvt_f32_i32_e32 v53, v53
	v_lshlrev_b32_e32 v15, 2, v15
	;; [unrolled: 2-line block ×4, first 2 shown]
	v_ashrrev_i32_e32 v41, 31, v39
	v_ashrrev_i32_e32 v56, 31, v15
	;; [unrolled: 1-line block ×3, first 2 shown]
	s_waitcnt lgkmcnt(0)
	v_add_co_u32 v40, s5, s6, v39
	v_ashrrev_i32_e32 v58, 31, v37
	v_add_co_u32 v15, vcc_lo, s6, v15
	v_add_co_u32 v36, s3, s6, v16
	v_add_co_ci_u32_e64 v41, s5, s7, v41, s5
	v_add_co_u32 v38, s4, s6, v37
	v_add_co_ci_u32_e32 v16, vcc_lo, s7, v56, vcc_lo
	v_add_co_ci_u32_e64 v37, vcc_lo, s7, v57, s3
	v_add_co_ci_u32_e64 v39, vcc_lo, s7, v58, s4
	s_clause 0x3
	global_load_b32 v40, v[40:41], off
	global_load_b32 v15, v[15:16], off
	;; [unrolled: 1-line block ×4, first 2 shown]
	v_lshrrev_b32_e32 v52, 16, v17
	v_lshrrev_b32_e32 v17, 24, v17
	v_bfe_i32 v46, v46, 0, 16
	v_lshrrev_b32_e32 v54, 8, v18
	v_bfe_i32 v43, v43, 0, 8
	v_bfe_i32 v52, v52, 0, 8
	;; [unrolled: 1-line block ×3, first 2 shown]
	v_cvt_f32_i32_e32 v46, v46
	v_lshrrev_b32_e32 v55, 16, v18
	s_waitcnt vmcnt(6)
	v_bfe_i32 v58, v26, 0, 8
	v_bfe_i32 v52, v52, 0, 16
	v_bfe_i32 v44, v44, 0, 8
	v_bfe_i32 v54, v54, 0, 8
	v_bfe_i32 v43, v43, 0, 16
	v_bfe_i32 v17, v17, 0, 16
	v_cvt_f32_i32_e32 v52, v52
	v_lshrrev_b32_e32 v18, 24, v18
	v_bfe_i32 v45, v45, 0, 8
	v_bfe_i32 v47, v47, 0, 8
	;; [unrolled: 1-line block ×6, first 2 shown]
	v_cvt_f32_i32_e32 v43, v43
	v_cvt_f32_i32_e32 v17, v17
	v_bfe_i32 v48, v48, 0, 8
	v_bfe_i32 v49, v49, 0, 8
	;; [unrolled: 1-line block ×6, first 2 shown]
	v_cvt_f32_i32_e32 v58, v58
	v_cvt_f32_i32_e32 v44, v44
	;; [unrolled: 1-line block ×3, first 2 shown]
	v_lshrrev_b32_e32 v59, 8, v26
	v_bfe_i32 v61, v27, 0, 8
	v_lshrrev_b32_e32 v62, 8, v27
	v_bfe_i32 v48, v48, 0, 16
	v_bfe_i32 v49, v49, 0, 16
	;; [unrolled: 1-line block ×3, first 2 shown]
	v_cvt_f32_i32_e32 v45, v45
	v_cvt_f32_i32_e32 v47, v47
	;; [unrolled: 1-line block ×3, first 2 shown]
	v_bfe_i32 v37, v24, 0, 8
	v_lshrrev_b32_e32 v38, 8, v24
	v_bfe_i32 v41, v25, 0, 8
	v_lshrrev_b32_e32 v56, 8, v25
	v_lshrrev_b32_e32 v60, 16, v26
	v_lshrrev_b32_e32 v63, 16, v27
	v_bfe_i32 v59, v59, 0, 8
	v_bfe_i32 v62, v62, 0, 8
	;; [unrolled: 1-line block ×3, first 2 shown]
	v_cvt_f32_i32_e32 v48, v48
	v_cvt_f32_i32_e32 v49, v49
	;; [unrolled: 1-line block ×3, first 2 shown]
	v_lshrrev_b32_e32 v39, 16, v24
	v_lshrrev_b32_e32 v57, 16, v25
	;; [unrolled: 1-line block ×4, first 2 shown]
	v_bfe_i32 v38, v38, 0, 8
	v_bfe_i32 v56, v56, 0, 8
	;; [unrolled: 1-line block ×7, first 2 shown]
	v_cvt_f32_i32_e32 v61, v61
	v_bfe_i32 v62, v62, 0, 16
	v_lshrrev_b32_e32 v24, 24, v24
	v_lshrrev_b32_e32 v25, 24, v25
	v_bfe_i32 v39, v39, 0, 8
	v_bfe_i32 v57, v57, 0, 8
	;; [unrolled: 1-line block ×4, first 2 shown]
	v_cvt_f32_i32_e32 v37, v37
	v_bfe_i32 v38, v38, 0, 16
	v_cvt_f32_i32_e32 v41, v41
	v_bfe_i32 v56, v56, 0, 16
	v_bfe_i32 v60, v60, 0, 16
	;; [unrolled: 1-line block ×3, first 2 shown]
	v_cvt_f32_i32_e32 v59, v59
	v_cvt_f32_i32_e32 v62, v62
	s_waitcnt vmcnt(5)
	v_lshrrev_b32_e32 v66, 16, v28
	v_lshrrev_b32_e32 v69, 16, v29
	v_bfe_i32 v70, v30, 0, 8
	v_lshrrev_b32_e32 v71, 8, v30
	v_lshrrev_b32_e32 v72, 16, v30
	v_bfe_i32 v73, v31, 0, 8
	v_lshrrev_b32_e32 v74, 8, v31
	v_lshrrev_b32_e32 v75, 16, v31
	v_bfe_i32 v24, v24, 0, 8
	v_bfe_i32 v25, v25, 0, 8
	v_bfe_i32 v39, v39, 0, 16
	;; [unrolled: 1-line block ×5, first 2 shown]
	v_cvt_f32_i32_e32 v38, v38
	v_cvt_f32_i32_e32 v56, v56
	;; [unrolled: 1-line block ×4, first 2 shown]
	v_bfe_i32 v66, v66, 0, 8
	v_bfe_i32 v69, v69, 0, 8
	;; [unrolled: 1-line block ×10, first 2 shown]
	v_cvt_f32_i32_e32 v39, v39
	v_cvt_f32_i32_e32 v57, v57
	;; [unrolled: 1-line block ×4, first 2 shown]
	v_bfe_i32 v64, v28, 0, 8
	v_lshrrev_b32_e32 v65, 8, v28
	v_bfe_i32 v67, v29, 0, 8
	v_lshrrev_b32_e32 v68, 8, v29
	s_waitcnt vmcnt(4)
	v_bfe_i32 v76, v32, 0, 8
	v_bfe_i32 v79, v33, 0, 8
	;; [unrolled: 1-line block ×4, first 2 shown]
	v_cvt_f32_i32_e32 v70, v70
	v_bfe_i32 v71, v71, 0, 16
	v_bfe_i32 v72, v72, 0, 16
	v_cvt_f32_i32_e32 v73, v73
	v_bfe_i32 v74, v74, 0, 16
	v_bfe_i32 v75, v75, 0, 16
	v_cvt_f32_i32_e32 v24, v24
	v_cvt_f32_i32_e32 v25, v25
	v_bfe_i32 v82, v34, 0, 8
	v_lshrrev_b32_e32 v84, 16, v34
	v_bfe_i32 v85, v35, 0, 8
	v_lshrrev_b32_e32 v87, 16, v35
	v_bfe_i32 v65, v65, 0, 8
	v_bfe_i32 v68, v68, 0, 8
	v_bfe_i32 v64, v64, 0, 16
	v_bfe_i32 v67, v67, 0, 16
	v_bfe_i32 v76, v76, 0, 16
	v_bfe_i32 v79, v79, 0, 16
	v_cvt_f32_i32_e32 v66, v66
	v_cvt_f32_i32_e32 v69, v69
	;; [unrolled: 1-line block ×6, first 2 shown]
	v_lshrrev_b32_e32 v28, 24, v28
	v_lshrrev_b32_e32 v29, 24, v29
	v_bfe_i32 v84, v84, 0, 8
	v_bfe_i32 v87, v87, 0, 8
	;; [unrolled: 1-line block ×4, first 2 shown]
	v_cvt_f32_i32_e32 v64, v64
	v_bfe_i32 v65, v65, 0, 16
	v_cvt_f32_i32_e32 v67, v67
	v_bfe_i32 v68, v68, 0, 16
	v_cvt_f32_i32_e32 v76, v76
	v_cvt_f32_i32_e32 v79, v79
	v_lshrrev_b32_e32 v30, 24, v30
	v_lshrrev_b32_e32 v31, 24, v31
	v_bfe_i32 v28, v28, 0, 8
	v_bfe_i32 v29, v29, 0, 8
	v_cvt_f32_i32_e32 v82, v82
	v_bfe_i32 v84, v84, 0, 16
	v_cvt_f32_i32_e32 v85, v85
	;; [unrolled: 2-line block ×3, first 2 shown]
	v_cvt_f32_i32_e32 v68, v68
	v_lshrrev_b32_e32 v77, 8, v32
	v_lshrrev_b32_e32 v78, 16, v32
	;; [unrolled: 1-line block ×4, first 2 shown]
	v_bfe_i32 v30, v30, 0, 8
	v_bfe_i32 v31, v31, 0, 8
	;; [unrolled: 1-line block ×4, first 2 shown]
	v_cvt_f32_i32_e32 v84, v84
	v_cvt_f32_i32_e32 v87, v87
	v_bfe_i32 v77, v77, 0, 8
	v_bfe_i32 v78, v78, 0, 8
	;; [unrolled: 1-line block ×6, first 2 shown]
	v_cvt_f32_i32_e32 v28, v28
	v_cvt_f32_i32_e32 v29, v29
	v_lshrrev_b32_e32 v83, 8, v34
	v_lshrrev_b32_e32 v86, 8, v35
	v_bfe_i32 v77, v77, 0, 16
	v_bfe_i32 v78, v78, 0, 16
	;; [unrolled: 1-line block ×4, first 2 shown]
	v_cvt_f32_i32_e32 v30, v30
	v_cvt_f32_i32_e32 v31, v31
	v_bfe_i32 v83, v83, 0, 8
	v_bfe_i32 v86, v86, 0, 8
	v_cvt_f32_i32_e32 v77, v77
	v_cvt_f32_i32_e32 v78, v78
	;; [unrolled: 1-line block ×4, first 2 shown]
	v_lshrrev_b32_e32 v32, 24, v32
	v_lshrrev_b32_e32 v33, 24, v33
	;; [unrolled: 1-line block ×4, first 2 shown]
	v_bfe_i32 v83, v83, 0, 16
	v_bfe_i32 v86, v86, 0, 16
	v_bfe_i32 v32, v32, 0, 8
	v_bfe_i32 v33, v33, 0, 8
	v_bfe_i32 v34, v34, 0, 8
	v_bfe_i32 v35, v35, 0, 8
	v_cvt_f32_i32_e32 v83, v83
	v_cvt_f32_i32_e32 v86, v86
	v_bfe_i32 v32, v32, 0, 16
	v_bfe_i32 v33, v33, 0, 16
	;; [unrolled: 1-line block ×4, first 2 shown]
	v_cmp_ge_i64_e32 vcc_lo, v[9:10], v[2:3]
	v_cvt_f32_i32_e32 v32, v32
	v_cvt_f32_i32_e32 v33, v33
	;; [unrolled: 1-line block ×4, first 2 shown]
	s_or_b32 s14, vcc_lo, s14
	s_waitcnt vmcnt(3)
	v_bfe_i32 v89, v40, 0, 8
	v_lshrrev_b32_e32 v90, 8, v40
	v_lshrrev_b32_e32 v88, 16, v40
	;; [unrolled: 1-line block ×3, first 2 shown]
	s_waitcnt vmcnt(2)
	v_bfe_i32 v92, v15, 0, 8
	v_bfe_i32 v89, v89, 0, 16
	;; [unrolled: 1-line block ×6, first 2 shown]
	v_cvt_f32_i32_e32 v89, v89
	v_bfe_i32 v90, v90, 0, 16
	v_bfe_i32 v88, v88, 0, 16
	;; [unrolled: 1-line block ×3, first 2 shown]
	v_cvt_f32_i32_e32 v92, v92
	v_fmac_f32_e32 v21, v42, v89
	v_cvt_f32_i32_e32 v42, v90
	v_fmac_f32_e32 v22, v50, v89
	;; [unrolled: 2-line block ×3, first 2 shown]
	v_lshrrev_b32_e32 v93, 8, v15
	v_lshrrev_b32_e32 v91, 16, v15
	v_dual_fmac_f32 v22, v51, v42 :: v_dual_fmac_f32 v23, v46, v89
	v_cvt_f32_i32_e32 v46, v88
	s_delay_alu instid0(VALU_DEP_4)
	v_bfe_i32 v93, v93, 0, 8
	v_lshrrev_b32_e32 v15, 24, v15
	v_bfe_i32 v91, v91, 0, 8
	s_waitcnt vmcnt(1)
	v_lshrrev_b32_e32 v94, 16, v16
	v_fmac_f32_e32 v22, v52, v46
	v_fmac_f32_e32 v21, v43, v42
	v_bfe_i32 v93, v93, 0, 16
	v_bfe_i32 v15, v15, 0, 8
	;; [unrolled: 1-line block ×3, first 2 shown]
	s_delay_alu instid0(VALU_DEP_4) | instskip(NEXT) | instid1(VALU_DEP_4)
	v_dual_fmac_f32 v22, v17, v40 :: v_dual_fmac_f32 v21, v44, v46
	v_cvt_f32_i32_e32 v17, v93
	v_bfe_i32 v95, v16, 0, 8
	v_lshrrev_b32_e32 v96, 8, v16
	s_delay_alu instid0(VALU_DEP_4) | instskip(SKIP_2) | instid1(VALU_DEP_4)
	v_fmac_f32_e32 v22, v58, v92
	v_dual_fmac_f32 v20, v54, v42 :: v_dual_fmac_f32 v21, v45, v40
	v_bfe_i32 v15, v15, 0, 16
	v_bfe_i32 v96, v96, 0, 8
	s_delay_alu instid0(VALU_DEP_4) | instskip(NEXT) | instid1(VALU_DEP_4)
	v_fmac_f32_e32 v22, v59, v17
	v_fmac_f32_e32 v20, v55, v46
	;; [unrolled: 1-line block ×4, first 2 shown]
	v_bfe_i32 v94, v94, 0, 8
	v_bfe_i32 v95, v95, 0, 16
	s_delay_alu instid0(VALU_DEP_4) | instskip(SKIP_3) | instid1(VALU_DEP_4)
	v_dual_fmac_f32 v20, v18, v40 :: v_dual_fmac_f32 v23, v48, v46
	v_cvt_f32_i32_e32 v18, v91
	v_fmac_f32_e32 v21, v38, v17
	v_cvt_f32_i32_e32 v15, v15
	v_fmac_f32_e32 v20, v61, v92
	s_delay_alu instid0(VALU_DEP_4) | instskip(SKIP_3) | instid1(VALU_DEP_3)
	v_dual_fmac_f32 v23, v49, v40 :: v_dual_fmac_f32 v22, v60, v18
	s_waitcnt vmcnt(0)
	v_bfe_i32 v98, v36, 0, 8
	v_cvt_f32_i32_e32 v95, v95
	v_dual_fmac_f32 v20, v62, v17 :: v_dual_fmac_f32 v23, v41, v92
	v_bfe_i32 v96, v96, 0, 16
	v_bfe_i32 v94, v94, 0, 16
	v_dual_fmac_f32 v21, v39, v18 :: v_dual_fmac_f32 v22, v26, v15
	s_delay_alu instid0(VALU_DEP_4) | instskip(SKIP_3) | instid1(VALU_DEP_4)
	v_dual_fmac_f32 v23, v56, v17 :: v_dual_fmac_f32 v20, v63, v18
	v_lshrrev_b32_e32 v97, 16, v36
	v_bfe_i32 v98, v98, 0, 16
	v_lshrrev_b32_e32 v16, 24, v16
	v_dual_fmac_f32 v23, v57, v18 :: v_dual_fmac_f32 v20, v27, v15
	v_cvt_f32_i32_e32 v18, v94
	v_fmac_f32_e32 v21, v24, v15
	v_fmac_f32_e32 v22, v70, v95
	s_delay_alu instid0(VALU_DEP_4)
	v_fmac_f32_e32 v23, v25, v15
	v_cvt_f32_i32_e32 v15, v96
	v_fmac_f32_e32 v20, v73, v95
	v_bfe_i32 v97, v97, 0, 8
	v_cvt_f32_i32_e32 v98, v98
	v_bfe_i32 v16, v16, 0, 8
	v_fmac_f32_e32 v22, v71, v15
	v_fmac_f32_e32 v20, v74, v15
	v_bfe_i32 v17, v97, 0, 16
	v_lshrrev_b32_e32 v99, 8, v36
	v_bfe_i32 v16, v16, 0, 16
	v_dual_fmac_f32 v22, v72, v18 :: v_dual_fmac_f32 v23, v67, v95
	v_dual_fmac_f32 v20, v75, v18 :: v_dual_fmac_f32 v21, v64, v95
	v_cvt_f32_i32_e32 v17, v17
	v_bfe_i32 v99, v99, 0, 8
	s_delay_alu instid0(VALU_DEP_4)
	v_fmac_f32_e32 v23, v68, v15
	v_lshrrev_b32_e32 v36, 24, v36
	v_fmac_f32_e32 v21, v65, v15
	v_cvt_f32_i32_e32 v15, v16
	v_bfe_i32 v42, v99, 0, 16
	v_fmac_f32_e32 v23, v69, v18
	v_bfe_i32 v36, v36, 0, 8
	v_fmac_f32_e32 v21, v66, v18
	v_fmac_f32_e32 v22, v30, v15
	;; [unrolled: 1-line block ×4, first 2 shown]
	v_bfe_i32 v16, v36, 0, 16
	v_fmac_f32_e32 v21, v28, v15
	v_cvt_f32_i32_e32 v15, v42
	s_delay_alu instid0(VALU_DEP_4) | instskip(NEXT) | instid1(VALU_DEP_3)
	v_fmac_f32_e32 v23, v79, v98
	v_fmac_f32_e32 v21, v76, v98
	s_delay_alu instid0(VALU_DEP_2) | instskip(NEXT) | instid1(VALU_DEP_2)
	v_fmac_f32_e32 v23, v80, v15
	v_fmac_f32_e32 v21, v77, v15
	s_delay_alu instid0(VALU_DEP_2) | instskip(NEXT) | instid1(VALU_DEP_2)
	v_dual_fmac_f32 v23, v81, v17 :: v_dual_fmac_f32 v22, v82, v98
	v_dual_fmac_f32 v21, v78, v17 :: v_dual_fmac_f32 v20, v85, v98
	s_delay_alu instid0(VALU_DEP_2) | instskip(NEXT) | instid1(VALU_DEP_2)
	v_fmac_f32_e32 v22, v83, v15
	v_fmac_f32_e32 v20, v86, v15
	v_cvt_f32_i32_e32 v15, v16
	s_delay_alu instid0(VALU_DEP_3) | instskip(NEXT) | instid1(VALU_DEP_2)
	v_fmac_f32_e32 v22, v84, v17
	v_dual_fmac_f32 v20, v87, v17 :: v_dual_fmac_f32 v21, v32, v15
	v_fmac_f32_e32 v23, v33, v15
	s_delay_alu instid0(VALU_DEP_3) | instskip(NEXT) | instid1(VALU_DEP_3)
	v_fmac_f32_e32 v22, v34, v15
	v_fmac_f32_e32 v20, v35, v15
	s_and_not1_b32 exec_lo, exec_lo, s14
	s_cbranch_execnz .LBB83_21
; %bb.22:
	s_or_b32 exec_lo, exec_lo, s14
.LBB83_23:
	s_delay_alu instid0(SALU_CYCLE_1)
	s_or_b32 exec_lo, exec_lo, s13
.LBB83_24:
	s_delay_alu instid0(SALU_CYCLE_1) | instskip(NEXT) | instid1(SALU_CYCLE_1)
	s_or_b32 exec_lo, exec_lo, s11
	s_and_not1_b32 vcc_lo, exec_lo, s10
	s_cbranch_vccz .LBB83_26
	s_branch .LBB83_37
.LBB83_25:
                                        ; implicit-def: $vgpr20
                                        ; implicit-def: $vgpr22
                                        ; implicit-def: $vgpr23
                                        ; implicit-def: $vgpr21
.LBB83_26:
	v_dual_mov_b32 v20, 0 :: v_dual_mov_b32 v23, 0
	v_dual_mov_b32 v22, 0 :: v_dual_mov_b32 v21, 0
	s_and_saveexec_b32 s5, s2
	s_cbranch_execz .LBB83_36
; %bb.27:
	v_or_b32_e32 v9, 32, v19
	v_mov_b32_e32 v21, 0
	v_dual_mov_b32 v23, 0 :: v_dual_mov_b32 v22, 0
	v_mov_b32_e32 v20, 0
	s_delay_alu instid0(VALU_DEP_4) | instskip(NEXT) | instid1(VALU_DEP_1)
	v_sub_co_u32 v9, s2, v9, s18
	v_sub_co_ci_u32_e64 v10, null, 0, 0, s2
	v_sub_co_u32 v11, s2, s18, v19
	s_delay_alu instid0(VALU_DEP_3) | instskip(NEXT) | instid1(VALU_DEP_3)
	v_add_co_u32 v9, vcc_lo, v9, v7
	v_add_co_ci_u32_e32 v10, vcc_lo, v10, v8, vcc_lo
	v_not_b32_e32 v7, v7
	v_not_b32_e32 v8, v8
	v_sub_co_ci_u32_e64 v12, null, 0, 0, s2
	s_delay_alu instid0(VALU_DEP_4) | instskip(SKIP_4) | instid1(VALU_DEP_2)
	v_cmp_gt_i64_e32 vcc_lo, v[9:10], v[2:3]
	s_mov_b32 s2, exec_lo
	v_dual_cndmask_b32 v10, v3, v10 :: v_dual_cndmask_b32 v9, v2, v9
	v_add_co_u32 v7, vcc_lo, v11, v7
	v_add_co_ci_u32_e32 v8, vcc_lo, v12, v8, vcc_lo
	v_add_co_u32 v7, vcc_lo, v7, v9
	s_delay_alu instid0(VALU_DEP_2) | instskip(NEXT) | instid1(VALU_DEP_2)
	v_add_co_ci_u32_e32 v8, vcc_lo, v8, v10, vcc_lo
	v_lshrrev_b32_e32 v9, 5, v7
	s_delay_alu instid0(VALU_DEP_1) | instskip(NEXT) | instid1(VALU_DEP_1)
	v_add_nc_u32_e32 v9, 1, v9
	v_and_b32_e32 v9, 3, v9
	s_delay_alu instid0(VALU_DEP_1)
	v_cmpx_ne_u32_e32 0, v9
	s_cbranch_execz .LBB83_31
; %bb.28:
	v_lshlrev_b64 v[11:12], 2, v[0:1]
	v_dual_mov_b32 v10, 0 :: v_dual_lshlrev_b32 v9, 2, v9
	s_mov_b32 s3, 0
	s_delay_alu instid0(VALU_DEP_1) | instskip(NEXT) | instid1(VALU_DEP_3)
	v_mov_b32_e32 v20, v10
	v_add_co_u32 v11, vcc_lo, s8, v11
	s_delay_alu instid0(VALU_DEP_4)
	v_add_co_ci_u32_e32 v12, vcc_lo, s9, v12, vcc_lo
	v_mov_b32_e32 v22, v10
	v_mov_b32_e32 v23, v10
	;; [unrolled: 1-line block ×3, first 2 shown]
.LBB83_29:                              ; =>This Inner Loop Header: Depth=1
	global_load_b32 v17, v[11:12], off
	global_load_b128 v[13:16], v[5:6], off
	s_waitcnt vmcnt(1)
	v_subrev_nc_u32_e32 v17, s18, v17
	s_waitcnt vmcnt(0)
	v_lshrrev_b32_e32 v25, 16, v13
	v_lshrrev_b32_e32 v24, 8, v13
	v_lshrrev_b32_e32 v28, 16, v14
	v_bfe_i32 v26, v14, 0, 8
	v_lshrrev_b32_e32 v27, 8, v14
	v_bfe_i32 v25, v25, 0, 8
	v_lshrrev_b32_e32 v14, 24, v14
	v_bfe_i32 v24, v24, 0, 8
	v_bfe_i32 v28, v28, 0, 8
	;; [unrolled: 1-line block ×4, first 2 shown]
	v_lshrrev_b32_e32 v30, 8, v15
	v_lshrrev_b32_e32 v31, 16, v15
	;; [unrolled: 1-line block ×3, first 2 shown]
	v_bfe_i32 v27, v27, 0, 8
	v_cvt_f32_i32_e32 v25, v25
	v_lshlrev_b32_e32 v17, 2, v17
	v_bfe_i32 v14, v14, 0, 8
	v_bfe_i32 v26, v26, 0, 16
	;; [unrolled: 1-line block ×4, first 2 shown]
	v_ashrrev_i32_e32 v18, 31, v17
	s_waitcnt lgkmcnt(0)
	v_add_co_u32 v17, vcc_lo, s6, v17
	v_bfe_i32 v32, v16, 0, 8
	v_lshrrev_b32_e32 v33, 8, v16
	v_add_co_ci_u32_e32 v18, vcc_lo, s7, v18, vcc_lo
	v_lshrrev_b32_e32 v34, 16, v16
	v_lshrrev_b32_e32 v16, 24, v16
	v_bfe_i32 v30, v30, 0, 8
	global_load_b32 v17, v[17:18], off
	v_bfe_i32 v18, v13, 0, 8
	v_lshrrev_b32_e32 v13, 24, v13
	v_bfe_i32 v31, v31, 0, 8
	v_bfe_i32 v15, v15, 0, 8
	v_cvt_f32_i32_e32 v26, v26
	v_bfe_i32 v18, v18, 0, 16
	v_bfe_i32 v13, v13, 0, 8
	;; [unrolled: 1-line block ×4, first 2 shown]
	v_cvt_f32_i32_e32 v24, v24
	v_cvt_f32_i32_e32 v18, v18
	v_bfe_i32 v13, v13, 0, 16
	v_cvt_f32_i32_e32 v28, v28
	v_add_co_u32 v5, vcc_lo, 0x200, v5
	v_add_co_ci_u32_e32 v6, vcc_lo, 0, v6, vcc_lo
	s_delay_alu instid0(VALU_DEP_4)
	v_cvt_f32_i32_e32 v13, v13
	v_add_co_u32 v0, vcc_lo, v0, 32
	v_bfe_i32 v33, v33, 0, 8
	v_bfe_i32 v34, v34, 0, 8
	;; [unrolled: 1-line block ×7, first 2 shown]
	v_cvt_f32_i32_e32 v27, v27
	v_cvt_f32_i32_e32 v14, v14
	v_add_co_ci_u32_e32 v1, vcc_lo, 0, v1, vcc_lo
	v_add_co_u32 v11, vcc_lo, 0x80, v11
	v_add_co_ci_u32_e32 v12, vcc_lo, 0, v12, vcc_lo
	v_add_co_u32 v9, vcc_lo, v9, -4
	v_bfe_i32 v32, v32, 0, 16
	v_cvt_f32_i32_e32 v29, v29
	v_bfe_i32 v33, v33, 0, 16
	v_bfe_i32 v34, v34, 0, 16
	;; [unrolled: 1-line block ×3, first 2 shown]
	v_cvt_f32_i32_e32 v30, v30
	v_cvt_f32_i32_e32 v31, v31
	;; [unrolled: 1-line block ×3, first 2 shown]
	v_add_co_ci_u32_e32 v10, vcc_lo, -1, v10, vcc_lo
	v_cvt_f32_i32_e32 v32, v32
	v_cvt_f32_i32_e32 v33, v33
	;; [unrolled: 1-line block ×4, first 2 shown]
	v_cmp_eq_u64_e32 vcc_lo, 0, v[9:10]
	s_or_b32 s3, vcc_lo, s3
	s_waitcnt vmcnt(0)
	v_bfe_i32 v35, v17, 0, 8
	v_lshrrev_b32_e32 v36, 8, v17
	v_lshrrev_b32_e32 v37, 16, v17
	;; [unrolled: 1-line block ×3, first 2 shown]
	s_delay_alu instid0(VALU_DEP_4) | instskip(NEXT) | instid1(VALU_DEP_4)
	v_bfe_i32 v35, v35, 0, 16
	v_bfe_i32 v36, v36, 0, 8
	s_delay_alu instid0(VALU_DEP_4) | instskip(NEXT) | instid1(VALU_DEP_4)
	v_bfe_i32 v37, v37, 0, 8
	v_bfe_i32 v17, v17, 0, 8
	s_delay_alu instid0(VALU_DEP_4) | instskip(NEXT) | instid1(VALU_DEP_4)
	v_cvt_f32_i32_e32 v35, v35
	v_bfe_i32 v36, v36, 0, 16
	s_delay_alu instid0(VALU_DEP_4) | instskip(NEXT) | instid1(VALU_DEP_4)
	v_bfe_i32 v37, v37, 0, 16
	v_bfe_i32 v17, v17, 0, 16
	s_delay_alu instid0(VALU_DEP_4) | instskip(SKIP_2) | instid1(VALU_DEP_1)
	v_fmac_f32_e32 v22, v25, v35
	v_fmac_f32_e32 v21, v18, v35
	v_cvt_f32_i32_e32 v18, v36
	v_fmac_f32_e32 v22, v28, v18
	s_delay_alu instid0(VALU_DEP_3) | instskip(SKIP_2) | instid1(VALU_DEP_3)
	v_dual_fmac_f32 v20, v13, v35 :: v_dual_fmac_f32 v21, v26, v18
	v_fmac_f32_e32 v23, v24, v35
	v_cvt_f32_i32_e32 v13, v37
	v_fmac_f32_e32 v20, v14, v18
	v_cvt_f32_i32_e32 v14, v17
	s_delay_alu instid0(VALU_DEP_4) | instskip(NEXT) | instid1(VALU_DEP_4)
	v_fmac_f32_e32 v23, v27, v18
	v_fmac_f32_e32 v22, v31, v13
	;; [unrolled: 1-line block ×4, first 2 shown]
	s_delay_alu instid0(VALU_DEP_4) | instskip(NEXT) | instid1(VALU_DEP_4)
	v_fmac_f32_e32 v23, v30, v13
	v_fmac_f32_e32 v22, v34, v14
	s_delay_alu instid0(VALU_DEP_4) | instskip(NEXT) | instid1(VALU_DEP_4)
	v_fmac_f32_e32 v21, v32, v14
	v_fmac_f32_e32 v20, v16, v14
	s_delay_alu instid0(VALU_DEP_4)
	v_fmac_f32_e32 v23, v33, v14
	s_and_not1_b32 exec_lo, exec_lo, s3
	s_cbranch_execnz .LBB83_29
; %bb.30:
	s_or_b32 exec_lo, exec_lo, s3
.LBB83_31:
	s_delay_alu instid0(SALU_CYCLE_1) | instskip(NEXT) | instid1(SALU_CYCLE_1)
	s_or_b32 exec_lo, exec_lo, s2
	s_mov_b32 s10, exec_lo
	v_cmpx_lt_u64_e32 0x5f, v[7:8]
	s_cbranch_execz .LBB83_35
; %bb.32:
	v_lshlrev_b64 v[7:8], 2, v[0:1]
	s_delay_alu instid0(VALU_DEP_1) | instskip(NEXT) | instid1(VALU_DEP_2)
	v_add_co_u32 v7, vcc_lo, v7, s8
	v_add_co_ci_u32_e32 v8, vcc_lo, s9, v8, vcc_lo
	s_mov_b32 s8, 0
	s_delay_alu instid0(VALU_DEP_2) | instskip(NEXT) | instid1(VALU_DEP_2)
	v_add_co_u32 v7, vcc_lo, 0x100, v7
	v_add_co_ci_u32_e32 v8, vcc_lo, 0, v8, vcc_lo
.LBB83_33:                              ; =>This Inner Loop Header: Depth=1
	s_clause 0x3
	global_load_b32 v17, v[7:8], off offset:-256
	global_load_b32 v18, v[7:8], off offset:-128
	global_load_b32 v32, v[7:8], off
	global_load_b32 v33, v[7:8], off offset:128
	s_clause 0x3
	global_load_b128 v[9:12], v[5:6], off
	global_load_b128 v[13:16], v[5:6], off offset:512
	global_load_b128 v[24:27], v[5:6], off offset:1024
	;; [unrolled: 1-line block ×3, first 2 shown]
	v_add_co_u32 v5, vcc_lo, 0x800, v5
	v_add_co_ci_u32_e32 v6, vcc_lo, 0, v6, vcc_lo
	v_add_co_u32 v0, vcc_lo, 0x80, v0
	v_add_co_ci_u32_e32 v1, vcc_lo, 0, v1, vcc_lo
	;; [unrolled: 2-line block ×3, first 2 shown]
	s_waitcnt vmcnt(7)
	v_subrev_nc_u32_e32 v17, s18, v17
	s_waitcnt vmcnt(3)
	v_lshrrev_b32_e32 v38, 16, v9
	v_lshrrev_b32_e32 v39, 24, v9
	;; [unrolled: 1-line block ×3, first 2 shown]
	v_bfe_i32 v36, v9, 0, 8
	v_subrev_nc_u32_e32 v9, s18, v18
	v_bfe_i32 v38, v38, 0, 8
	v_bfe_i32 v39, v39, 0, 8
	v_bfe_i32 v37, v37, 0, 8
	v_bfe_i32 v40, v10, 0, 8
	v_lshrrev_b32_e32 v41, 8, v10
	v_bfe_i32 v38, v38, 0, 16
	v_bfe_i32 v39, v39, 0, 16
	v_lshrrev_b32_e32 v42, 16, v10
	v_lshrrev_b32_e32 v43, 24, v10
	v_subrev_nc_u32_e32 v10, s18, v32
	v_bfe_i32 v36, v36, 0, 16
	v_subrev_nc_u32_e32 v18, s18, v33
	v_bfe_i32 v37, v37, 0, 16
	v_cvt_f32_i32_e32 v38, v38
	v_lshlrev_b32_e32 v33, 2, v17
	v_cvt_f32_i32_e32 v39, v39
	v_lshlrev_b32_e32 v9, 2, v9
	v_cvt_f32_i32_e32 v36, v36
	v_lshlrev_b32_e32 v10, 2, v10
	v_cvt_f32_i32_e32 v37, v37
	v_lshlrev_b32_e32 v18, 2, v18
	v_ashrrev_i32_e32 v35, 31, v33
	v_ashrrev_i32_e32 v50, 31, v9
	;; [unrolled: 1-line block ×3, first 2 shown]
	s_waitcnt lgkmcnt(0)
	v_add_co_u32 v34, s4, s6, v33
	v_ashrrev_i32_e32 v52, 31, v18
	v_add_co_u32 v9, vcc_lo, s6, v9
	v_add_co_u32 v17, s2, s6, v10
	v_add_co_ci_u32_e64 v35, s4, s7, v35, s4
	v_add_co_u32 v32, s3, s6, v18
	v_add_co_ci_u32_e32 v10, vcc_lo, s7, v50, vcc_lo
	v_add_co_ci_u32_e64 v18, vcc_lo, s7, v51, s2
	v_add_co_ci_u32_e64 v33, vcc_lo, s7, v52, s3
	s_clause 0x3
	global_load_b32 v34, v[34:35], off
	global_load_b32 v9, v[9:10], off
	;; [unrolled: 1-line block ×4, first 2 shown]
	v_bfe_i32 v44, v11, 0, 8
	v_lshrrev_b32_e32 v45, 8, v11
	v_lshrrev_b32_e32 v46, 16, v11
	;; [unrolled: 1-line block ×3, first 2 shown]
	v_bfe_i32 v43, v43, 0, 8
	v_bfe_i32 v47, v12, 0, 8
	v_lshrrev_b32_e32 v48, 8, v12
	v_lshrrev_b32_e32 v49, 16, v12
	;; [unrolled: 1-line block ×3, first 2 shown]
	v_bfe_i32 v41, v41, 0, 8
	v_bfe_i32 v42, v42, 0, 8
	;; [unrolled: 1-line block ×5, first 2 shown]
	s_waitcnt vmcnt(6)
	v_bfe_i32 v18, v13, 0, 8
	v_lshrrev_b32_e32 v32, 8, v13
	v_lshrrev_b32_e32 v33, 16, v13
	;; [unrolled: 1-line block ×4, first 2 shown]
	v_bfe_i32 v46, v46, 0, 8
	v_bfe_i32 v12, v12, 0, 8
	;; [unrolled: 1-line block ×7, first 2 shown]
	v_cvt_f32_i32_e32 v43, v43
	v_bfe_i32 v35, v14, 0, 8
	v_lshrrev_b32_e32 v51, 16, v14
	v_lshrrev_b32_e32 v14, 24, v14
	v_bfe_i32 v44, v44, 0, 16
	v_bfe_i32 v13, v13, 0, 8
	;; [unrolled: 1-line block ×3, first 2 shown]
	v_cvt_f32_i32_e32 v40, v40
	v_bfe_i32 v46, v46, 0, 16
	v_bfe_i32 v12, v12, 0, 16
	v_cvt_f32_i32_e32 v41, v41
	v_cvt_f32_i32_e32 v42, v42
	;; [unrolled: 1-line block ×4, first 2 shown]
	v_bfe_i32 v52, v15, 0, 8
	v_lshrrev_b32_e32 v53, 8, v15
	v_lshrrev_b32_e32 v54, 16, v15
	;; [unrolled: 1-line block ×3, first 2 shown]
	v_bfe_i32 v55, v16, 0, 8
	v_bfe_i32 v47, v47, 0, 16
	;; [unrolled: 1-line block ×3, first 2 shown]
	v_cvt_f32_i32_e32 v44, v44
	v_bfe_i32 v13, v13, 0, 16
	v_bfe_i32 v50, v50, 0, 16
	v_cvt_f32_i32_e32 v46, v46
	v_cvt_f32_i32_e32 v12, v12
	v_bfe_i32 v49, v49, 0, 8
	v_bfe_i32 v15, v15, 0, 8
	;; [unrolled: 1-line block ×4, first 2 shown]
	v_cvt_f32_i32_e32 v47, v47
	v_bfe_i32 v14, v14, 0, 16
	v_cvt_f32_i32_e32 v13, v13
	v_cvt_f32_i32_e32 v50, v50
	v_bfe_i32 v48, v48, 0, 8
	v_bfe_i32 v33, v33, 0, 8
	;; [unrolled: 1-line block ×4, first 2 shown]
	v_cvt_f32_i32_e32 v18, v18
	v_bfe_i32 v15, v15, 0, 16
	v_cvt_f32_i32_e32 v55, v55
	v_cvt_f32_i32_e32 v14, v14
	v_bfe_i32 v32, v32, 0, 8
	v_bfe_i32 v51, v51, 0, 8
	;; [unrolled: 1-line block ×5, first 2 shown]
	v_cvt_f32_i32_e32 v35, v35
	v_cvt_f32_i32_e32 v49, v49
	;; [unrolled: 1-line block ×3, first 2 shown]
	v_bfe_i32 v54, v54, 0, 8
	v_bfe_i32 v32, v32, 0, 16
	;; [unrolled: 1-line block ×3, first 2 shown]
	v_cvt_f32_i32_e32 v52, v52
	v_cvt_f32_i32_e32 v48, v48
	;; [unrolled: 1-line block ×3, first 2 shown]
	v_lshrrev_b32_e32 v56, 8, v16
	v_lshrrev_b32_e32 v57, 16, v16
	v_lshrrev_b32_e32 v16, 24, v16
	s_waitcnt vmcnt(4)
	v_lshrrev_b32_e32 v72, 16, v28
	v_bfe_i32 v53, v53, 0, 8
	v_bfe_i32 v54, v54, 0, 16
	v_cvt_f32_i32_e32 v32, v32
	v_cvt_f32_i32_e32 v51, v51
	v_bfe_i32 v58, v24, 0, 8
	v_lshrrev_b32_e32 v59, 8, v24
	v_lshrrev_b32_e32 v60, 16, v24
	;; [unrolled: 1-line block ×5, first 2 shown]
	v_bfe_i32 v56, v56, 0, 8
	v_bfe_i32 v57, v57, 0, 8
	;; [unrolled: 1-line block ×5, first 2 shown]
	v_cvt_f32_i32_e32 v54, v54
	v_bfe_i32 v61, v25, 0, 8
	v_lshrrev_b32_e32 v62, 8, v25
	v_lshrrev_b32_e32 v63, 16, v25
	;; [unrolled: 1-line block ×3, first 2 shown]
	v_bfe_i32 v70, v28, 0, 8
	v_lshrrev_b32_e32 v28, 24, v28
	v_bfe_i32 v76, v30, 0, 8
	v_lshrrev_b32_e32 v77, 8, v30
	v_lshrrev_b32_e32 v30, 24, v30
	v_bfe_i32 v59, v59, 0, 8
	v_bfe_i32 v60, v60, 0, 8
	;; [unrolled: 1-line block ×9, first 2 shown]
	v_cvt_f32_i32_e32 v53, v53
	v_bfe_i32 v64, v26, 0, 8
	v_lshrrev_b32_e32 v65, 8, v26
	v_lshrrev_b32_e32 v66, 16, v26
	;; [unrolled: 1-line block ×3, first 2 shown]
	v_bfe_i32 v62, v62, 0, 8
	v_bfe_i32 v63, v63, 0, 8
	;; [unrolled: 1-line block ×13, first 2 shown]
	v_cvt_f32_i32_e32 v56, v56
	v_cvt_f32_i32_e32 v57, v57
	;; [unrolled: 1-line block ×4, first 2 shown]
	v_bfe_i32 v67, v27, 0, 8
	v_lshrrev_b32_e32 v68, 8, v27
	v_lshrrev_b32_e32 v69, 16, v27
	;; [unrolled: 1-line block ×3, first 2 shown]
	v_bfe_i32 v65, v65, 0, 8
	v_bfe_i32 v66, v66, 0, 8
	;; [unrolled: 1-line block ×4, first 2 shown]
	v_cvt_f32_i32_e32 v58, v58
	v_bfe_i32 v62, v62, 0, 16
	v_bfe_i32 v63, v63, 0, 16
	;; [unrolled: 1-line block ×3, first 2 shown]
	v_cvt_f32_i32_e32 v70, v70
	v_bfe_i32 v28, v28, 0, 16
	v_bfe_i32 v77, v77, 0, 16
	;; [unrolled: 1-line block ×3, first 2 shown]
	v_cvt_f32_i32_e32 v59, v59
	v_cvt_f32_i32_e32 v60, v60
	;; [unrolled: 1-line block ×5, first 2 shown]
	v_bfe_i32 v68, v68, 0, 8
	v_bfe_i32 v69, v69, 0, 8
	;; [unrolled: 1-line block ×5, first 2 shown]
	v_cvt_f32_i32_e32 v61, v61
	v_bfe_i32 v65, v65, 0, 16
	v_bfe_i32 v66, v66, 0, 16
	;; [unrolled: 1-line block ×3, first 2 shown]
	v_cvt_f32_i32_e32 v62, v62
	v_cvt_f32_i32_e32 v63, v63
	;; [unrolled: 1-line block ×6, first 2 shown]
	v_bfe_i32 v73, v29, 0, 8
	v_lshrrev_b32_e32 v74, 8, v29
	v_lshrrev_b32_e32 v75, 16, v29
	;; [unrolled: 1-line block ×3, first 2 shown]
	v_bfe_i32 v67, v67, 0, 16
	v_cvt_f32_i32_e32 v64, v64
	v_bfe_i32 v68, v68, 0, 16
	v_bfe_i32 v69, v69, 0, 16
	;; [unrolled: 1-line block ×3, first 2 shown]
	v_cvt_f32_i32_e32 v76, v76
	v_cvt_f32_i32_e32 v65, v65
	v_cvt_f32_i32_e32 v66, v66
	v_cvt_f32_i32_e32 v26, v26
	v_bfe_i32 v74, v74, 0, 8
	v_bfe_i32 v75, v75, 0, 8
	;; [unrolled: 1-line block ×3, first 2 shown]
	v_cvt_f32_i32_e32 v67, v67
	v_cvt_f32_i32_e32 v68, v68
	;; [unrolled: 1-line block ×4, first 2 shown]
	v_bfe_i32 v79, v31, 0, 8
	v_lshrrev_b32_e32 v80, 8, v31
	v_lshrrev_b32_e32 v81, 16, v31
	;; [unrolled: 1-line block ×3, first 2 shown]
	v_bfe_i32 v73, v73, 0, 16
	v_bfe_i32 v74, v74, 0, 16
	;; [unrolled: 1-line block ×7, first 2 shown]
	v_cvt_f32_i32_e32 v73, v73
	v_cvt_f32_i32_e32 v74, v74
	;; [unrolled: 1-line block ×4, first 2 shown]
	v_bfe_i32 v79, v79, 0, 16
	v_bfe_i32 v80, v80, 0, 16
	;; [unrolled: 1-line block ×4, first 2 shown]
	v_cmp_ge_i64_e32 vcc_lo, v[0:1], v[2:3]
	v_cvt_f32_i32_e32 v79, v79
	v_cvt_f32_i32_e32 v80, v80
	;; [unrolled: 1-line block ×4, first 2 shown]
	s_or_b32 s8, vcc_lo, s8
	s_waitcnt vmcnt(3)
	v_bfe_i32 v83, v34, 0, 8
	v_lshrrev_b32_e32 v84, 8, v34
	v_lshrrev_b32_e32 v82, 16, v34
	;; [unrolled: 1-line block ×3, first 2 shown]
	s_waitcnt vmcnt(2)
	v_lshrrev_b32_e32 v85, 16, v9
	v_bfe_i32 v83, v83, 0, 16
	v_bfe_i32 v84, v84, 0, 8
	;; [unrolled: 1-line block ×5, first 2 shown]
	v_cvt_f32_i32_e32 v83, v83
	v_bfe_i32 v84, v84, 0, 16
	v_bfe_i32 v82, v82, 0, 16
	v_lshrrev_b32_e32 v87, 8, v9
	v_lshrrev_b32_e32 v9, 24, v9
	v_fmac_f32_e32 v23, v37, v83
	v_fmac_f32_e32 v21, v36, v83
	v_cvt_f32_i32_e32 v36, v84
	v_fmac_f32_e32 v20, v39, v83
	v_bfe_i32 v34, v34, 0, 16
	v_fmac_f32_e32 v22, v38, v83
	v_cvt_f32_i32_e32 v37, v82
	v_bfe_i32 v87, v87, 0, 8
	v_fmac_f32_e32 v20, v43, v36
	v_bfe_i32 v9, v9, 0, 8
	v_bfe_i32 v86, v86, 0, 16
	v_fmac_f32_e32 v23, v41, v36
	v_fmac_f32_e32 v22, v42, v36
	;; [unrolled: 1-line block ×3, first 2 shown]
	v_cvt_f32_i32_e32 v34, v34
	v_fmac_f32_e32 v20, v11, v37
	v_bfe_i32 v85, v85, 0, 8
	v_fmac_f32_e32 v22, v46, v37
	v_cvt_f32_i32_e32 v86, v86
	v_bfe_i32 v87, v87, 0, 16
	v_bfe_i32 v9, v9, 0, 16
	v_fmac_f32_e32 v21, v44, v37
	v_fmac_f32_e32 v20, v12, v34
	v_bfe_i32 v85, v85, 0, 16
	v_cvt_f32_i32_e32 v12, v87
	v_cvt_f32_i32_e32 v9, v9
	v_fmac_f32_e32 v23, v45, v37
	v_fmac_f32_e32 v20, v13, v86
	;; [unrolled: 1-line block ×3, first 2 shown]
	v_cvt_f32_i32_e32 v13, v85
	s_waitcnt vmcnt(0)
	v_bfe_i32 v92, v17, 0, 8
	v_bfe_i32 v89, v10, 0, 8
	v_fmac_f32_e32 v20, v14, v12
	v_fmac_f32_e32 v21, v18, v86
	v_lshrrev_b32_e32 v90, 8, v10
	v_bfe_i32 v92, v92, 0, 16
	v_lshrrev_b32_e32 v88, 16, v10
	v_fmac_f32_e32 v20, v15, v13
	v_dual_fmac_f32 v22, v49, v34 :: v_dual_fmac_f32 v21, v35, v12
	v_bfe_i32 v90, v90, 0, 8
	v_bfe_i32 v89, v89, 0, 16
	v_cvt_f32_i32_e32 v92, v92
	s_delay_alu instid0(VALU_DEP_4) | instskip(SKIP_3) | instid1(VALU_DEP_4)
	v_dual_fmac_f32 v22, v33, v86 :: v_dual_fmac_f32 v21, v52, v13
	v_fmac_f32_e32 v23, v48, v34
	v_lshrrev_b32_e32 v10, 24, v10
	v_bfe_i32 v88, v88, 0, 8
	v_fmac_f32_e32 v22, v51, v12
	v_cvt_f32_i32_e32 v89, v89
	v_fmac_f32_e32 v23, v32, v86
	v_bfe_i32 v90, v90, 0, 16
	v_fmac_f32_e32 v21, v55, v9
	v_fmac_f32_e32 v22, v54, v13
	s_delay_alu instid0(VALU_DEP_4) | instskip(SKIP_2) | instid1(VALU_DEP_4)
	v_dual_fmac_f32 v20, v16, v9 :: v_dual_fmac_f32 v23, v50, v12
	v_bfe_i32 v10, v10, 0, 8
	v_bfe_i32 v88, v88, 0, 16
	v_fmac_f32_e32 v22, v57, v9
	v_fmac_f32_e32 v21, v58, v89
	;; [unrolled: 1-line block ×4, first 2 shown]
	v_lshrrev_b32_e32 v93, 8, v17
	v_fmac_f32_e32 v22, v60, v89
	v_bfe_i32 v10, v10, 0, 16
	v_fmac_f32_e32 v23, v56, v9
	v_cvt_f32_i32_e32 v9, v90
	v_cvt_f32_i32_e32 v13, v88
	v_lshrrev_b32_e32 v91, 16, v17
	v_bfe_i32 v93, v93, 0, 8
	v_fmac_f32_e32 v23, v59, v89
	v_fmac_f32_e32 v21, v61, v9
	;; [unrolled: 1-line block ×4, first 2 shown]
	v_lshrrev_b32_e32 v17, 24, v17
	v_fmac_f32_e32 v23, v62, v9
	v_cvt_f32_i32_e32 v9, v10
	v_fmac_f32_e32 v21, v64, v13
	v_fmac_f32_e32 v22, v66, v13
	;; [unrolled: 1-line block ×4, first 2 shown]
	v_bfe_i32 v91, v91, 0, 8
	v_bfe_i32 v11, v93, 0, 16
	v_fmac_f32_e32 v21, v67, v9
	v_fmac_f32_e32 v22, v69, v9
	;; [unrolled: 1-line block ×4, first 2 shown]
	v_bfe_i32 v17, v17, 0, 8
	v_bfe_i32 v12, v91, 0, 16
	v_cvt_f32_i32_e32 v9, v11
	v_fmac_f32_e32 v21, v70, v92
	v_fmac_f32_e32 v23, v71, v92
	;; [unrolled: 1-line block ×4, first 2 shown]
	v_bfe_i32 v10, v17, 0, 16
	v_cvt_f32_i32_e32 v11, v12
	v_fmac_f32_e32 v21, v73, v9
	v_fmac_f32_e32 v23, v74, v9
	;; [unrolled: 1-line block ×4, first 2 shown]
	v_cvt_f32_i32_e32 v9, v10
	v_fmac_f32_e32 v21, v76, v11
	v_fmac_f32_e32 v23, v77, v11
	;; [unrolled: 1-line block ×3, first 2 shown]
	s_delay_alu instid0(VALU_DEP_3) | instskip(NEXT) | instid1(VALU_DEP_3)
	v_dual_fmac_f32 v20, v30, v11 :: v_dual_fmac_f32 v21, v79, v9
	v_fmac_f32_e32 v23, v80, v9
	s_delay_alu instid0(VALU_DEP_3) | instskip(NEXT) | instid1(VALU_DEP_3)
	v_fmac_f32_e32 v22, v81, v9
	v_fmac_f32_e32 v20, v31, v9
	s_and_not1_b32 exec_lo, exec_lo, s8
	s_cbranch_execnz .LBB83_33
; %bb.34:
	s_or_b32 exec_lo, exec_lo, s8
.LBB83_35:
	s_delay_alu instid0(SALU_CYCLE_1)
	s_or_b32 exec_lo, exec_lo, s10
.LBB83_36:
	s_delay_alu instid0(SALU_CYCLE_1)
	s_or_b32 exec_lo, exec_lo, s5
.LBB83_37:
	v_mbcnt_lo_u32_b32 v0, -1, 0
	s_mov_b32 s2, -1
	s_delay_alu instid0(VALU_DEP_1) | instskip(SKIP_2) | instid1(VALU_DEP_3)
	v_xor_b32_e32 v1, 16, v0
	v_xor_b32_e32 v6, 8, v0
	;; [unrolled: 1-line block ×3, first 2 shown]
	v_cmp_gt_i32_e32 vcc_lo, 32, v1
	v_cndmask_b32_e32 v1, v0, v1, vcc_lo
	s_delay_alu instid0(VALU_DEP_4) | instskip(SKIP_2) | instid1(VALU_DEP_2)
	v_cmp_gt_i32_e32 vcc_lo, 32, v6
	v_cndmask_b32_e32 v6, v0, v6, vcc_lo
	v_cmp_gt_i32_e32 vcc_lo, 32, v10
	v_lshlrev_b32_e32 v6, 2, v6
	v_dual_cndmask_b32 v10, v0, v10 :: v_dual_lshlrev_b32 v1, 2, v1
	ds_bpermute_b32 v2, v1, v21
	v_lshlrev_b32_e32 v10, 2, v10
	s_waitcnt lgkmcnt(0)
	v_add_f32_e32 v2, v21, v2
	ds_bpermute_b32 v3, v1, v23
	ds_bpermute_b32 v5, v1, v22
	;; [unrolled: 1-line block ×4, first 2 shown]
	s_waitcnt lgkmcnt(3)
	v_add_f32_e32 v3, v23, v3
	s_waitcnt lgkmcnt(2)
	v_add_f32_e32 v5, v22, v5
	;; [unrolled: 2-line block ×3, first 2 shown]
	ds_bpermute_b32 v8, v6, v3
	ds_bpermute_b32 v9, v6, v5
	;; [unrolled: 1-line block ×3, first 2 shown]
	s_waitcnt lgkmcnt(2)
	v_dual_add_f32 v2, v2, v7 :: v_dual_add_f32 v3, v3, v8
	s_waitcnt lgkmcnt(1)
	v_add_f32_e32 v5, v5, v9
	s_waitcnt lgkmcnt(0)
	v_add_f32_e32 v1, v1, v6
	ds_bpermute_b32 v6, v10, v2
	ds_bpermute_b32 v7, v10, v3
	;; [unrolled: 1-line block ×4, first 2 shown]
	v_xor_b32_e32 v10, 2, v0
	s_delay_alu instid0(VALU_DEP_1) | instskip(SKIP_1) | instid1(VALU_DEP_1)
	v_cmp_gt_i32_e32 vcc_lo, 32, v10
	v_cndmask_b32_e32 v10, v0, v10, vcc_lo
	v_lshlrev_b32_e32 v10, 2, v10
	s_waitcnt lgkmcnt(2)
	v_dual_add_f32 v2, v2, v6 :: v_dual_add_f32 v3, v3, v7
	s_waitcnt lgkmcnt(1)
	v_add_f32_e32 v5, v5, v8
	ds_bpermute_b32 v7, v10, v3
	s_waitcnt lgkmcnt(1)
	v_add_f32_e32 v6, v1, v9
	ds_bpermute_b32 v1, v10, v2
	ds_bpermute_b32 v8, v10, v5
	;; [unrolled: 1-line block ×3, first 2 shown]
	v_xor_b32_e32 v10, 1, v0
	s_delay_alu instid0(VALU_DEP_1) | instskip(SKIP_2) | instid1(VALU_DEP_2)
	v_cmp_gt_i32_e32 vcc_lo, 32, v10
	v_cndmask_b32_e32 v0, v0, v10, vcc_lo
	v_cmp_eq_u32_e32 vcc_lo, 31, v19
	v_lshlrev_b32_e32 v10, 2, v0
	s_waitcnt lgkmcnt(2)
	v_dual_add_f32 v0, v2, v1 :: v_dual_add_f32 v1, v3, v7
	s_waitcnt lgkmcnt(0)
	v_dual_add_f32 v2, v5, v8 :: v_dual_add_f32 v3, v6, v9
	ds_bpermute_b32 v5, v10, v0
	ds_bpermute_b32 v6, v10, v1
	;; [unrolled: 1-line block ×4, first 2 shown]
	s_and_b32 exec_lo, exec_lo, vcc_lo
	s_cbranch_execz .LBB83_10
; %bb.38:
	s_load_b64 s[0:1], s[0:1], 0x50
	s_waitcnt lgkmcnt(0)
	v_dual_add_f32 v0, v0, v5 :: v_dual_add_f32 v1, v1, v6
	v_dual_add_f32 v2, v2, v7 :: v_dual_add_f32 v3, v3, v8
	v_cmp_eq_f32_e64 s3, s12, 0
	s_delay_alu instid0(VALU_DEP_3) | instskip(NEXT) | instid1(VALU_DEP_3)
	v_dual_mul_f32 v0, s16, v0 :: v_dual_mul_f32 v1, s16, v1
	v_dual_mul_f32 v2, s16, v2 :: v_dual_mul_f32 v3, s16, v3
	v_lshlrev_b32_e32 v4, 2, v4
	s_delay_alu instid0(VALU_DEP_4)
	s_and_b32 vcc_lo, exec_lo, s3
	s_cbranch_vccz .LBB83_40
; %bb.39:
	s_delay_alu instid0(VALU_DEP_1) | instskip(SKIP_1) | instid1(VALU_DEP_1)
	v_ashrrev_i32_e32 v5, 31, v4
	s_mov_b32 s2, 0
	v_lshlrev_b64 v[5:6], 2, v[4:5]
	s_delay_alu instid0(VALU_DEP_1) | instskip(NEXT) | instid1(VALU_DEP_2)
	v_add_co_u32 v5, vcc_lo, s0, v5
	v_add_co_ci_u32_e32 v6, vcc_lo, s1, v6, vcc_lo
	global_store_b128 v[5:6], v[0:3], off
.LBB83_40:
	s_and_not1_b32 vcc_lo, exec_lo, s2
	s_cbranch_vccnz .LBB83_10
; %bb.41:
	v_ashrrev_i32_e32 v5, 31, v4
	s_delay_alu instid0(VALU_DEP_1) | instskip(NEXT) | instid1(VALU_DEP_1)
	v_lshlrev_b64 v[4:5], 2, v[4:5]
	v_add_co_u32 v8, vcc_lo, s0, v4
	s_delay_alu instid0(VALU_DEP_2)
	v_add_co_ci_u32_e32 v9, vcc_lo, s1, v5, vcc_lo
	global_load_b128 v[4:7], v[8:9], off
	s_waitcnt vmcnt(0)
	v_dual_fmac_f32 v0, s12, v4 :: v_dual_fmac_f32 v1, s12, v5
	v_dual_fmac_f32 v2, s12, v6 :: v_dual_fmac_f32 v3, s12, v7
	global_store_b128 v[8:9], v[0:3], off
	s_nop 0
	s_sendmsg sendmsg(MSG_DEALLOC_VGPRS)
	s_endpgm
	.section	.rodata,"a",@progbits
	.p2align	6, 0x0
	.amdhsa_kernel _ZN9rocsparseL18bsrxmvn_4x4_kernelILj128ELj32EfliaafEEvT3_20rocsparse_direction_NS_24const_host_device_scalarIT1_EES1_PKS1_PKT2_SA_S7_PKT4_PKT5_S5_PT6_21rocsparse_index_base_b
		.amdhsa_group_segment_fixed_size 0
		.amdhsa_private_segment_fixed_size 0
		.amdhsa_kernarg_size 96
		.amdhsa_user_sgpr_count 15
		.amdhsa_user_sgpr_dispatch_ptr 0
		.amdhsa_user_sgpr_queue_ptr 0
		.amdhsa_user_sgpr_kernarg_segment_ptr 1
		.amdhsa_user_sgpr_dispatch_id 0
		.amdhsa_user_sgpr_private_segment_size 0
		.amdhsa_wavefront_size32 1
		.amdhsa_uses_dynamic_stack 0
		.amdhsa_enable_private_segment 0
		.amdhsa_system_sgpr_workgroup_id_x 1
		.amdhsa_system_sgpr_workgroup_id_y 0
		.amdhsa_system_sgpr_workgroup_id_z 0
		.amdhsa_system_sgpr_workgroup_info 0
		.amdhsa_system_vgpr_workitem_id 0
		.amdhsa_next_free_vgpr 100
		.amdhsa_next_free_sgpr 20
		.amdhsa_reserve_vcc 1
		.amdhsa_float_round_mode_32 0
		.amdhsa_float_round_mode_16_64 0
		.amdhsa_float_denorm_mode_32 3
		.amdhsa_float_denorm_mode_16_64 3
		.amdhsa_dx10_clamp 1
		.amdhsa_ieee_mode 1
		.amdhsa_fp16_overflow 0
		.amdhsa_workgroup_processor_mode 1
		.amdhsa_memory_ordered 1
		.amdhsa_forward_progress 0
		.amdhsa_shared_vgpr_count 0
		.amdhsa_exception_fp_ieee_invalid_op 0
		.amdhsa_exception_fp_denorm_src 0
		.amdhsa_exception_fp_ieee_div_zero 0
		.amdhsa_exception_fp_ieee_overflow 0
		.amdhsa_exception_fp_ieee_underflow 0
		.amdhsa_exception_fp_ieee_inexact 0
		.amdhsa_exception_int_div_zero 0
	.end_amdhsa_kernel
	.section	.text._ZN9rocsparseL18bsrxmvn_4x4_kernelILj128ELj32EfliaafEEvT3_20rocsparse_direction_NS_24const_host_device_scalarIT1_EES1_PKS1_PKT2_SA_S7_PKT4_PKT5_S5_PT6_21rocsparse_index_base_b,"axG",@progbits,_ZN9rocsparseL18bsrxmvn_4x4_kernelILj128ELj32EfliaafEEvT3_20rocsparse_direction_NS_24const_host_device_scalarIT1_EES1_PKS1_PKT2_SA_S7_PKT4_PKT5_S5_PT6_21rocsparse_index_base_b,comdat
.Lfunc_end83:
	.size	_ZN9rocsparseL18bsrxmvn_4x4_kernelILj128ELj32EfliaafEEvT3_20rocsparse_direction_NS_24const_host_device_scalarIT1_EES1_PKS1_PKT2_SA_S7_PKT4_PKT5_S5_PT6_21rocsparse_index_base_b, .Lfunc_end83-_ZN9rocsparseL18bsrxmvn_4x4_kernelILj128ELj32EfliaafEEvT3_20rocsparse_direction_NS_24const_host_device_scalarIT1_EES1_PKS1_PKT2_SA_S7_PKT4_PKT5_S5_PT6_21rocsparse_index_base_b
                                        ; -- End function
	.section	.AMDGPU.csdata,"",@progbits
; Kernel info:
; codeLenInByte = 8156
; NumSgprs: 22
; NumVgprs: 100
; ScratchSize: 0
; MemoryBound: 0
; FloatMode: 240
; IeeeMode: 1
; LDSByteSize: 0 bytes/workgroup (compile time only)
; SGPRBlocks: 2
; VGPRBlocks: 12
; NumSGPRsForWavesPerEU: 22
; NumVGPRsForWavesPerEU: 100
; Occupancy: 12
; WaveLimiterHint : 1
; COMPUTE_PGM_RSRC2:SCRATCH_EN: 0
; COMPUTE_PGM_RSRC2:USER_SGPR: 15
; COMPUTE_PGM_RSRC2:TRAP_HANDLER: 0
; COMPUTE_PGM_RSRC2:TGID_X_EN: 1
; COMPUTE_PGM_RSRC2:TGID_Y_EN: 0
; COMPUTE_PGM_RSRC2:TGID_Z_EN: 0
; COMPUTE_PGM_RSRC2:TIDIG_COMP_CNT: 0
	.section	.text._ZN9rocsparseL18bsrxmvn_4x4_kernelILj128ELj64EfliaafEEvT3_20rocsparse_direction_NS_24const_host_device_scalarIT1_EES1_PKS1_PKT2_SA_S7_PKT4_PKT5_S5_PT6_21rocsparse_index_base_b,"axG",@progbits,_ZN9rocsparseL18bsrxmvn_4x4_kernelILj128ELj64EfliaafEEvT3_20rocsparse_direction_NS_24const_host_device_scalarIT1_EES1_PKS1_PKT2_SA_S7_PKT4_PKT5_S5_PT6_21rocsparse_index_base_b,comdat
	.globl	_ZN9rocsparseL18bsrxmvn_4x4_kernelILj128ELj64EfliaafEEvT3_20rocsparse_direction_NS_24const_host_device_scalarIT1_EES1_PKS1_PKT2_SA_S7_PKT4_PKT5_S5_PT6_21rocsparse_index_base_b ; -- Begin function _ZN9rocsparseL18bsrxmvn_4x4_kernelILj128ELj64EfliaafEEvT3_20rocsparse_direction_NS_24const_host_device_scalarIT1_EES1_PKS1_PKT2_SA_S7_PKT4_PKT5_S5_PT6_21rocsparse_index_base_b
	.p2align	8
	.type	_ZN9rocsparseL18bsrxmvn_4x4_kernelILj128ELj64EfliaafEEvT3_20rocsparse_direction_NS_24const_host_device_scalarIT1_EES1_PKS1_PKT2_SA_S7_PKT4_PKT5_S5_PT6_21rocsparse_index_base_b,@function
_ZN9rocsparseL18bsrxmvn_4x4_kernelILj128ELj64EfliaafEEvT3_20rocsparse_direction_NS_24const_host_device_scalarIT1_EES1_PKS1_PKT2_SA_S7_PKT4_PKT5_S5_PT6_21rocsparse_index_base_b: ; @_ZN9rocsparseL18bsrxmvn_4x4_kernelILj128ELj64EfliaafEEvT3_20rocsparse_direction_NS_24const_host_device_scalarIT1_EES1_PKS1_PKT2_SA_S7_PKT4_PKT5_S5_PT6_21rocsparse_index_base_b
; %bb.0:
	s_clause 0x2
	s_load_b64 s[18:19], s[0:1], 0x58
	s_load_b64 s[16:17], s[0:1], 0x8
	;; [unrolled: 1-line block ×3, first 2 shown]
	s_waitcnt lgkmcnt(0)
	s_bitcmp1_b32 s19, 0
	s_cselect_b32 s2, -1, 0
	s_delay_alu instid0(SALU_CYCLE_1)
	s_and_b32 vcc_lo, exec_lo, s2
	s_xor_b32 s2, s2, -1
	s_cbranch_vccnz .LBB84_2
; %bb.1:
	s_load_b32 s16, s[16:17], 0x0
.LBB84_2:
	s_and_not1_b32 vcc_lo, exec_lo, s2
	s_cbranch_vccnz .LBB84_4
; %bb.3:
	s_load_b32 s12, s[12:13], 0x0
.LBB84_4:
	s_waitcnt lgkmcnt(0)
	v_cmp_neq_f32_e64 s2, s16, 0
	v_cmp_neq_f32_e64 s3, s12, 1.0
	s_mov_b32 s6, 0
	s_delay_alu instid0(VALU_DEP_1) | instskip(NEXT) | instid1(SALU_CYCLE_1)
	s_or_b32 s2, s2, s3
	s_and_not1_b32 vcc_lo, exec_lo, s2
	s_cbranch_vccnz .LBB84_10
; %bb.5:
	s_clause 0x1
	s_load_b64 s[4:5], s[0:1], 0x18
	s_load_b64 s[2:3], s[0:1], 0x0
	v_lshrrev_b32_e32 v1, 6, v0
	s_delay_alu instid0(VALU_DEP_1)
	v_lshl_or_b32 v4, s15, 1, v1
	s_waitcnt lgkmcnt(0)
	s_cmp_lg_u64 s[4:5], 0
	s_cbranch_scc0 .LBB84_11
; %bb.6:
	s_load_b32 s6, s[0:1], 0x10
	s_mov_b32 s7, 0
                                        ; implicit-def: $vgpr1
	s_waitcnt lgkmcnt(0)
	v_cmp_gt_i32_e32 vcc_lo, s6, v4
	s_mov_b32 s6, 0
	s_and_saveexec_b32 s8, vcc_lo
	s_delay_alu instid0(SALU_CYCLE_1)
	s_xor_b32 s8, exec_lo, s8
	s_cbranch_execz .LBB84_8
; %bb.7:
	v_ashrrev_i32_e32 v5, 31, v4
	s_mov_b32 s6, exec_lo
	s_delay_alu instid0(VALU_DEP_1) | instskip(NEXT) | instid1(VALU_DEP_1)
	v_lshlrev_b64 v[1:2], 2, v[4:5]
	v_add_co_u32 v1, vcc_lo, s4, v1
	s_delay_alu instid0(VALU_DEP_2)
	v_add_co_ci_u32_e32 v2, vcc_lo, s5, v2, vcc_lo
	global_load_b32 v1, v[1:2], off
	s_waitcnt vmcnt(0)
	v_subrev_nc_u32_e32 v1, s18, v1
.LBB84_8:
	s_or_b32 exec_lo, exec_lo, s8
	s_delay_alu instid0(SALU_CYCLE_1)
	s_and_b32 vcc_lo, exec_lo, s7
	s_cbranch_vccz .LBB84_12
.LBB84_9:
	v_cmp_gt_i32_e32 vcc_lo, s2, v4
	s_and_not1_b32 s2, s6, exec_lo
	s_and_b32 s4, vcc_lo, exec_lo
	s_delay_alu instid0(SALU_CYCLE_1) | instskip(NEXT) | instid1(SALU_CYCLE_1)
	s_or_b32 s6, s2, s4
	s_and_saveexec_b32 s2, s6
	s_cbranch_execnz .LBB84_13
.LBB84_10:
	s_nop 0
	s_sendmsg sendmsg(MSG_DEALLOC_VGPRS)
	s_endpgm
.LBB84_11:
                                        ; implicit-def: $vgpr1
	s_cbranch_execnz .LBB84_9
.LBB84_12:
	s_delay_alu instid0(VALU_DEP_1)
	v_mov_b32_e32 v4, v1
	s_and_saveexec_b32 s2, s6
	s_cbranch_execz .LBB84_10
.LBB84_13:
	s_load_b256 s[4:11], s[0:1], 0x20
	s_delay_alu instid0(VALU_DEP_1) | instskip(SKIP_1) | instid1(VALU_DEP_2)
	v_ashrrev_i32_e32 v5, 31, v4
	v_dual_mov_b32 v20, 0 :: v_dual_and_b32 v19, 63, v0
	v_lshlrev_b64 v[1:2], 3, v[4:5]
	s_waitcnt lgkmcnt(0)
	s_delay_alu instid0(VALU_DEP_1) | instskip(NEXT) | instid1(VALU_DEP_2)
	v_add_co_u32 v5, vcc_lo, s4, v1
	v_add_co_ci_u32_e32 v6, vcc_lo, s5, v2, vcc_lo
	v_add_co_u32 v1, vcc_lo, s6, v1
	v_add_co_ci_u32_e32 v2, vcc_lo, s7, v2, vcc_lo
	s_delay_alu instid0(VALU_DEP_4)
	v_add_co_u32 v3, vcc_lo, v5, 8
	global_load_b64 v[7:8], v[5:6], off
	v_add_co_ci_u32_e32 v9, vcc_lo, 0, v6, vcc_lo
	s_cmp_eq_u64 s[6:7], 0
	s_load_b64 s[6:7], s[0:1], 0x40
	s_cselect_b32 vcc_lo, -1, 0
	s_cmp_eq_u32 s3, 1
	v_dual_cndmask_b32 v2, v2, v9 :: v_dual_cndmask_b32 v1, v1, v3
	global_load_b64 v[2:3], v[1:2], off
	s_waitcnt vmcnt(1)
	v_sub_co_u32 v0, vcc_lo, v7, s18
	v_subrev_co_ci_u32_e32 v1, vcc_lo, 0, v8, vcc_lo
	s_delay_alu instid0(VALU_DEP_2) | instskip(NEXT) | instid1(VALU_DEP_2)
	v_add_co_u32 v0, vcc_lo, v0, v19
	v_add_co_ci_u32_e32 v1, vcc_lo, 0, v1, vcc_lo
	s_delay_alu instid0(VALU_DEP_1) | instskip(SKIP_3) | instid1(VALU_DEP_3)
	v_lshlrev_b64 v[5:6], 4, v[0:1]
	s_waitcnt vmcnt(0)
	v_sub_co_u32 v2, vcc_lo, v2, s18
	v_subrev_co_ci_u32_e32 v3, vcc_lo, 0, v3, vcc_lo
	v_add_co_u32 v5, vcc_lo, s10, v5
	s_delay_alu instid0(VALU_DEP_2)
	v_cmp_lt_i64_e64 s2, v[0:1], v[2:3]
	v_add_co_ci_u32_e32 v6, vcc_lo, s11, v6, vcc_lo
	s_mov_b32 s10, 0
	s_cbranch_scc1 .LBB84_25
; %bb.14:
	v_dual_mov_b32 v22, 0 :: v_dual_mov_b32 v23, 0
	v_mov_b32_e32 v21, 0
	s_and_saveexec_b32 s11, s2
	s_cbranch_execz .LBB84_24
; %bb.15:
	v_or_b32_e32 v9, 64, v19
	v_not_b32_e32 v12, v7
	v_not_b32_e32 v11, v8
	v_mov_b32_e32 v23, 0
	v_dual_mov_b32 v21, 0 :: v_dual_mov_b32 v20, 0
	v_sub_co_u32 v9, s3, v9, s18
	s_delay_alu instid0(VALU_DEP_1) | instskip(SKIP_1) | instid1(VALU_DEP_3)
	v_sub_co_ci_u32_e64 v10, null, 0, 0, s3
	v_sub_co_u32 v13, s3, s18, v19
	v_add_co_u32 v9, vcc_lo, v9, v7
	s_delay_alu instid0(VALU_DEP_3) | instskip(SKIP_2) | instid1(VALU_DEP_2)
	v_add_co_ci_u32_e32 v10, vcc_lo, v10, v8, vcc_lo
	v_sub_co_ci_u32_e64 v14, null, 0, 0, s3
	s_mov_b32 s3, exec_lo
	v_cmp_gt_i64_e32 vcc_lo, v[9:10], v[2:3]
	v_mov_b32_e32 v22, 0
	v_dual_cndmask_b32 v10, v3, v10 :: v_dual_cndmask_b32 v9, v2, v9
	v_add_co_u32 v12, vcc_lo, v13, v12
	v_add_co_ci_u32_e32 v11, vcc_lo, v14, v11, vcc_lo
	s_delay_alu instid0(VALU_DEP_2) | instskip(NEXT) | instid1(VALU_DEP_2)
	v_add_co_u32 v13, vcc_lo, v12, v9
	v_add_co_ci_u32_e32 v14, vcc_lo, v11, v10, vcc_lo
	v_mov_b32_e32 v12, v6
	s_delay_alu instid0(VALU_DEP_3) | instskip(SKIP_1) | instid1(VALU_DEP_2)
	v_lshrrev_b32_e32 v9, 6, v13
	v_mov_b32_e32 v11, v5
	v_add_nc_u32_e32 v9, 1, v9
	s_delay_alu instid0(VALU_DEP_1) | instskip(SKIP_1) | instid1(VALU_DEP_2)
	v_dual_mov_b32 v10, v1 :: v_dual_and_b32 v15, 3, v9
	v_mov_b32_e32 v9, v0
	v_cmpx_ne_u32_e32 0, v15
	s_cbranch_execz .LBB84_19
; %bb.16:
	v_lshlrev_b64 v[9:10], 2, v[0:1]
	v_dual_mov_b32 v16, 0 :: v_dual_lshlrev_b32 v15, 2, v15
	v_dual_mov_b32 v12, v6 :: v_dual_mov_b32 v11, v5
	s_mov_b32 s4, 0
	s_delay_alu instid0(VALU_DEP_3) | instskip(NEXT) | instid1(VALU_DEP_4)
	v_add_co_u32 v17, vcc_lo, s8, v9
	v_add_co_ci_u32_e32 v18, vcc_lo, s9, v10, vcc_lo
	v_dual_mov_b32 v10, v1 :: v_dual_mov_b32 v9, v0
	v_mov_b32_e32 v20, v16
	v_mov_b32_e32 v22, v16
	;; [unrolled: 1-line block ×4, first 2 shown]
.LBB84_17:                              ; =>This Inner Loop Header: Depth=1
	global_load_b32 v28, v[17:18], off
	global_load_b128 v[24:27], v[11:12], off
	s_waitcnt vmcnt(1)
	v_subrev_nc_u32_e32 v28, s18, v28
	s_waitcnt vmcnt(0)
	v_lshrrev_b32_e32 v30, 8, v24
	v_lshrrev_b32_e32 v34, 16, v25
	v_bfe_i32 v35, v26, 0, 8
	v_lshrrev_b32_e32 v36, 8, v26
	v_lshlrev_b32_e32 v28, 2, v28
	v_lshrrev_b32_e32 v31, 16, v24
	v_bfe_i32 v32, v25, 0, 8
	v_lshrrev_b32_e32 v33, 8, v25
	v_lshrrev_b32_e32 v25, 24, v25
	v_ashrrev_i32_e32 v29, 31, v28
	s_waitcnt lgkmcnt(0)
	v_add_co_u32 v28, vcc_lo, s6, v28
	v_lshrrev_b32_e32 v37, 16, v26
	v_bfe_i32 v38, v27, 0, 8
	v_add_co_ci_u32_e32 v29, vcc_lo, s7, v29, vcc_lo
	v_lshrrev_b32_e32 v39, 8, v27
	v_lshrrev_b32_e32 v40, 16, v27
	v_bfe_i32 v30, v30, 0, 8
	global_load_b32 v28, v[28:29], off
	v_bfe_i32 v29, v24, 0, 8
	v_bfe_i32 v34, v34, 0, 8
	;; [unrolled: 1-line block ×4, first 2 shown]
	v_lshrrev_b32_e32 v24, 24, v24
	v_bfe_i32 v29, v29, 0, 16
	v_lshrrev_b32_e32 v26, 24, v26
	v_bfe_i32 v31, v31, 0, 8
	v_bfe_i32 v33, v33, 0, 8
	;; [unrolled: 1-line block ×8, first 2 shown]
	v_cvt_f32_i32_e32 v29, v29
	v_bfe_i32 v30, v30, 0, 16
	v_bfe_i32 v34, v34, 0, 16
	v_cvt_f32_i32_e32 v35, v35
	v_bfe_i32 v36, v36, 0, 16
	v_lshrrev_b32_e32 v27, 24, v27
	v_bfe_i32 v24, v24, 0, 8
	v_bfe_i32 v26, v26, 0, 8
	;; [unrolled: 1-line block ×3, first 2 shown]
	v_cvt_f32_i32_e32 v32, v32
	v_bfe_i32 v33, v33, 0, 16
	v_bfe_i32 v25, v25, 0, 16
	;; [unrolled: 1-line block ×3, first 2 shown]
	v_cvt_f32_i32_e32 v38, v38
	v_bfe_i32 v39, v39, 0, 16
	v_bfe_i32 v40, v40, 0, 16
	v_cvt_f32_i32_e32 v30, v30
	v_cvt_f32_i32_e32 v34, v34
	v_cvt_f32_i32_e32 v36, v36
	v_add_co_u32 v11, vcc_lo, 0x400, v11
	v_add_co_ci_u32_e32 v12, vcc_lo, 0, v12, vcc_lo
	v_add_co_u32 v9, vcc_lo, v9, 64
	v_bfe_i32 v27, v27, 0, 8
	v_bfe_i32 v24, v24, 0, 16
	;; [unrolled: 1-line block ×3, first 2 shown]
	v_cvt_f32_i32_e32 v31, v31
	v_cvt_f32_i32_e32 v33, v33
	;; [unrolled: 1-line block ×6, first 2 shown]
	v_add_co_ci_u32_e32 v10, vcc_lo, 0, v10, vcc_lo
	v_add_co_u32 v17, vcc_lo, 0x100, v17
	v_add_co_ci_u32_e32 v18, vcc_lo, 0, v18, vcc_lo
	v_add_co_u32 v15, vcc_lo, v15, -4
	v_bfe_i32 v27, v27, 0, 16
	v_cvt_f32_i32_e32 v24, v24
	v_cvt_f32_i32_e32 v26, v26
	v_add_co_ci_u32_e32 v16, vcc_lo, -1, v16, vcc_lo
	s_delay_alu instid0(VALU_DEP_4) | instskip(NEXT) | instid1(VALU_DEP_2)
	v_cvt_f32_i32_e32 v27, v27
	v_cmp_eq_u64_e32 vcc_lo, 0, v[15:16]
	s_or_b32 s4, vcc_lo, s4
	s_waitcnt vmcnt(0)
	v_bfe_i32 v41, v28, 0, 8
	v_lshrrev_b32_e32 v42, 8, v28
	v_lshrrev_b32_e32 v43, 16, v28
	;; [unrolled: 1-line block ×3, first 2 shown]
	s_delay_alu instid0(VALU_DEP_4) | instskip(NEXT) | instid1(VALU_DEP_4)
	v_bfe_i32 v41, v41, 0, 16
	v_bfe_i32 v42, v42, 0, 8
	s_delay_alu instid0(VALU_DEP_4) | instskip(NEXT) | instid1(VALU_DEP_4)
	v_bfe_i32 v43, v43, 0, 8
	v_bfe_i32 v28, v28, 0, 8
	s_delay_alu instid0(VALU_DEP_4) | instskip(NEXT) | instid1(VALU_DEP_4)
	v_cvt_f32_i32_e32 v41, v41
	v_bfe_i32 v42, v42, 0, 16
	s_delay_alu instid0(VALU_DEP_4) | instskip(NEXT) | instid1(VALU_DEP_4)
	v_bfe_i32 v43, v43, 0, 16
	v_bfe_i32 v28, v28, 0, 16
	s_delay_alu instid0(VALU_DEP_4) | instskip(NEXT) | instid1(VALU_DEP_4)
	v_fmac_f32_e32 v21, v29, v41
	v_cvt_f32_i32_e32 v29, v42
	v_fmac_f32_e32 v22, v35, v41
	s_delay_alu instid0(VALU_DEP_4) | instskip(NEXT) | instid1(VALU_DEP_2)
	v_cvt_f32_i32_e32 v28, v28
	v_fmac_f32_e32 v22, v36, v29
	v_fmac_f32_e32 v23, v32, v41
	v_cvt_f32_i32_e32 v32, v43
	v_fmac_f32_e32 v21, v30, v29
	v_fmac_f32_e32 v20, v38, v41
	s_delay_alu instid0(VALU_DEP_3) | instskip(NEXT) | instid1(VALU_DEP_3)
	v_fmac_f32_e32 v22, v37, v32
	v_fmac_f32_e32 v21, v31, v32
	;; [unrolled: 1-line block ×3, first 2 shown]
	s_delay_alu instid0(VALU_DEP_4) | instskip(NEXT) | instid1(VALU_DEP_4)
	v_fmac_f32_e32 v20, v39, v29
	v_fmac_f32_e32 v22, v26, v28
	s_delay_alu instid0(VALU_DEP_4) | instskip(NEXT) | instid1(VALU_DEP_4)
	v_fmac_f32_e32 v21, v24, v28
	v_fmac_f32_e32 v23, v34, v32
	s_delay_alu instid0(VALU_DEP_4) | instskip(NEXT) | instid1(VALU_DEP_2)
	v_fmac_f32_e32 v20, v40, v32
	v_fmac_f32_e32 v23, v25, v28
	s_delay_alu instid0(VALU_DEP_2)
	v_fmac_f32_e32 v20, v27, v28
	s_and_not1_b32 exec_lo, exec_lo, s4
	s_cbranch_execnz .LBB84_17
; %bb.18:
	s_or_b32 exec_lo, exec_lo, s4
.LBB84_19:
	s_delay_alu instid0(SALU_CYCLE_1) | instskip(NEXT) | instid1(SALU_CYCLE_1)
	s_or_b32 exec_lo, exec_lo, s3
	s_mov_b32 s13, exec_lo
	v_cmpx_lt_u64_e32 0xbf, v[13:14]
	s_cbranch_execz .LBB84_23
; %bb.20:
	v_lshlrev_b64 v[13:14], 2, v[9:10]
	s_mov_b32 s14, 0
	s_delay_alu instid0(VALU_DEP_1) | instskip(NEXT) | instid1(VALU_DEP_2)
	v_add_co_u32 v13, vcc_lo, v13, s8
	v_add_co_ci_u32_e32 v14, vcc_lo, s9, v14, vcc_lo
	s_delay_alu instid0(VALU_DEP_2) | instskip(NEXT) | instid1(VALU_DEP_2)
	v_add_co_u32 v13, vcc_lo, 0x200, v13
	v_add_co_ci_u32_e32 v14, vcc_lo, 0, v14, vcc_lo
.LBB84_21:                              ; =>This Inner Loop Header: Depth=1
	s_clause 0x3
	global_load_b32 v36, v[13:14], off offset:-512
	global_load_b32 v37, v[13:14], off offset:-256
	global_load_b32 v38, v[13:14], off
	global_load_b32 v39, v[13:14], off offset:256
	s_clause 0x3
	global_load_b128 v[15:18], v[11:12], off
	global_load_b128 v[24:27], v[11:12], off offset:1024
	global_load_b128 v[28:31], v[11:12], off offset:2048
	;; [unrolled: 1-line block ×3, first 2 shown]
	v_add_co_u32 v11, vcc_lo, 0x1000, v11
	v_add_co_ci_u32_e32 v12, vcc_lo, 0, v12, vcc_lo
	v_add_co_u32 v9, vcc_lo, 0x100, v9
	v_add_co_ci_u32_e32 v10, vcc_lo, 0, v10, vcc_lo
	;; [unrolled: 2-line block ×3, first 2 shown]
	s_waitcnt vmcnt(7)
	v_subrev_nc_u32_e32 v36, s18, v36
	s_waitcnt vmcnt(3)
	v_lshrrev_b32_e32 v51, 8, v17
	v_bfe_i32 v50, v17, 0, 8
	v_bfe_i32 v53, v18, 0, 8
	;; [unrolled: 1-line block ×3, first 2 shown]
	v_lshrrev_b32_e32 v43, 8, v15
	v_bfe_i32 v51, v51, 0, 8
	v_bfe_i32 v50, v50, 0, 16
	v_lshrrev_b32_e32 v44, 16, v15
	v_lshrrev_b32_e32 v45, 24, v15
	v_subrev_nc_u32_e32 v15, s18, v37
	v_bfe_i32 v53, v53, 0, 16
	v_bfe_i32 v46, v16, 0, 8
	v_lshrrev_b32_e32 v47, 8, v16
	v_lshrrev_b32_e32 v48, 16, v16
	;; [unrolled: 1-line block ×3, first 2 shown]
	v_subrev_nc_u32_e32 v16, s18, v38
	v_bfe_i32 v42, v42, 0, 16
	v_subrev_nc_u32_e32 v37, s18, v39
	v_bfe_i32 v51, v51, 0, 16
	v_cvt_f32_i32_e32 v50, v50
	v_lshlrev_b32_e32 v39, 2, v36
	v_cvt_f32_i32_e32 v53, v53
	v_lshlrev_b32_e32 v15, 2, v15
	;; [unrolled: 2-line block ×4, first 2 shown]
	v_ashrrev_i32_e32 v41, 31, v39
	v_ashrrev_i32_e32 v56, 31, v15
	;; [unrolled: 1-line block ×3, first 2 shown]
	s_waitcnt lgkmcnt(0)
	v_add_co_u32 v40, s5, s6, v39
	v_ashrrev_i32_e32 v58, 31, v37
	v_add_co_u32 v15, vcc_lo, s6, v15
	v_add_co_u32 v36, s3, s6, v16
	v_add_co_ci_u32_e64 v41, s5, s7, v41, s5
	v_add_co_u32 v38, s4, s6, v37
	v_add_co_ci_u32_e32 v16, vcc_lo, s7, v56, vcc_lo
	v_add_co_ci_u32_e64 v37, vcc_lo, s7, v57, s3
	v_add_co_ci_u32_e64 v39, vcc_lo, s7, v58, s4
	s_clause 0x3
	global_load_b32 v40, v[40:41], off
	global_load_b32 v15, v[15:16], off
	;; [unrolled: 1-line block ×4, first 2 shown]
	v_lshrrev_b32_e32 v52, 16, v17
	v_lshrrev_b32_e32 v17, 24, v17
	v_bfe_i32 v46, v46, 0, 16
	v_lshrrev_b32_e32 v54, 8, v18
	v_bfe_i32 v43, v43, 0, 8
	v_bfe_i32 v52, v52, 0, 8
	;; [unrolled: 1-line block ×3, first 2 shown]
	v_cvt_f32_i32_e32 v46, v46
	v_lshrrev_b32_e32 v55, 16, v18
	s_waitcnt vmcnt(6)
	v_bfe_i32 v58, v26, 0, 8
	v_bfe_i32 v52, v52, 0, 16
	;; [unrolled: 1-line block ×6, first 2 shown]
	v_cvt_f32_i32_e32 v52, v52
	v_lshrrev_b32_e32 v18, 24, v18
	v_bfe_i32 v45, v45, 0, 8
	v_bfe_i32 v47, v47, 0, 8
	;; [unrolled: 1-line block ×6, first 2 shown]
	v_cvt_f32_i32_e32 v43, v43
	v_cvt_f32_i32_e32 v17, v17
	v_bfe_i32 v48, v48, 0, 8
	v_bfe_i32 v49, v49, 0, 8
	;; [unrolled: 1-line block ×6, first 2 shown]
	v_cvt_f32_i32_e32 v58, v58
	v_cvt_f32_i32_e32 v44, v44
	;; [unrolled: 1-line block ×3, first 2 shown]
	v_lshrrev_b32_e32 v59, 8, v26
	v_bfe_i32 v61, v27, 0, 8
	v_lshrrev_b32_e32 v62, 8, v27
	v_bfe_i32 v48, v48, 0, 16
	v_bfe_i32 v49, v49, 0, 16
	;; [unrolled: 1-line block ×3, first 2 shown]
	v_cvt_f32_i32_e32 v45, v45
	v_cvt_f32_i32_e32 v47, v47
	;; [unrolled: 1-line block ×3, first 2 shown]
	v_bfe_i32 v37, v24, 0, 8
	v_lshrrev_b32_e32 v38, 8, v24
	v_bfe_i32 v41, v25, 0, 8
	v_lshrrev_b32_e32 v56, 8, v25
	v_lshrrev_b32_e32 v60, 16, v26
	;; [unrolled: 1-line block ×3, first 2 shown]
	v_bfe_i32 v59, v59, 0, 8
	v_bfe_i32 v62, v62, 0, 8
	;; [unrolled: 1-line block ×3, first 2 shown]
	v_cvt_f32_i32_e32 v48, v48
	v_cvt_f32_i32_e32 v49, v49
	;; [unrolled: 1-line block ×3, first 2 shown]
	v_lshrrev_b32_e32 v39, 16, v24
	v_lshrrev_b32_e32 v57, 16, v25
	;; [unrolled: 1-line block ×4, first 2 shown]
	v_bfe_i32 v38, v38, 0, 8
	v_bfe_i32 v56, v56, 0, 8
	;; [unrolled: 1-line block ×7, first 2 shown]
	v_cvt_f32_i32_e32 v61, v61
	v_bfe_i32 v62, v62, 0, 16
	v_lshrrev_b32_e32 v24, 24, v24
	v_lshrrev_b32_e32 v25, 24, v25
	v_bfe_i32 v39, v39, 0, 8
	v_bfe_i32 v57, v57, 0, 8
	;; [unrolled: 1-line block ×4, first 2 shown]
	v_cvt_f32_i32_e32 v37, v37
	v_bfe_i32 v38, v38, 0, 16
	v_cvt_f32_i32_e32 v41, v41
	v_bfe_i32 v56, v56, 0, 16
	v_bfe_i32 v60, v60, 0, 16
	;; [unrolled: 1-line block ×3, first 2 shown]
	v_cvt_f32_i32_e32 v59, v59
	v_cvt_f32_i32_e32 v62, v62
	s_waitcnt vmcnt(5)
	v_lshrrev_b32_e32 v66, 16, v28
	v_lshrrev_b32_e32 v69, 16, v29
	v_bfe_i32 v70, v30, 0, 8
	v_lshrrev_b32_e32 v71, 8, v30
	v_lshrrev_b32_e32 v72, 16, v30
	v_bfe_i32 v73, v31, 0, 8
	;; [unrolled: 3-line block ×3, first 2 shown]
	v_bfe_i32 v25, v25, 0, 8
	v_bfe_i32 v39, v39, 0, 16
	;; [unrolled: 1-line block ×5, first 2 shown]
	v_cvt_f32_i32_e32 v38, v38
	v_cvt_f32_i32_e32 v56, v56
	;; [unrolled: 1-line block ×4, first 2 shown]
	v_bfe_i32 v66, v66, 0, 8
	v_bfe_i32 v69, v69, 0, 8
	;; [unrolled: 1-line block ×10, first 2 shown]
	v_cvt_f32_i32_e32 v39, v39
	v_cvt_f32_i32_e32 v57, v57
	;; [unrolled: 1-line block ×4, first 2 shown]
	v_bfe_i32 v64, v28, 0, 8
	v_lshrrev_b32_e32 v65, 8, v28
	v_bfe_i32 v67, v29, 0, 8
	v_lshrrev_b32_e32 v68, 8, v29
	s_waitcnt vmcnt(4)
	v_bfe_i32 v76, v32, 0, 8
	v_bfe_i32 v79, v33, 0, 8
	;; [unrolled: 1-line block ×4, first 2 shown]
	v_cvt_f32_i32_e32 v70, v70
	v_bfe_i32 v71, v71, 0, 16
	v_bfe_i32 v72, v72, 0, 16
	v_cvt_f32_i32_e32 v73, v73
	v_bfe_i32 v74, v74, 0, 16
	v_bfe_i32 v75, v75, 0, 16
	v_cvt_f32_i32_e32 v24, v24
	v_cvt_f32_i32_e32 v25, v25
	v_bfe_i32 v82, v34, 0, 8
	v_lshrrev_b32_e32 v84, 16, v34
	v_bfe_i32 v85, v35, 0, 8
	v_lshrrev_b32_e32 v87, 16, v35
	v_bfe_i32 v65, v65, 0, 8
	v_bfe_i32 v68, v68, 0, 8
	;; [unrolled: 1-line block ×6, first 2 shown]
	v_cvt_f32_i32_e32 v66, v66
	v_cvt_f32_i32_e32 v69, v69
	v_cvt_f32_i32_e32 v71, v71
	v_cvt_f32_i32_e32 v72, v72
	v_cvt_f32_i32_e32 v74, v74
	v_cvt_f32_i32_e32 v75, v75
	v_lshrrev_b32_e32 v28, 24, v28
	v_lshrrev_b32_e32 v29, 24, v29
	v_bfe_i32 v84, v84, 0, 8
	v_bfe_i32 v87, v87, 0, 8
	;; [unrolled: 1-line block ×4, first 2 shown]
	v_cvt_f32_i32_e32 v64, v64
	v_bfe_i32 v65, v65, 0, 16
	v_cvt_f32_i32_e32 v67, v67
	v_bfe_i32 v68, v68, 0, 16
	v_cvt_f32_i32_e32 v76, v76
	v_cvt_f32_i32_e32 v79, v79
	v_lshrrev_b32_e32 v30, 24, v30
	v_lshrrev_b32_e32 v31, 24, v31
	v_bfe_i32 v28, v28, 0, 8
	v_bfe_i32 v29, v29, 0, 8
	v_cvt_f32_i32_e32 v82, v82
	v_bfe_i32 v84, v84, 0, 16
	v_cvt_f32_i32_e32 v85, v85
	;; [unrolled: 2-line block ×3, first 2 shown]
	v_cvt_f32_i32_e32 v68, v68
	v_lshrrev_b32_e32 v77, 8, v32
	v_lshrrev_b32_e32 v78, 16, v32
	;; [unrolled: 1-line block ×4, first 2 shown]
	v_bfe_i32 v30, v30, 0, 8
	v_bfe_i32 v31, v31, 0, 8
	;; [unrolled: 1-line block ×4, first 2 shown]
	v_cvt_f32_i32_e32 v84, v84
	v_cvt_f32_i32_e32 v87, v87
	v_bfe_i32 v77, v77, 0, 8
	v_bfe_i32 v78, v78, 0, 8
	;; [unrolled: 1-line block ×6, first 2 shown]
	v_cvt_f32_i32_e32 v28, v28
	v_cvt_f32_i32_e32 v29, v29
	v_lshrrev_b32_e32 v83, 8, v34
	v_lshrrev_b32_e32 v86, 8, v35
	v_bfe_i32 v77, v77, 0, 16
	v_bfe_i32 v78, v78, 0, 16
	;; [unrolled: 1-line block ×4, first 2 shown]
	v_cvt_f32_i32_e32 v30, v30
	v_cvt_f32_i32_e32 v31, v31
	v_bfe_i32 v83, v83, 0, 8
	v_bfe_i32 v86, v86, 0, 8
	v_cvt_f32_i32_e32 v77, v77
	v_cvt_f32_i32_e32 v78, v78
	;; [unrolled: 1-line block ×4, first 2 shown]
	v_lshrrev_b32_e32 v32, 24, v32
	v_lshrrev_b32_e32 v33, 24, v33
	;; [unrolled: 1-line block ×4, first 2 shown]
	v_bfe_i32 v83, v83, 0, 16
	v_bfe_i32 v86, v86, 0, 16
	;; [unrolled: 1-line block ×6, first 2 shown]
	v_cvt_f32_i32_e32 v83, v83
	v_cvt_f32_i32_e32 v86, v86
	v_bfe_i32 v32, v32, 0, 16
	v_bfe_i32 v33, v33, 0, 16
	;; [unrolled: 1-line block ×4, first 2 shown]
	v_cmp_ge_i64_e32 vcc_lo, v[9:10], v[2:3]
	v_cvt_f32_i32_e32 v32, v32
	v_cvt_f32_i32_e32 v33, v33
	;; [unrolled: 1-line block ×4, first 2 shown]
	s_or_b32 s14, vcc_lo, s14
	s_waitcnt vmcnt(3)
	v_bfe_i32 v89, v40, 0, 8
	v_lshrrev_b32_e32 v90, 8, v40
	v_lshrrev_b32_e32 v88, 16, v40
	;; [unrolled: 1-line block ×3, first 2 shown]
	s_waitcnt vmcnt(2)
	v_bfe_i32 v92, v15, 0, 8
	v_bfe_i32 v89, v89, 0, 16
	;; [unrolled: 1-line block ×6, first 2 shown]
	v_cvt_f32_i32_e32 v89, v89
	v_bfe_i32 v90, v90, 0, 16
	v_bfe_i32 v88, v88, 0, 16
	;; [unrolled: 1-line block ×3, first 2 shown]
	v_cvt_f32_i32_e32 v92, v92
	v_fmac_f32_e32 v21, v42, v89
	v_cvt_f32_i32_e32 v42, v90
	v_fmac_f32_e32 v22, v50, v89
	;; [unrolled: 2-line block ×3, first 2 shown]
	v_lshrrev_b32_e32 v93, 8, v15
	v_lshrrev_b32_e32 v91, 16, v15
	v_dual_fmac_f32 v22, v51, v42 :: v_dual_fmac_f32 v23, v46, v89
	v_cvt_f32_i32_e32 v46, v88
	s_delay_alu instid0(VALU_DEP_4)
	v_bfe_i32 v93, v93, 0, 8
	v_lshrrev_b32_e32 v15, 24, v15
	v_bfe_i32 v91, v91, 0, 8
	s_waitcnt vmcnt(1)
	v_lshrrev_b32_e32 v94, 16, v16
	v_fmac_f32_e32 v22, v52, v46
	v_fmac_f32_e32 v21, v43, v42
	v_bfe_i32 v93, v93, 0, 16
	v_bfe_i32 v15, v15, 0, 8
	;; [unrolled: 1-line block ×3, first 2 shown]
	s_delay_alu instid0(VALU_DEP_4) | instskip(NEXT) | instid1(VALU_DEP_4)
	v_dual_fmac_f32 v22, v17, v40 :: v_dual_fmac_f32 v21, v44, v46
	v_cvt_f32_i32_e32 v17, v93
	v_bfe_i32 v95, v16, 0, 8
	v_lshrrev_b32_e32 v96, 8, v16
	s_delay_alu instid0(VALU_DEP_4) | instskip(SKIP_2) | instid1(VALU_DEP_4)
	v_fmac_f32_e32 v22, v58, v92
	v_dual_fmac_f32 v20, v54, v42 :: v_dual_fmac_f32 v21, v45, v40
	v_bfe_i32 v15, v15, 0, 16
	v_bfe_i32 v96, v96, 0, 8
	s_delay_alu instid0(VALU_DEP_4) | instskip(NEXT) | instid1(VALU_DEP_4)
	v_fmac_f32_e32 v22, v59, v17
	v_fmac_f32_e32 v20, v55, v46
	;; [unrolled: 1-line block ×4, first 2 shown]
	v_bfe_i32 v94, v94, 0, 8
	v_bfe_i32 v95, v95, 0, 16
	s_delay_alu instid0(VALU_DEP_4) | instskip(SKIP_3) | instid1(VALU_DEP_4)
	v_dual_fmac_f32 v20, v18, v40 :: v_dual_fmac_f32 v23, v48, v46
	v_cvt_f32_i32_e32 v18, v91
	v_fmac_f32_e32 v21, v38, v17
	v_cvt_f32_i32_e32 v15, v15
	v_fmac_f32_e32 v20, v61, v92
	s_delay_alu instid0(VALU_DEP_4) | instskip(SKIP_3) | instid1(VALU_DEP_3)
	v_dual_fmac_f32 v23, v49, v40 :: v_dual_fmac_f32 v22, v60, v18
	s_waitcnt vmcnt(0)
	v_bfe_i32 v98, v36, 0, 8
	v_cvt_f32_i32_e32 v95, v95
	v_dual_fmac_f32 v20, v62, v17 :: v_dual_fmac_f32 v23, v41, v92
	v_bfe_i32 v96, v96, 0, 16
	v_bfe_i32 v94, v94, 0, 16
	v_dual_fmac_f32 v21, v39, v18 :: v_dual_fmac_f32 v22, v26, v15
	s_delay_alu instid0(VALU_DEP_4) | instskip(SKIP_3) | instid1(VALU_DEP_4)
	v_dual_fmac_f32 v23, v56, v17 :: v_dual_fmac_f32 v20, v63, v18
	v_lshrrev_b32_e32 v97, 16, v36
	v_bfe_i32 v98, v98, 0, 16
	v_lshrrev_b32_e32 v16, 24, v16
	v_dual_fmac_f32 v23, v57, v18 :: v_dual_fmac_f32 v20, v27, v15
	v_cvt_f32_i32_e32 v18, v94
	v_fmac_f32_e32 v21, v24, v15
	v_fmac_f32_e32 v22, v70, v95
	s_delay_alu instid0(VALU_DEP_4)
	v_fmac_f32_e32 v23, v25, v15
	v_cvt_f32_i32_e32 v15, v96
	v_fmac_f32_e32 v20, v73, v95
	v_bfe_i32 v97, v97, 0, 8
	v_cvt_f32_i32_e32 v98, v98
	v_bfe_i32 v16, v16, 0, 8
	v_fmac_f32_e32 v22, v71, v15
	v_fmac_f32_e32 v20, v74, v15
	v_bfe_i32 v17, v97, 0, 16
	v_lshrrev_b32_e32 v99, 8, v36
	v_bfe_i32 v16, v16, 0, 16
	v_dual_fmac_f32 v22, v72, v18 :: v_dual_fmac_f32 v23, v67, v95
	v_dual_fmac_f32 v20, v75, v18 :: v_dual_fmac_f32 v21, v64, v95
	v_cvt_f32_i32_e32 v17, v17
	v_bfe_i32 v99, v99, 0, 8
	s_delay_alu instid0(VALU_DEP_4)
	v_fmac_f32_e32 v23, v68, v15
	v_lshrrev_b32_e32 v36, 24, v36
	v_fmac_f32_e32 v21, v65, v15
	v_cvt_f32_i32_e32 v15, v16
	v_bfe_i32 v42, v99, 0, 16
	v_fmac_f32_e32 v23, v69, v18
	v_bfe_i32 v36, v36, 0, 8
	v_fmac_f32_e32 v21, v66, v18
	v_fmac_f32_e32 v22, v30, v15
	v_fmac_f32_e32 v20, v31, v15
	v_fmac_f32_e32 v23, v29, v15
	v_bfe_i32 v16, v36, 0, 16
	v_fmac_f32_e32 v21, v28, v15
	v_cvt_f32_i32_e32 v15, v42
	s_delay_alu instid0(VALU_DEP_4) | instskip(NEXT) | instid1(VALU_DEP_3)
	v_fmac_f32_e32 v23, v79, v98
	v_fmac_f32_e32 v21, v76, v98
	s_delay_alu instid0(VALU_DEP_2) | instskip(NEXT) | instid1(VALU_DEP_2)
	v_fmac_f32_e32 v23, v80, v15
	v_fmac_f32_e32 v21, v77, v15
	s_delay_alu instid0(VALU_DEP_2) | instskip(NEXT) | instid1(VALU_DEP_2)
	v_dual_fmac_f32 v23, v81, v17 :: v_dual_fmac_f32 v22, v82, v98
	v_dual_fmac_f32 v21, v78, v17 :: v_dual_fmac_f32 v20, v85, v98
	s_delay_alu instid0(VALU_DEP_2) | instskip(NEXT) | instid1(VALU_DEP_2)
	v_fmac_f32_e32 v22, v83, v15
	v_fmac_f32_e32 v20, v86, v15
	v_cvt_f32_i32_e32 v15, v16
	s_delay_alu instid0(VALU_DEP_3) | instskip(NEXT) | instid1(VALU_DEP_2)
	v_fmac_f32_e32 v22, v84, v17
	v_dual_fmac_f32 v20, v87, v17 :: v_dual_fmac_f32 v21, v32, v15
	v_fmac_f32_e32 v23, v33, v15
	s_delay_alu instid0(VALU_DEP_3) | instskip(NEXT) | instid1(VALU_DEP_3)
	v_fmac_f32_e32 v22, v34, v15
	v_fmac_f32_e32 v20, v35, v15
	s_and_not1_b32 exec_lo, exec_lo, s14
	s_cbranch_execnz .LBB84_21
; %bb.22:
	s_or_b32 exec_lo, exec_lo, s14
.LBB84_23:
	s_delay_alu instid0(SALU_CYCLE_1)
	s_or_b32 exec_lo, exec_lo, s13
.LBB84_24:
	s_delay_alu instid0(SALU_CYCLE_1) | instskip(NEXT) | instid1(SALU_CYCLE_1)
	s_or_b32 exec_lo, exec_lo, s11
	s_and_not1_b32 vcc_lo, exec_lo, s10
	s_cbranch_vccz .LBB84_26
	s_branch .LBB84_37
.LBB84_25:
                                        ; implicit-def: $vgpr20
                                        ; implicit-def: $vgpr22
                                        ; implicit-def: $vgpr23
                                        ; implicit-def: $vgpr21
.LBB84_26:
	v_dual_mov_b32 v20, 0 :: v_dual_mov_b32 v23, 0
	v_dual_mov_b32 v22, 0 :: v_dual_mov_b32 v21, 0
	s_and_saveexec_b32 s5, s2
	s_cbranch_execz .LBB84_36
; %bb.27:
	v_or_b32_e32 v9, 64, v19
	v_mov_b32_e32 v21, 0
	v_dual_mov_b32 v23, 0 :: v_dual_mov_b32 v22, 0
	v_mov_b32_e32 v20, 0
	s_delay_alu instid0(VALU_DEP_4) | instskip(NEXT) | instid1(VALU_DEP_1)
	v_sub_co_u32 v9, s2, v9, s18
	v_sub_co_ci_u32_e64 v10, null, 0, 0, s2
	v_sub_co_u32 v11, s2, s18, v19
	s_delay_alu instid0(VALU_DEP_3) | instskip(NEXT) | instid1(VALU_DEP_3)
	v_add_co_u32 v9, vcc_lo, v9, v7
	v_add_co_ci_u32_e32 v10, vcc_lo, v10, v8, vcc_lo
	v_not_b32_e32 v7, v7
	v_not_b32_e32 v8, v8
	v_sub_co_ci_u32_e64 v12, null, 0, 0, s2
	s_delay_alu instid0(VALU_DEP_4) | instskip(SKIP_4) | instid1(VALU_DEP_2)
	v_cmp_gt_i64_e32 vcc_lo, v[9:10], v[2:3]
	s_mov_b32 s2, exec_lo
	v_dual_cndmask_b32 v10, v3, v10 :: v_dual_cndmask_b32 v9, v2, v9
	v_add_co_u32 v7, vcc_lo, v11, v7
	v_add_co_ci_u32_e32 v8, vcc_lo, v12, v8, vcc_lo
	v_add_co_u32 v7, vcc_lo, v7, v9
	s_delay_alu instid0(VALU_DEP_2) | instskip(NEXT) | instid1(VALU_DEP_2)
	v_add_co_ci_u32_e32 v8, vcc_lo, v8, v10, vcc_lo
	v_lshrrev_b32_e32 v9, 6, v7
	s_delay_alu instid0(VALU_DEP_1) | instskip(NEXT) | instid1(VALU_DEP_1)
	v_add_nc_u32_e32 v9, 1, v9
	v_and_b32_e32 v9, 3, v9
	s_delay_alu instid0(VALU_DEP_1)
	v_cmpx_ne_u32_e32 0, v9
	s_cbranch_execz .LBB84_31
; %bb.28:
	v_lshlrev_b64 v[11:12], 2, v[0:1]
	v_dual_mov_b32 v10, 0 :: v_dual_lshlrev_b32 v9, 2, v9
	s_mov_b32 s3, 0
	s_delay_alu instid0(VALU_DEP_1) | instskip(NEXT) | instid1(VALU_DEP_3)
	v_mov_b32_e32 v20, v10
	v_add_co_u32 v11, vcc_lo, s8, v11
	s_delay_alu instid0(VALU_DEP_4)
	v_add_co_ci_u32_e32 v12, vcc_lo, s9, v12, vcc_lo
	v_mov_b32_e32 v22, v10
	v_mov_b32_e32 v23, v10
	v_mov_b32_e32 v21, v10
.LBB84_29:                              ; =>This Inner Loop Header: Depth=1
	global_load_b32 v17, v[11:12], off
	global_load_b128 v[13:16], v[5:6], off
	s_waitcnt vmcnt(1)
	v_subrev_nc_u32_e32 v17, s18, v17
	s_waitcnt vmcnt(0)
	v_lshrrev_b32_e32 v25, 16, v13
	v_lshrrev_b32_e32 v24, 8, v13
	;; [unrolled: 1-line block ×3, first 2 shown]
	v_bfe_i32 v26, v14, 0, 8
	v_lshrrev_b32_e32 v27, 8, v14
	v_bfe_i32 v25, v25, 0, 8
	v_lshrrev_b32_e32 v14, 24, v14
	v_bfe_i32 v24, v24, 0, 8
	v_bfe_i32 v28, v28, 0, 8
	v_bfe_i32 v29, v15, 0, 8
	v_bfe_i32 v25, v25, 0, 16
	v_lshrrev_b32_e32 v30, 8, v15
	v_lshrrev_b32_e32 v31, 16, v15
	;; [unrolled: 1-line block ×3, first 2 shown]
	v_bfe_i32 v27, v27, 0, 8
	v_cvt_f32_i32_e32 v25, v25
	v_lshlrev_b32_e32 v17, 2, v17
	v_bfe_i32 v14, v14, 0, 8
	v_bfe_i32 v26, v26, 0, 16
	;; [unrolled: 1-line block ×4, first 2 shown]
	v_ashrrev_i32_e32 v18, 31, v17
	s_waitcnt lgkmcnt(0)
	v_add_co_u32 v17, vcc_lo, s6, v17
	v_bfe_i32 v32, v16, 0, 8
	v_lshrrev_b32_e32 v33, 8, v16
	v_add_co_ci_u32_e32 v18, vcc_lo, s7, v18, vcc_lo
	v_lshrrev_b32_e32 v34, 16, v16
	v_lshrrev_b32_e32 v16, 24, v16
	v_bfe_i32 v30, v30, 0, 8
	global_load_b32 v17, v[17:18], off
	v_bfe_i32 v18, v13, 0, 8
	v_lshrrev_b32_e32 v13, 24, v13
	v_bfe_i32 v31, v31, 0, 8
	v_bfe_i32 v15, v15, 0, 8
	v_cvt_f32_i32_e32 v26, v26
	v_bfe_i32 v18, v18, 0, 16
	v_bfe_i32 v13, v13, 0, 8
	;; [unrolled: 1-line block ×4, first 2 shown]
	v_cvt_f32_i32_e32 v24, v24
	v_cvt_f32_i32_e32 v18, v18
	v_bfe_i32 v13, v13, 0, 16
	v_cvt_f32_i32_e32 v28, v28
	v_add_co_u32 v5, vcc_lo, 0x400, v5
	v_add_co_ci_u32_e32 v6, vcc_lo, 0, v6, vcc_lo
	s_delay_alu instid0(VALU_DEP_4)
	v_cvt_f32_i32_e32 v13, v13
	v_add_co_u32 v0, vcc_lo, v0, 64
	v_bfe_i32 v33, v33, 0, 8
	v_bfe_i32 v34, v34, 0, 8
	;; [unrolled: 1-line block ×7, first 2 shown]
	v_cvt_f32_i32_e32 v27, v27
	v_cvt_f32_i32_e32 v14, v14
	v_add_co_ci_u32_e32 v1, vcc_lo, 0, v1, vcc_lo
	v_add_co_u32 v11, vcc_lo, 0x100, v11
	v_add_co_ci_u32_e32 v12, vcc_lo, 0, v12, vcc_lo
	v_add_co_u32 v9, vcc_lo, v9, -4
	v_bfe_i32 v32, v32, 0, 16
	v_cvt_f32_i32_e32 v29, v29
	v_bfe_i32 v33, v33, 0, 16
	v_bfe_i32 v34, v34, 0, 16
	;; [unrolled: 1-line block ×3, first 2 shown]
	v_cvt_f32_i32_e32 v30, v30
	v_cvt_f32_i32_e32 v31, v31
	;; [unrolled: 1-line block ×3, first 2 shown]
	v_add_co_ci_u32_e32 v10, vcc_lo, -1, v10, vcc_lo
	v_cvt_f32_i32_e32 v32, v32
	v_cvt_f32_i32_e32 v33, v33
	;; [unrolled: 1-line block ×4, first 2 shown]
	v_cmp_eq_u64_e32 vcc_lo, 0, v[9:10]
	s_or_b32 s3, vcc_lo, s3
	s_waitcnt vmcnt(0)
	v_bfe_i32 v35, v17, 0, 8
	v_lshrrev_b32_e32 v36, 8, v17
	v_lshrrev_b32_e32 v37, 16, v17
	;; [unrolled: 1-line block ×3, first 2 shown]
	s_delay_alu instid0(VALU_DEP_4) | instskip(NEXT) | instid1(VALU_DEP_4)
	v_bfe_i32 v35, v35, 0, 16
	v_bfe_i32 v36, v36, 0, 8
	s_delay_alu instid0(VALU_DEP_4) | instskip(NEXT) | instid1(VALU_DEP_4)
	v_bfe_i32 v37, v37, 0, 8
	v_bfe_i32 v17, v17, 0, 8
	s_delay_alu instid0(VALU_DEP_4) | instskip(NEXT) | instid1(VALU_DEP_4)
	v_cvt_f32_i32_e32 v35, v35
	v_bfe_i32 v36, v36, 0, 16
	s_delay_alu instid0(VALU_DEP_4) | instskip(NEXT) | instid1(VALU_DEP_4)
	v_bfe_i32 v37, v37, 0, 16
	v_bfe_i32 v17, v17, 0, 16
	s_delay_alu instid0(VALU_DEP_4) | instskip(SKIP_2) | instid1(VALU_DEP_1)
	v_fmac_f32_e32 v22, v25, v35
	v_fmac_f32_e32 v21, v18, v35
	v_cvt_f32_i32_e32 v18, v36
	v_fmac_f32_e32 v22, v28, v18
	s_delay_alu instid0(VALU_DEP_3) | instskip(SKIP_2) | instid1(VALU_DEP_3)
	v_dual_fmac_f32 v20, v13, v35 :: v_dual_fmac_f32 v21, v26, v18
	v_fmac_f32_e32 v23, v24, v35
	v_cvt_f32_i32_e32 v13, v37
	v_fmac_f32_e32 v20, v14, v18
	v_cvt_f32_i32_e32 v14, v17
	s_delay_alu instid0(VALU_DEP_4) | instskip(NEXT) | instid1(VALU_DEP_4)
	v_fmac_f32_e32 v23, v27, v18
	v_fmac_f32_e32 v22, v31, v13
	;; [unrolled: 1-line block ×4, first 2 shown]
	s_delay_alu instid0(VALU_DEP_4) | instskip(NEXT) | instid1(VALU_DEP_4)
	v_fmac_f32_e32 v23, v30, v13
	v_fmac_f32_e32 v22, v34, v14
	s_delay_alu instid0(VALU_DEP_4) | instskip(NEXT) | instid1(VALU_DEP_4)
	v_fmac_f32_e32 v21, v32, v14
	v_fmac_f32_e32 v20, v16, v14
	s_delay_alu instid0(VALU_DEP_4)
	v_fmac_f32_e32 v23, v33, v14
	s_and_not1_b32 exec_lo, exec_lo, s3
	s_cbranch_execnz .LBB84_29
; %bb.30:
	s_or_b32 exec_lo, exec_lo, s3
.LBB84_31:
	s_delay_alu instid0(SALU_CYCLE_1) | instskip(NEXT) | instid1(SALU_CYCLE_1)
	s_or_b32 exec_lo, exec_lo, s2
	s_mov_b32 s10, exec_lo
	v_cmpx_lt_u64_e32 0xbf, v[7:8]
	s_cbranch_execz .LBB84_35
; %bb.32:
	v_lshlrev_b64 v[7:8], 2, v[0:1]
	s_delay_alu instid0(VALU_DEP_1) | instskip(NEXT) | instid1(VALU_DEP_2)
	v_add_co_u32 v7, vcc_lo, v7, s8
	v_add_co_ci_u32_e32 v8, vcc_lo, s9, v8, vcc_lo
	s_mov_b32 s8, 0
	s_delay_alu instid0(VALU_DEP_2) | instskip(NEXT) | instid1(VALU_DEP_2)
	v_add_co_u32 v7, vcc_lo, 0x200, v7
	v_add_co_ci_u32_e32 v8, vcc_lo, 0, v8, vcc_lo
.LBB84_33:                              ; =>This Inner Loop Header: Depth=1
	s_clause 0x3
	global_load_b32 v17, v[7:8], off offset:-512
	global_load_b32 v18, v[7:8], off offset:-256
	global_load_b32 v32, v[7:8], off
	global_load_b32 v33, v[7:8], off offset:256
	s_clause 0x3
	global_load_b128 v[9:12], v[5:6], off
	global_load_b128 v[13:16], v[5:6], off offset:1024
	global_load_b128 v[24:27], v[5:6], off offset:2048
	;; [unrolled: 1-line block ×3, first 2 shown]
	v_add_co_u32 v5, vcc_lo, 0x1000, v5
	v_add_co_ci_u32_e32 v6, vcc_lo, 0, v6, vcc_lo
	v_add_co_u32 v0, vcc_lo, 0x100, v0
	v_add_co_ci_u32_e32 v1, vcc_lo, 0, v1, vcc_lo
	;; [unrolled: 2-line block ×3, first 2 shown]
	s_waitcnt vmcnt(7)
	v_subrev_nc_u32_e32 v17, s18, v17
	s_waitcnt vmcnt(3)
	v_lshrrev_b32_e32 v38, 16, v9
	v_lshrrev_b32_e32 v39, 24, v9
	;; [unrolled: 1-line block ×3, first 2 shown]
	v_bfe_i32 v36, v9, 0, 8
	v_subrev_nc_u32_e32 v9, s18, v18
	v_bfe_i32 v38, v38, 0, 8
	v_bfe_i32 v39, v39, 0, 8
	;; [unrolled: 1-line block ×4, first 2 shown]
	v_lshrrev_b32_e32 v41, 8, v10
	v_bfe_i32 v38, v38, 0, 16
	v_bfe_i32 v39, v39, 0, 16
	v_lshrrev_b32_e32 v42, 16, v10
	v_lshrrev_b32_e32 v43, 24, v10
	v_subrev_nc_u32_e32 v10, s18, v32
	v_bfe_i32 v36, v36, 0, 16
	v_subrev_nc_u32_e32 v18, s18, v33
	v_bfe_i32 v37, v37, 0, 16
	v_cvt_f32_i32_e32 v38, v38
	v_lshlrev_b32_e32 v33, 2, v17
	v_cvt_f32_i32_e32 v39, v39
	v_lshlrev_b32_e32 v9, 2, v9
	;; [unrolled: 2-line block ×4, first 2 shown]
	v_ashrrev_i32_e32 v35, 31, v33
	v_ashrrev_i32_e32 v50, 31, v9
	v_ashrrev_i32_e32 v51, 31, v10
	s_waitcnt lgkmcnt(0)
	v_add_co_u32 v34, s4, s6, v33
	v_ashrrev_i32_e32 v52, 31, v18
	v_add_co_u32 v9, vcc_lo, s6, v9
	v_add_co_u32 v17, s2, s6, v10
	v_add_co_ci_u32_e64 v35, s4, s7, v35, s4
	v_add_co_u32 v32, s3, s6, v18
	v_add_co_ci_u32_e32 v10, vcc_lo, s7, v50, vcc_lo
	v_add_co_ci_u32_e64 v18, vcc_lo, s7, v51, s2
	v_add_co_ci_u32_e64 v33, vcc_lo, s7, v52, s3
	s_clause 0x3
	global_load_b32 v34, v[34:35], off
	global_load_b32 v9, v[9:10], off
	;; [unrolled: 1-line block ×4, first 2 shown]
	v_bfe_i32 v44, v11, 0, 8
	v_lshrrev_b32_e32 v45, 8, v11
	v_lshrrev_b32_e32 v46, 16, v11
	v_lshrrev_b32_e32 v11, 24, v11
	v_bfe_i32 v43, v43, 0, 8
	v_bfe_i32 v47, v12, 0, 8
	v_lshrrev_b32_e32 v48, 8, v12
	v_lshrrev_b32_e32 v49, 16, v12
	;; [unrolled: 1-line block ×3, first 2 shown]
	v_bfe_i32 v41, v41, 0, 8
	v_bfe_i32 v42, v42, 0, 8
	v_bfe_i32 v45, v45, 0, 8
	v_bfe_i32 v11, v11, 0, 8
	v_bfe_i32 v43, v43, 0, 16
	s_waitcnt vmcnt(6)
	v_bfe_i32 v18, v13, 0, 8
	v_lshrrev_b32_e32 v32, 8, v13
	v_lshrrev_b32_e32 v33, 16, v13
	;; [unrolled: 1-line block ×4, first 2 shown]
	v_bfe_i32 v46, v46, 0, 8
	v_bfe_i32 v12, v12, 0, 8
	;; [unrolled: 1-line block ×7, first 2 shown]
	v_cvt_f32_i32_e32 v43, v43
	v_bfe_i32 v35, v14, 0, 8
	v_lshrrev_b32_e32 v51, 16, v14
	v_lshrrev_b32_e32 v14, 24, v14
	v_bfe_i32 v44, v44, 0, 16
	v_bfe_i32 v13, v13, 0, 8
	;; [unrolled: 1-line block ×3, first 2 shown]
	v_cvt_f32_i32_e32 v40, v40
	v_bfe_i32 v46, v46, 0, 16
	v_bfe_i32 v12, v12, 0, 16
	v_cvt_f32_i32_e32 v41, v41
	v_cvt_f32_i32_e32 v42, v42
	;; [unrolled: 1-line block ×4, first 2 shown]
	v_bfe_i32 v52, v15, 0, 8
	v_lshrrev_b32_e32 v53, 8, v15
	v_lshrrev_b32_e32 v54, 16, v15
	;; [unrolled: 1-line block ×3, first 2 shown]
	v_bfe_i32 v55, v16, 0, 8
	v_bfe_i32 v47, v47, 0, 16
	v_bfe_i32 v14, v14, 0, 8
	v_cvt_f32_i32_e32 v44, v44
	v_bfe_i32 v13, v13, 0, 16
	v_bfe_i32 v50, v50, 0, 16
	v_cvt_f32_i32_e32 v46, v46
	v_cvt_f32_i32_e32 v12, v12
	v_bfe_i32 v49, v49, 0, 8
	v_bfe_i32 v15, v15, 0, 8
	;; [unrolled: 1-line block ×4, first 2 shown]
	v_cvt_f32_i32_e32 v47, v47
	v_bfe_i32 v14, v14, 0, 16
	v_cvt_f32_i32_e32 v13, v13
	v_cvt_f32_i32_e32 v50, v50
	v_bfe_i32 v48, v48, 0, 8
	v_bfe_i32 v33, v33, 0, 8
	;; [unrolled: 1-line block ×4, first 2 shown]
	v_cvt_f32_i32_e32 v18, v18
	v_bfe_i32 v15, v15, 0, 16
	v_cvt_f32_i32_e32 v55, v55
	v_cvt_f32_i32_e32 v14, v14
	v_bfe_i32 v32, v32, 0, 8
	v_bfe_i32 v51, v51, 0, 8
	;; [unrolled: 1-line block ×5, first 2 shown]
	v_cvt_f32_i32_e32 v35, v35
	v_cvt_f32_i32_e32 v49, v49
	;; [unrolled: 1-line block ×3, first 2 shown]
	v_bfe_i32 v54, v54, 0, 8
	v_bfe_i32 v32, v32, 0, 16
	;; [unrolled: 1-line block ×3, first 2 shown]
	v_cvt_f32_i32_e32 v52, v52
	v_cvt_f32_i32_e32 v48, v48
	;; [unrolled: 1-line block ×3, first 2 shown]
	v_lshrrev_b32_e32 v56, 8, v16
	v_lshrrev_b32_e32 v57, 16, v16
	;; [unrolled: 1-line block ×3, first 2 shown]
	s_waitcnt vmcnt(4)
	v_lshrrev_b32_e32 v72, 16, v28
	v_bfe_i32 v53, v53, 0, 8
	v_bfe_i32 v54, v54, 0, 16
	v_cvt_f32_i32_e32 v32, v32
	v_cvt_f32_i32_e32 v51, v51
	v_bfe_i32 v58, v24, 0, 8
	v_lshrrev_b32_e32 v59, 8, v24
	v_lshrrev_b32_e32 v60, 16, v24
	;; [unrolled: 1-line block ×5, first 2 shown]
	v_bfe_i32 v56, v56, 0, 8
	v_bfe_i32 v57, v57, 0, 8
	;; [unrolled: 1-line block ×5, first 2 shown]
	v_cvt_f32_i32_e32 v54, v54
	v_bfe_i32 v61, v25, 0, 8
	v_lshrrev_b32_e32 v62, 8, v25
	v_lshrrev_b32_e32 v63, 16, v25
	;; [unrolled: 1-line block ×3, first 2 shown]
	v_bfe_i32 v70, v28, 0, 8
	v_lshrrev_b32_e32 v28, 24, v28
	v_bfe_i32 v76, v30, 0, 8
	v_lshrrev_b32_e32 v77, 8, v30
	v_lshrrev_b32_e32 v30, 24, v30
	v_bfe_i32 v59, v59, 0, 8
	v_bfe_i32 v60, v60, 0, 8
	;; [unrolled: 1-line block ×9, first 2 shown]
	v_cvt_f32_i32_e32 v53, v53
	v_bfe_i32 v64, v26, 0, 8
	v_lshrrev_b32_e32 v65, 8, v26
	v_lshrrev_b32_e32 v66, 16, v26
	;; [unrolled: 1-line block ×3, first 2 shown]
	v_bfe_i32 v62, v62, 0, 8
	v_bfe_i32 v63, v63, 0, 8
	;; [unrolled: 1-line block ×13, first 2 shown]
	v_cvt_f32_i32_e32 v56, v56
	v_cvt_f32_i32_e32 v57, v57
	;; [unrolled: 1-line block ×4, first 2 shown]
	v_bfe_i32 v67, v27, 0, 8
	v_lshrrev_b32_e32 v68, 8, v27
	v_lshrrev_b32_e32 v69, 16, v27
	;; [unrolled: 1-line block ×3, first 2 shown]
	v_bfe_i32 v65, v65, 0, 8
	v_bfe_i32 v66, v66, 0, 8
	;; [unrolled: 1-line block ×4, first 2 shown]
	v_cvt_f32_i32_e32 v58, v58
	v_bfe_i32 v62, v62, 0, 16
	v_bfe_i32 v63, v63, 0, 16
	;; [unrolled: 1-line block ×3, first 2 shown]
	v_cvt_f32_i32_e32 v70, v70
	v_bfe_i32 v28, v28, 0, 16
	v_bfe_i32 v77, v77, 0, 16
	;; [unrolled: 1-line block ×3, first 2 shown]
	v_cvt_f32_i32_e32 v59, v59
	v_cvt_f32_i32_e32 v60, v60
	;; [unrolled: 1-line block ×5, first 2 shown]
	v_bfe_i32 v68, v68, 0, 8
	v_bfe_i32 v69, v69, 0, 8
	;; [unrolled: 1-line block ×5, first 2 shown]
	v_cvt_f32_i32_e32 v61, v61
	v_bfe_i32 v65, v65, 0, 16
	v_bfe_i32 v66, v66, 0, 16
	;; [unrolled: 1-line block ×3, first 2 shown]
	v_cvt_f32_i32_e32 v62, v62
	v_cvt_f32_i32_e32 v63, v63
	;; [unrolled: 1-line block ×6, first 2 shown]
	v_bfe_i32 v73, v29, 0, 8
	v_lshrrev_b32_e32 v74, 8, v29
	v_lshrrev_b32_e32 v75, 16, v29
	;; [unrolled: 1-line block ×3, first 2 shown]
	v_bfe_i32 v67, v67, 0, 16
	v_cvt_f32_i32_e32 v64, v64
	v_bfe_i32 v68, v68, 0, 16
	v_bfe_i32 v69, v69, 0, 16
	;; [unrolled: 1-line block ×3, first 2 shown]
	v_cvt_f32_i32_e32 v76, v76
	v_cvt_f32_i32_e32 v65, v65
	v_cvt_f32_i32_e32 v66, v66
	v_cvt_f32_i32_e32 v26, v26
	v_bfe_i32 v74, v74, 0, 8
	v_bfe_i32 v75, v75, 0, 8
	;; [unrolled: 1-line block ×3, first 2 shown]
	v_cvt_f32_i32_e32 v67, v67
	v_cvt_f32_i32_e32 v68, v68
	;; [unrolled: 1-line block ×4, first 2 shown]
	v_bfe_i32 v79, v31, 0, 8
	v_lshrrev_b32_e32 v80, 8, v31
	v_lshrrev_b32_e32 v81, 16, v31
	;; [unrolled: 1-line block ×3, first 2 shown]
	v_bfe_i32 v73, v73, 0, 16
	v_bfe_i32 v74, v74, 0, 16
	;; [unrolled: 1-line block ×7, first 2 shown]
	v_cvt_f32_i32_e32 v73, v73
	v_cvt_f32_i32_e32 v74, v74
	;; [unrolled: 1-line block ×4, first 2 shown]
	v_bfe_i32 v79, v79, 0, 16
	v_bfe_i32 v80, v80, 0, 16
	;; [unrolled: 1-line block ×4, first 2 shown]
	v_cmp_ge_i64_e32 vcc_lo, v[0:1], v[2:3]
	v_cvt_f32_i32_e32 v79, v79
	v_cvt_f32_i32_e32 v80, v80
	;; [unrolled: 1-line block ×4, first 2 shown]
	s_or_b32 s8, vcc_lo, s8
	s_waitcnt vmcnt(3)
	v_bfe_i32 v83, v34, 0, 8
	v_lshrrev_b32_e32 v84, 8, v34
	v_lshrrev_b32_e32 v82, 16, v34
	;; [unrolled: 1-line block ×3, first 2 shown]
	s_waitcnt vmcnt(2)
	v_lshrrev_b32_e32 v85, 16, v9
	v_bfe_i32 v83, v83, 0, 16
	v_bfe_i32 v84, v84, 0, 8
	;; [unrolled: 1-line block ×5, first 2 shown]
	v_cvt_f32_i32_e32 v83, v83
	v_bfe_i32 v84, v84, 0, 16
	v_bfe_i32 v82, v82, 0, 16
	v_lshrrev_b32_e32 v87, 8, v9
	v_lshrrev_b32_e32 v9, 24, v9
	v_fmac_f32_e32 v23, v37, v83
	v_fmac_f32_e32 v21, v36, v83
	v_cvt_f32_i32_e32 v36, v84
	v_fmac_f32_e32 v20, v39, v83
	v_bfe_i32 v34, v34, 0, 16
	v_fmac_f32_e32 v22, v38, v83
	v_cvt_f32_i32_e32 v37, v82
	v_bfe_i32 v87, v87, 0, 8
	v_fmac_f32_e32 v20, v43, v36
	v_bfe_i32 v9, v9, 0, 8
	v_bfe_i32 v86, v86, 0, 16
	v_fmac_f32_e32 v23, v41, v36
	v_fmac_f32_e32 v22, v42, v36
	;; [unrolled: 1-line block ×3, first 2 shown]
	v_cvt_f32_i32_e32 v34, v34
	v_fmac_f32_e32 v20, v11, v37
	v_bfe_i32 v85, v85, 0, 8
	v_fmac_f32_e32 v22, v46, v37
	v_cvt_f32_i32_e32 v86, v86
	v_bfe_i32 v87, v87, 0, 16
	v_bfe_i32 v9, v9, 0, 16
	v_fmac_f32_e32 v21, v44, v37
	v_fmac_f32_e32 v20, v12, v34
	v_bfe_i32 v85, v85, 0, 16
	v_cvt_f32_i32_e32 v12, v87
	v_cvt_f32_i32_e32 v9, v9
	v_fmac_f32_e32 v23, v45, v37
	v_fmac_f32_e32 v20, v13, v86
	;; [unrolled: 1-line block ×3, first 2 shown]
	v_cvt_f32_i32_e32 v13, v85
	s_waitcnt vmcnt(0)
	v_bfe_i32 v92, v17, 0, 8
	v_bfe_i32 v89, v10, 0, 8
	v_fmac_f32_e32 v20, v14, v12
	v_fmac_f32_e32 v21, v18, v86
	v_lshrrev_b32_e32 v90, 8, v10
	v_bfe_i32 v92, v92, 0, 16
	v_lshrrev_b32_e32 v88, 16, v10
	v_fmac_f32_e32 v20, v15, v13
	v_dual_fmac_f32 v22, v49, v34 :: v_dual_fmac_f32 v21, v35, v12
	v_bfe_i32 v90, v90, 0, 8
	v_bfe_i32 v89, v89, 0, 16
	v_cvt_f32_i32_e32 v92, v92
	s_delay_alu instid0(VALU_DEP_4) | instskip(SKIP_3) | instid1(VALU_DEP_4)
	v_dual_fmac_f32 v22, v33, v86 :: v_dual_fmac_f32 v21, v52, v13
	v_fmac_f32_e32 v23, v48, v34
	v_lshrrev_b32_e32 v10, 24, v10
	v_bfe_i32 v88, v88, 0, 8
	v_fmac_f32_e32 v22, v51, v12
	v_cvt_f32_i32_e32 v89, v89
	v_fmac_f32_e32 v23, v32, v86
	v_bfe_i32 v90, v90, 0, 16
	v_fmac_f32_e32 v21, v55, v9
	v_fmac_f32_e32 v22, v54, v13
	s_delay_alu instid0(VALU_DEP_4) | instskip(SKIP_2) | instid1(VALU_DEP_4)
	v_dual_fmac_f32 v20, v16, v9 :: v_dual_fmac_f32 v23, v50, v12
	v_bfe_i32 v10, v10, 0, 8
	v_bfe_i32 v88, v88, 0, 16
	v_fmac_f32_e32 v22, v57, v9
	v_fmac_f32_e32 v21, v58, v89
	;; [unrolled: 1-line block ×4, first 2 shown]
	v_lshrrev_b32_e32 v93, 8, v17
	v_fmac_f32_e32 v22, v60, v89
	v_bfe_i32 v10, v10, 0, 16
	v_fmac_f32_e32 v23, v56, v9
	v_cvt_f32_i32_e32 v9, v90
	v_cvt_f32_i32_e32 v13, v88
	v_lshrrev_b32_e32 v91, 16, v17
	v_bfe_i32 v93, v93, 0, 8
	v_fmac_f32_e32 v23, v59, v89
	v_fmac_f32_e32 v21, v61, v9
	;; [unrolled: 1-line block ×4, first 2 shown]
	v_lshrrev_b32_e32 v17, 24, v17
	v_fmac_f32_e32 v23, v62, v9
	v_cvt_f32_i32_e32 v9, v10
	v_fmac_f32_e32 v21, v64, v13
	v_fmac_f32_e32 v22, v66, v13
	;; [unrolled: 1-line block ×4, first 2 shown]
	v_bfe_i32 v91, v91, 0, 8
	v_bfe_i32 v11, v93, 0, 16
	v_fmac_f32_e32 v21, v67, v9
	v_fmac_f32_e32 v22, v69, v9
	;; [unrolled: 1-line block ×4, first 2 shown]
	v_bfe_i32 v17, v17, 0, 8
	v_bfe_i32 v12, v91, 0, 16
	v_cvt_f32_i32_e32 v9, v11
	v_fmac_f32_e32 v21, v70, v92
	v_fmac_f32_e32 v23, v71, v92
	;; [unrolled: 1-line block ×4, first 2 shown]
	v_bfe_i32 v10, v17, 0, 16
	v_cvt_f32_i32_e32 v11, v12
	v_fmac_f32_e32 v21, v73, v9
	v_fmac_f32_e32 v23, v74, v9
	;; [unrolled: 1-line block ×4, first 2 shown]
	v_cvt_f32_i32_e32 v9, v10
	v_fmac_f32_e32 v21, v76, v11
	v_fmac_f32_e32 v23, v77, v11
	;; [unrolled: 1-line block ×3, first 2 shown]
	s_delay_alu instid0(VALU_DEP_3) | instskip(NEXT) | instid1(VALU_DEP_3)
	v_dual_fmac_f32 v20, v30, v11 :: v_dual_fmac_f32 v21, v79, v9
	v_fmac_f32_e32 v23, v80, v9
	s_delay_alu instid0(VALU_DEP_3) | instskip(NEXT) | instid1(VALU_DEP_3)
	v_fmac_f32_e32 v22, v81, v9
	v_fmac_f32_e32 v20, v31, v9
	s_and_not1_b32 exec_lo, exec_lo, s8
	s_cbranch_execnz .LBB84_33
; %bb.34:
	s_or_b32 exec_lo, exec_lo, s8
.LBB84_35:
	s_delay_alu instid0(SALU_CYCLE_1)
	s_or_b32 exec_lo, exec_lo, s10
.LBB84_36:
	s_delay_alu instid0(SALU_CYCLE_1)
	s_or_b32 exec_lo, exec_lo, s5
.LBB84_37:
	v_mbcnt_lo_u32_b32 v0, -1, 0
	s_mov_b32 s2, -1
	s_delay_alu instid0(VALU_DEP_1) | instskip(SKIP_2) | instid1(VALU_DEP_3)
	v_or_b32_e32 v1, 32, v0
	v_xor_b32_e32 v6, 16, v0
	v_xor_b32_e32 v10, 8, v0
	v_cmp_gt_i32_e32 vcc_lo, 32, v1
	v_cndmask_b32_e32 v1, v0, v1, vcc_lo
	s_delay_alu instid0(VALU_DEP_4) | instskip(SKIP_2) | instid1(VALU_DEP_2)
	v_cmp_gt_i32_e32 vcc_lo, 32, v6
	v_cndmask_b32_e32 v6, v0, v6, vcc_lo
	v_cmp_gt_i32_e32 vcc_lo, 32, v10
	v_lshlrev_b32_e32 v6, 2, v6
	v_dual_cndmask_b32 v10, v0, v10 :: v_dual_lshlrev_b32 v1, 2, v1
	ds_bpermute_b32 v2, v1, v21
	v_lshlrev_b32_e32 v10, 2, v10
	s_waitcnt lgkmcnt(0)
	v_add_f32_e32 v2, v21, v2
	ds_bpermute_b32 v3, v1, v23
	ds_bpermute_b32 v5, v1, v22
	;; [unrolled: 1-line block ×4, first 2 shown]
	s_waitcnt lgkmcnt(3)
	v_add_f32_e32 v3, v23, v3
	s_waitcnt lgkmcnt(2)
	v_add_f32_e32 v5, v22, v5
	;; [unrolled: 2-line block ×3, first 2 shown]
	ds_bpermute_b32 v8, v6, v3
	ds_bpermute_b32 v9, v6, v5
	;; [unrolled: 1-line block ×3, first 2 shown]
	s_waitcnt lgkmcnt(2)
	v_dual_add_f32 v2, v2, v7 :: v_dual_add_f32 v3, v3, v8
	s_waitcnt lgkmcnt(1)
	v_add_f32_e32 v5, v5, v9
	s_waitcnt lgkmcnt(0)
	v_add_f32_e32 v1, v1, v6
	ds_bpermute_b32 v6, v10, v2
	ds_bpermute_b32 v7, v10, v3
	;; [unrolled: 1-line block ×4, first 2 shown]
	v_xor_b32_e32 v10, 4, v0
	s_delay_alu instid0(VALU_DEP_1) | instskip(SKIP_1) | instid1(VALU_DEP_1)
	v_cmp_gt_i32_e32 vcc_lo, 32, v10
	v_cndmask_b32_e32 v10, v0, v10, vcc_lo
	v_lshlrev_b32_e32 v10, 2, v10
	s_waitcnt lgkmcnt(2)
	v_dual_add_f32 v2, v2, v6 :: v_dual_add_f32 v3, v3, v7
	s_waitcnt lgkmcnt(1)
	v_add_f32_e32 v5, v5, v8
	s_waitcnt lgkmcnt(0)
	v_add_f32_e32 v1, v1, v9
	ds_bpermute_b32 v6, v10, v2
	ds_bpermute_b32 v7, v10, v3
	;; [unrolled: 1-line block ×4, first 2 shown]
	v_xor_b32_e32 v10, 2, v0
	s_delay_alu instid0(VALU_DEP_1) | instskip(SKIP_1) | instid1(VALU_DEP_1)
	v_cmp_gt_i32_e32 vcc_lo, 32, v10
	v_cndmask_b32_e32 v10, v0, v10, vcc_lo
	v_lshlrev_b32_e32 v10, 2, v10
	s_waitcnt lgkmcnt(2)
	v_dual_add_f32 v2, v2, v6 :: v_dual_add_f32 v3, v3, v7
	s_waitcnt lgkmcnt(1)
	v_add_f32_e32 v5, v5, v8
	ds_bpermute_b32 v7, v10, v3
	s_waitcnt lgkmcnt(1)
	v_add_f32_e32 v6, v1, v9
	ds_bpermute_b32 v1, v10, v2
	ds_bpermute_b32 v8, v10, v5
	;; [unrolled: 1-line block ×3, first 2 shown]
	v_xor_b32_e32 v10, 1, v0
	s_delay_alu instid0(VALU_DEP_1) | instskip(SKIP_2) | instid1(VALU_DEP_2)
	v_cmp_gt_i32_e32 vcc_lo, 32, v10
	v_cndmask_b32_e32 v0, v0, v10, vcc_lo
	v_cmp_eq_u32_e32 vcc_lo, 63, v19
	v_lshlrev_b32_e32 v10, 2, v0
	s_waitcnt lgkmcnt(2)
	v_dual_add_f32 v0, v2, v1 :: v_dual_add_f32 v1, v3, v7
	s_waitcnt lgkmcnt(0)
	v_dual_add_f32 v2, v5, v8 :: v_dual_add_f32 v3, v6, v9
	ds_bpermute_b32 v5, v10, v0
	ds_bpermute_b32 v6, v10, v1
	;; [unrolled: 1-line block ×4, first 2 shown]
	s_and_b32 exec_lo, exec_lo, vcc_lo
	s_cbranch_execz .LBB84_10
; %bb.38:
	s_load_b64 s[0:1], s[0:1], 0x50
	s_waitcnt lgkmcnt(0)
	v_dual_add_f32 v0, v0, v5 :: v_dual_add_f32 v1, v1, v6
	v_dual_add_f32 v2, v2, v7 :: v_dual_add_f32 v3, v3, v8
	v_cmp_eq_f32_e64 s3, s12, 0
	s_delay_alu instid0(VALU_DEP_3) | instskip(NEXT) | instid1(VALU_DEP_3)
	v_dual_mul_f32 v0, s16, v0 :: v_dual_mul_f32 v1, s16, v1
	v_dual_mul_f32 v2, s16, v2 :: v_dual_mul_f32 v3, s16, v3
	v_lshlrev_b32_e32 v4, 2, v4
	s_delay_alu instid0(VALU_DEP_4)
	s_and_b32 vcc_lo, exec_lo, s3
	s_cbranch_vccz .LBB84_40
; %bb.39:
	s_delay_alu instid0(VALU_DEP_1) | instskip(SKIP_1) | instid1(VALU_DEP_1)
	v_ashrrev_i32_e32 v5, 31, v4
	s_mov_b32 s2, 0
	v_lshlrev_b64 v[5:6], 2, v[4:5]
	s_delay_alu instid0(VALU_DEP_1) | instskip(NEXT) | instid1(VALU_DEP_2)
	v_add_co_u32 v5, vcc_lo, s0, v5
	v_add_co_ci_u32_e32 v6, vcc_lo, s1, v6, vcc_lo
	global_store_b128 v[5:6], v[0:3], off
.LBB84_40:
	s_and_not1_b32 vcc_lo, exec_lo, s2
	s_cbranch_vccnz .LBB84_10
; %bb.41:
	v_ashrrev_i32_e32 v5, 31, v4
	s_delay_alu instid0(VALU_DEP_1) | instskip(NEXT) | instid1(VALU_DEP_1)
	v_lshlrev_b64 v[4:5], 2, v[4:5]
	v_add_co_u32 v8, vcc_lo, s0, v4
	s_delay_alu instid0(VALU_DEP_2)
	v_add_co_ci_u32_e32 v9, vcc_lo, s1, v5, vcc_lo
	global_load_b128 v[4:7], v[8:9], off
	s_waitcnt vmcnt(0)
	v_dual_fmac_f32 v0, s12, v4 :: v_dual_fmac_f32 v1, s12, v5
	v_dual_fmac_f32 v2, s12, v6 :: v_dual_fmac_f32 v3, s12, v7
	global_store_b128 v[8:9], v[0:3], off
	s_nop 0
	s_sendmsg sendmsg(MSG_DEALLOC_VGPRS)
	s_endpgm
	.section	.rodata,"a",@progbits
	.p2align	6, 0x0
	.amdhsa_kernel _ZN9rocsparseL18bsrxmvn_4x4_kernelILj128ELj64EfliaafEEvT3_20rocsparse_direction_NS_24const_host_device_scalarIT1_EES1_PKS1_PKT2_SA_S7_PKT4_PKT5_S5_PT6_21rocsparse_index_base_b
		.amdhsa_group_segment_fixed_size 0
		.amdhsa_private_segment_fixed_size 0
		.amdhsa_kernarg_size 96
		.amdhsa_user_sgpr_count 15
		.amdhsa_user_sgpr_dispatch_ptr 0
		.amdhsa_user_sgpr_queue_ptr 0
		.amdhsa_user_sgpr_kernarg_segment_ptr 1
		.amdhsa_user_sgpr_dispatch_id 0
		.amdhsa_user_sgpr_private_segment_size 0
		.amdhsa_wavefront_size32 1
		.amdhsa_uses_dynamic_stack 0
		.amdhsa_enable_private_segment 0
		.amdhsa_system_sgpr_workgroup_id_x 1
		.amdhsa_system_sgpr_workgroup_id_y 0
		.amdhsa_system_sgpr_workgroup_id_z 0
		.amdhsa_system_sgpr_workgroup_info 0
		.amdhsa_system_vgpr_workitem_id 0
		.amdhsa_next_free_vgpr 100
		.amdhsa_next_free_sgpr 20
		.amdhsa_reserve_vcc 1
		.amdhsa_float_round_mode_32 0
		.amdhsa_float_round_mode_16_64 0
		.amdhsa_float_denorm_mode_32 3
		.amdhsa_float_denorm_mode_16_64 3
		.amdhsa_dx10_clamp 1
		.amdhsa_ieee_mode 1
		.amdhsa_fp16_overflow 0
		.amdhsa_workgroup_processor_mode 1
		.amdhsa_memory_ordered 1
		.amdhsa_forward_progress 0
		.amdhsa_shared_vgpr_count 0
		.amdhsa_exception_fp_ieee_invalid_op 0
		.amdhsa_exception_fp_denorm_src 0
		.amdhsa_exception_fp_ieee_div_zero 0
		.amdhsa_exception_fp_ieee_overflow 0
		.amdhsa_exception_fp_ieee_underflow 0
		.amdhsa_exception_fp_ieee_inexact 0
		.amdhsa_exception_int_div_zero 0
	.end_amdhsa_kernel
	.section	.text._ZN9rocsparseL18bsrxmvn_4x4_kernelILj128ELj64EfliaafEEvT3_20rocsparse_direction_NS_24const_host_device_scalarIT1_EES1_PKS1_PKT2_SA_S7_PKT4_PKT5_S5_PT6_21rocsparse_index_base_b,"axG",@progbits,_ZN9rocsparseL18bsrxmvn_4x4_kernelILj128ELj64EfliaafEEvT3_20rocsparse_direction_NS_24const_host_device_scalarIT1_EES1_PKS1_PKT2_SA_S7_PKT4_PKT5_S5_PT6_21rocsparse_index_base_b,comdat
.Lfunc_end84:
	.size	_ZN9rocsparseL18bsrxmvn_4x4_kernelILj128ELj64EfliaafEEvT3_20rocsparse_direction_NS_24const_host_device_scalarIT1_EES1_PKS1_PKT2_SA_S7_PKT4_PKT5_S5_PT6_21rocsparse_index_base_b, .Lfunc_end84-_ZN9rocsparseL18bsrxmvn_4x4_kernelILj128ELj64EfliaafEEvT3_20rocsparse_direction_NS_24const_host_device_scalarIT1_EES1_PKS1_PKT2_SA_S7_PKT4_PKT5_S5_PT6_21rocsparse_index_base_b
                                        ; -- End function
	.section	.AMDGPU.csdata,"",@progbits
; Kernel info:
; codeLenInByte = 8236
; NumSgprs: 22
; NumVgprs: 100
; ScratchSize: 0
; MemoryBound: 0
; FloatMode: 240
; IeeeMode: 1
; LDSByteSize: 0 bytes/workgroup (compile time only)
; SGPRBlocks: 2
; VGPRBlocks: 12
; NumSGPRsForWavesPerEU: 22
; NumVGPRsForWavesPerEU: 100
; Occupancy: 12
; WaveLimiterHint : 1
; COMPUTE_PGM_RSRC2:SCRATCH_EN: 0
; COMPUTE_PGM_RSRC2:USER_SGPR: 15
; COMPUTE_PGM_RSRC2:TRAP_HANDLER: 0
; COMPUTE_PGM_RSRC2:TGID_X_EN: 1
; COMPUTE_PGM_RSRC2:TGID_Y_EN: 0
; COMPUTE_PGM_RSRC2:TGID_Z_EN: 0
; COMPUTE_PGM_RSRC2:TIDIG_COMP_CNT: 0
	.section	.text._ZN9rocsparseL18bsrxmvn_4x4_kernelILj128ELj4EfllaafEEvT3_20rocsparse_direction_NS_24const_host_device_scalarIT1_EES1_PKS1_PKT2_SA_S7_PKT4_PKT5_S5_PT6_21rocsparse_index_base_b,"axG",@progbits,_ZN9rocsparseL18bsrxmvn_4x4_kernelILj128ELj4EfllaafEEvT3_20rocsparse_direction_NS_24const_host_device_scalarIT1_EES1_PKS1_PKT2_SA_S7_PKT4_PKT5_S5_PT6_21rocsparse_index_base_b,comdat
	.globl	_ZN9rocsparseL18bsrxmvn_4x4_kernelILj128ELj4EfllaafEEvT3_20rocsparse_direction_NS_24const_host_device_scalarIT1_EES1_PKS1_PKT2_SA_S7_PKT4_PKT5_S5_PT6_21rocsparse_index_base_b ; -- Begin function _ZN9rocsparseL18bsrxmvn_4x4_kernelILj128ELj4EfllaafEEvT3_20rocsparse_direction_NS_24const_host_device_scalarIT1_EES1_PKS1_PKT2_SA_S7_PKT4_PKT5_S5_PT6_21rocsparse_index_base_b
	.p2align	8
	.type	_ZN9rocsparseL18bsrxmvn_4x4_kernelILj128ELj4EfllaafEEvT3_20rocsparse_direction_NS_24const_host_device_scalarIT1_EES1_PKS1_PKT2_SA_S7_PKT4_PKT5_S5_PT6_21rocsparse_index_base_b,@function
_ZN9rocsparseL18bsrxmvn_4x4_kernelILj128ELj4EfllaafEEvT3_20rocsparse_direction_NS_24const_host_device_scalarIT1_EES1_PKS1_PKT2_SA_S7_PKT4_PKT5_S5_PT6_21rocsparse_index_base_b: ; @_ZN9rocsparseL18bsrxmvn_4x4_kernelILj128ELj4EfllaafEEvT3_20rocsparse_direction_NS_24const_host_device_scalarIT1_EES1_PKS1_PKT2_SA_S7_PKT4_PKT5_S5_PT6_21rocsparse_index_base_b
; %bb.0:
	s_clause 0x2
	s_load_b64 s[20:21], s[0:1], 0x60
	s_load_b128 s[16:19], s[0:1], 0x10
	s_load_b64 s[12:13], s[0:1], 0x50
	s_waitcnt lgkmcnt(0)
	s_bitcmp1_b32 s21, 0
	s_cselect_b32 s2, -1, 0
	s_delay_alu instid0(SALU_CYCLE_1)
	s_and_b32 vcc_lo, exec_lo, s2
	s_xor_b32 s2, s2, -1
	s_cbranch_vccnz .LBB85_2
; %bb.1:
	s_load_b32 s16, s[16:17], 0x0
.LBB85_2:
	s_and_not1_b32 vcc_lo, exec_lo, s2
	s_cbranch_vccnz .LBB85_4
; %bb.3:
	s_load_b32 s12, s[12:13], 0x0
.LBB85_4:
	s_waitcnt lgkmcnt(0)
	v_cmp_neq_f32_e64 s2, s16, 0
	v_cmp_neq_f32_e64 s3, s12, 1.0
	s_mov_b32 s6, 0
	s_delay_alu instid0(VALU_DEP_1) | instskip(NEXT) | instid1(SALU_CYCLE_1)
	s_or_b32 s2, s2, s3
	s_and_not1_b32 vcc_lo, exec_lo, s2
	s_cbranch_vccnz .LBB85_10
; %bb.5:
	s_load_b64 s[4:5], s[0:1], 0x20
	v_lshrrev_b32_e32 v1, 2, v0
	v_mov_b32_e32 v2, 0
	s_delay_alu instid0(VALU_DEP_2)
	v_lshl_or_b32 v1, s15, 5, v1
	s_waitcnt lgkmcnt(0)
	s_cmp_lg_u64 s[4:5], 0
	s_cbranch_scc0 .LBB85_11
; %bb.6:
	s_mov_b32 s7, 0
                                        ; implicit-def: $vgpr3_vgpr4
	s_mov_b32 s2, exec_lo
	v_cmpx_gt_i64_e64 s[18:19], v[1:2]
	s_xor_b32 s8, exec_lo, s2
                                        ; implicit-def: $sgpr2_sgpr3
	s_cbranch_execz .LBB85_8
; %bb.7:
	v_lshlrev_b64 v[3:4], 3, v[1:2]
	s_mov_b32 s6, exec_lo
	s_mov_b32 s3, 0
	s_delay_alu instid0(VALU_DEP_1) | instskip(NEXT) | instid1(VALU_DEP_2)
	v_add_co_u32 v3, vcc_lo, s4, v3
	v_add_co_ci_u32_e32 v4, vcc_lo, s5, v4, vcc_lo
	global_load_b64 v[3:4], v[3:4], off
	s_waitcnt vmcnt(0)
	v_sub_co_u32 v3, vcc_lo, v3, s20
	v_subrev_co_ci_u32_e32 v4, vcc_lo, 0, v4, vcc_lo
.LBB85_8:
	s_or_b32 exec_lo, exec_lo, s8
	s_delay_alu instid0(SALU_CYCLE_1)
	s_and_b32 vcc_lo, exec_lo, s7
	s_cbranch_vccnz .LBB85_12
.LBB85_9:
	s_and_saveexec_b32 s2, s6
	s_cbranch_execnz .LBB85_15
.LBB85_10:
	s_nop 0
	s_sendmsg sendmsg(MSG_DEALLOC_VGPRS)
	s_endpgm
.LBB85_11:
                                        ; implicit-def: $vgpr3_vgpr4
                                        ; implicit-def: $sgpr2_sgpr3
	s_cbranch_execz .LBB85_9
.LBB85_12:
	s_load_b64 s[2:3], s[0:1], 0x0
	s_mov_b32 s4, exec_lo
                                        ; implicit-def: $vgpr3_vgpr4
	s_waitcnt lgkmcnt(0)
	v_cmpx_gt_i64_e64 s[2:3], v[1:2]
                                        ; implicit-def: $sgpr2_sgpr3
; %bb.13:
	v_dual_mov_b32 v4, v2 :: v_dual_mov_b32 v3, v1
	s_mov_b32 s3, 0
	s_or_b32 s6, s6, exec_lo
; %bb.14:
	s_or_b32 exec_lo, exec_lo, s4
	s_and_saveexec_b32 s2, s6
	s_cbranch_execz .LBB85_10
.LBB85_15:
	s_load_b256 s[4:11], s[0:1], 0x28
	v_lshlrev_b64 v[1:2], 3, v[3:4]
	v_mov_b32_e32 v21, 0
	s_waitcnt lgkmcnt(0)
	s_delay_alu instid0(VALU_DEP_2) | instskip(NEXT) | instid1(VALU_DEP_3)
	v_add_co_u32 v5, vcc_lo, s4, v1
	v_add_co_ci_u32_e32 v6, vcc_lo, s5, v2, vcc_lo
	v_add_co_u32 v1, vcc_lo, s6, v1
	v_add_co_ci_u32_e32 v2, vcc_lo, s7, v2, vcc_lo
	s_delay_alu instid0(VALU_DEP_4)
	v_add_co_u32 v7, vcc_lo, v5, 8
	global_load_b64 v[9:10], v[5:6], off
	v_add_co_ci_u32_e32 v8, vcc_lo, 0, v6, vcc_lo
	s_cmp_eq_u64 s[6:7], 0
	s_clause 0x1
	s_load_b32 s6, s[0:1], 0x8
	s_load_b64 s[4:5], s[0:1], 0x48
	s_cselect_b32 vcc_lo, -1, 0
	v_dual_cndmask_b32 v2, v2, v8 :: v_dual_cndmask_b32 v1, v1, v7
	global_load_b64 v[5:6], v[1:2], off
	v_and_b32_e32 v2, 3, v0
	s_waitcnt lgkmcnt(0)
	s_cmp_eq_u32 s6, 1
	s_waitcnt vmcnt(1)
	v_sub_co_u32 v0, vcc_lo, v9, s20
	v_subrev_co_ci_u32_e32 v1, vcc_lo, s3, v10, vcc_lo
	s_delay_alu instid0(VALU_DEP_2) | instskip(NEXT) | instid1(VALU_DEP_2)
	v_add_co_u32 v0, vcc_lo, v0, v2
	v_add_co_ci_u32_e32 v1, vcc_lo, 0, v1, vcc_lo
	s_delay_alu instid0(VALU_DEP_1) | instskip(SKIP_3) | instid1(VALU_DEP_3)
	v_lshlrev_b64 v[7:8], 4, v[0:1]
	s_waitcnt vmcnt(0)
	v_sub_co_u32 v5, vcc_lo, v5, s20
	v_subrev_co_ci_u32_e32 v6, vcc_lo, s3, v6, vcc_lo
	v_add_co_u32 v7, vcc_lo, s10, v7
	s_delay_alu instid0(VALU_DEP_4) | instskip(NEXT) | instid1(VALU_DEP_3)
	v_add_co_ci_u32_e32 v8, vcc_lo, s11, v8, vcc_lo
	v_cmp_lt_i64_e64 s2, v[0:1], v[5:6]
	s_cbranch_scc1 .LBB85_27
; %bb.16:
	v_dual_mov_b32 v23, 0 :: v_dual_mov_b32 v24, 0
	v_mov_b32_e32 v22, 0
	s_mov_b32 s6, 0
	s_delay_alu instid0(VALU_DEP_3)
	s_and_saveexec_b32 s7, s2
	s_cbranch_execz .LBB85_26
; %bb.17:
	v_or_b32_e32 v11, 4, v2
	v_not_b32_e32 v14, v9
	v_not_b32_e32 v13, v10
	v_mov_b32_e32 v23, 0
	v_mov_b32_e32 v21, 0
	v_sub_co_u32 v11, s10, v11, s20
	s_delay_alu instid0(VALU_DEP_1) | instskip(SKIP_1) | instid1(VALU_DEP_3)
	v_sub_co_ci_u32_e64 v12, null, 0, s3, s10
	v_sub_co_u32 v15, s10, s20, v2
	v_add_co_u32 v11, vcc_lo, v11, v9
	s_delay_alu instid0(VALU_DEP_3) | instskip(SKIP_2) | instid1(VALU_DEP_2)
	v_add_co_ci_u32_e32 v12, vcc_lo, v12, v10, vcc_lo
	v_sub_co_ci_u32_e64 v16, null, s3, 0, s10
	s_mov_b32 s10, exec_lo
	v_cmp_gt_i64_e32 vcc_lo, v[11:12], v[5:6]
	v_mov_b32_e32 v22, 0
	v_mov_b32_e32 v24, 0
	v_dual_cndmask_b32 v12, v6, v12 :: v_dual_cndmask_b32 v11, v5, v11
	v_add_co_u32 v14, vcc_lo, v15, v14
	v_add_co_ci_u32_e32 v13, vcc_lo, v16, v13, vcc_lo
	s_delay_alu instid0(VALU_DEP_2) | instskip(NEXT) | instid1(VALU_DEP_2)
	v_add_co_u32 v15, vcc_lo, v14, v11
	v_add_co_ci_u32_e32 v16, vcc_lo, v13, v12, vcc_lo
	v_mov_b32_e32 v14, v8
	s_delay_alu instid0(VALU_DEP_3) | instskip(SKIP_1) | instid1(VALU_DEP_2)
	v_lshrrev_b32_e32 v11, 2, v15
	v_mov_b32_e32 v13, v7
	v_add_nc_u32_e32 v11, 1, v11
	s_delay_alu instid0(VALU_DEP_1) | instskip(SKIP_1) | instid1(VALU_DEP_2)
	v_dual_mov_b32 v12, v1 :: v_dual_and_b32 v17, 3, v11
	v_mov_b32_e32 v11, v0
	v_cmpx_ne_u32_e32 0, v17
	s_cbranch_execz .LBB85_21
; %bb.18:
	v_lshlrev_b64 v[11:12], 3, v[0:1]
	v_dual_mov_b32 v18, 0 :: v_dual_lshlrev_b32 v17, 1, v17
	v_dual_mov_b32 v14, v8 :: v_dual_mov_b32 v13, v7
	s_mov_b32 s11, 0
	s_delay_alu instid0(VALU_DEP_3) | instskip(NEXT) | instid1(VALU_DEP_4)
	v_add_co_u32 v19, vcc_lo, s8, v11
	v_add_co_ci_u32_e32 v20, vcc_lo, s9, v12, vcc_lo
	v_dual_mov_b32 v12, v1 :: v_dual_mov_b32 v11, v0
	v_mov_b32_e32 v21, v18
	v_mov_b32_e32 v23, v18
	;; [unrolled: 1-line block ×4, first 2 shown]
.LBB85_19:                              ; =>This Inner Loop Header: Depth=1
	global_load_b64 v[29:30], v[19:20], off
	global_load_b128 v[25:28], v[13:14], off
	s_waitcnt vmcnt(1)
	v_sub_co_u32 v29, vcc_lo, v29, s20
	v_subrev_co_ci_u32_e32 v30, vcc_lo, s3, v30, vcc_lo
	s_waitcnt vmcnt(0)
	v_lshrrev_b32_e32 v32, 16, v25
	v_bfe_i32 v33, v26, 0, 8
	v_lshrrev_b32_e32 v35, 16, v26
	v_lshlrev_b64 v[29:30], 2, v[29:30]
	v_bfe_i32 v36, v27, 0, 8
	v_lshrrev_b32_e32 v37, 8, v27
	v_lshrrev_b32_e32 v38, 16, v27
	v_bfe_i32 v39, v28, 0, 8
	v_lshrrev_b32_e32 v40, 8, v28
	v_add_co_u32 v29, vcc_lo, s4, v29
	v_add_co_ci_u32_e32 v30, vcc_lo, s5, v30, vcc_lo
	v_lshrrev_b32_e32 v41, 16, v28
	v_lshrrev_b32_e32 v31, 8, v25
	;; [unrolled: 1-line block ×3, first 2 shown]
	global_load_b32 v29, v[29:30], off
	v_bfe_i32 v30, v25, 0, 8
	v_lshrrev_b32_e32 v25, 24, v25
	v_lshrrev_b32_e32 v26, 24, v26
	v_bfe_i32 v32, v32, 0, 8
	v_bfe_i32 v35, v35, 0, 8
	;; [unrolled: 1-line block ×10, first 2 shown]
	v_lshrrev_b32_e32 v27, 24, v27
	v_lshrrev_b32_e32 v28, 24, v28
	v_bfe_i32 v31, v31, 0, 8
	v_bfe_i32 v25, v25, 0, 8
	;; [unrolled: 1-line block ×4, first 2 shown]
	v_cvt_f32_i32_e32 v30, v30
	v_bfe_i32 v32, v32, 0, 16
	v_cvt_f32_i32_e32 v33, v33
	v_bfe_i32 v35, v35, 0, 16
	;; [unrolled: 2-line block ×3, first 2 shown]
	v_bfe_i32 v38, v38, 0, 16
	v_cvt_f32_i32_e32 v39, v39
	v_bfe_i32 v40, v40, 0, 16
	v_bfe_i32 v41, v41, 0, 16
	;; [unrolled: 1-line block ×8, first 2 shown]
	v_cvt_f32_i32_e32 v32, v32
	v_cvt_f32_i32_e32 v35, v35
	;; [unrolled: 1-line block ×6, first 2 shown]
	v_add_co_u32 v13, vcc_lo, v13, 64
	v_add_co_ci_u32_e32 v14, vcc_lo, 0, v14, vcc_lo
	v_add_co_u32 v11, vcc_lo, v11, 4
	v_bfe_i32 v27, v27, 0, 16
	v_bfe_i32 v28, v28, 0, 16
	v_cvt_f32_i32_e32 v31, v31
	v_cvt_f32_i32_e32 v25, v25
	v_cvt_f32_i32_e32 v34, v34
	v_cvt_f32_i32_e32 v26, v26
	v_add_co_ci_u32_e32 v12, vcc_lo, 0, v12, vcc_lo
	v_add_co_u32 v19, vcc_lo, v19, 32
	v_add_co_ci_u32_e32 v20, vcc_lo, 0, v20, vcc_lo
	v_add_co_u32 v17, vcc_lo, v17, -2
	v_cvt_f32_i32_e32 v27, v27
	v_cvt_f32_i32_e32 v28, v28
	v_add_co_ci_u32_e32 v18, vcc_lo, -1, v18, vcc_lo
	s_delay_alu instid0(VALU_DEP_1)
	v_cmp_eq_u64_e32 vcc_lo, 0, v[17:18]
	s_or_b32 s11, vcc_lo, s11
	s_waitcnt vmcnt(0)
	v_bfe_i32 v42, v29, 0, 8
	v_lshrrev_b32_e32 v43, 8, v29
	v_lshrrev_b32_e32 v44, 16, v29
	;; [unrolled: 1-line block ×3, first 2 shown]
	s_delay_alu instid0(VALU_DEP_4) | instskip(NEXT) | instid1(VALU_DEP_4)
	v_bfe_i32 v42, v42, 0, 16
	v_bfe_i32 v43, v43, 0, 8
	s_delay_alu instid0(VALU_DEP_4) | instskip(NEXT) | instid1(VALU_DEP_4)
	v_bfe_i32 v44, v44, 0, 8
	v_bfe_i32 v29, v29, 0, 8
	s_delay_alu instid0(VALU_DEP_4) | instskip(NEXT) | instid1(VALU_DEP_4)
	v_cvt_f32_i32_e32 v42, v42
	v_bfe_i32 v43, v43, 0, 16
	s_delay_alu instid0(VALU_DEP_4) | instskip(NEXT) | instid1(VALU_DEP_4)
	v_bfe_i32 v44, v44, 0, 16
	v_bfe_i32 v29, v29, 0, 16
	s_delay_alu instid0(VALU_DEP_4) | instskip(NEXT) | instid1(VALU_DEP_3)
	v_fmac_f32_e32 v24, v33, v42
	v_cvt_f32_i32_e32 v33, v44
	v_fmac_f32_e32 v22, v30, v42
	v_cvt_f32_i32_e32 v30, v43
	v_fmac_f32_e32 v23, v36, v42
	v_fmac_f32_e32 v21, v39, v42
	v_cvt_f32_i32_e32 v29, v29
	s_delay_alu instid0(VALU_DEP_3) | instskip(NEXT) | instid1(VALU_DEP_3)
	v_fmac_f32_e32 v23, v37, v30
	v_fmac_f32_e32 v21, v40, v30
	s_delay_alu instid0(VALU_DEP_2) | instskip(NEXT) | instid1(VALU_DEP_2)
	v_fmac_f32_e32 v23, v38, v33
	v_dual_fmac_f32 v24, v34, v30 :: v_dual_fmac_f32 v21, v41, v33
	v_fmac_f32_e32 v22, v31, v30
	s_delay_alu instid0(VALU_DEP_3) | instskip(NEXT) | instid1(VALU_DEP_3)
	v_fmac_f32_e32 v23, v27, v29
	v_fmac_f32_e32 v24, v35, v33
	s_delay_alu instid0(VALU_DEP_4) | instskip(NEXT) | instid1(VALU_DEP_4)
	v_fmac_f32_e32 v21, v28, v29
	v_fmac_f32_e32 v22, v32, v33
	s_delay_alu instid0(VALU_DEP_3) | instskip(NEXT) | instid1(VALU_DEP_2)
	v_fmac_f32_e32 v24, v26, v29
	v_fmac_f32_e32 v22, v25, v29
	s_and_not1_b32 exec_lo, exec_lo, s11
	s_cbranch_execnz .LBB85_19
; %bb.20:
	s_or_b32 exec_lo, exec_lo, s11
.LBB85_21:
	s_delay_alu instid0(SALU_CYCLE_1) | instskip(NEXT) | instid1(SALU_CYCLE_1)
	s_or_b32 exec_lo, exec_lo, s10
	s_mov_b32 s10, exec_lo
	v_cmpx_lt_u64_e32 11, v[15:16]
	s_cbranch_execz .LBB85_25
; %bb.22:
	v_lshlrev_b64 v[15:16], 3, v[11:12]
	s_mov_b32 s11, 0
	s_delay_alu instid0(VALU_DEP_1) | instskip(NEXT) | instid1(VALU_DEP_2)
	v_add_co_u32 v15, vcc_lo, v15, s8
	v_add_co_ci_u32_e32 v16, vcc_lo, s9, v16, vcc_lo
	s_delay_alu instid0(VALU_DEP_2) | instskip(NEXT) | instid1(VALU_DEP_2)
	v_add_co_u32 v15, vcc_lo, v15, 64
	v_add_co_ci_u32_e32 v16, vcc_lo, 0, v16, vcc_lo
.LBB85_23:                              ; =>This Inner Loop Header: Depth=1
	s_clause 0x3
	global_load_b64 v[37:38], v[15:16], off offset:-64
	global_load_b64 v[39:40], v[15:16], off offset:-32
	global_load_b64 v[41:42], v[15:16], off
	global_load_b64 v[43:44], v[15:16], off offset:32
	s_clause 0x3
	global_load_b128 v[17:20], v[13:14], off
	global_load_b128 v[25:28], v[13:14], off offset:64
	global_load_b128 v[29:32], v[13:14], off offset:128
	;; [unrolled: 1-line block ×3, first 2 shown]
	v_add_co_u32 v13, vcc_lo, 0x100, v13
	v_add_co_ci_u32_e32 v14, vcc_lo, 0, v14, vcc_lo
	v_add_co_u32 v11, vcc_lo, v11, 16
	v_add_co_ci_u32_e32 v12, vcc_lo, 0, v12, vcc_lo
	;; [unrolled: 2-line block ×3, first 2 shown]
	s_waitcnt vmcnt(7)
	v_sub_co_u32 v37, vcc_lo, v37, s20
	v_subrev_co_ci_u32_e32 v38, vcc_lo, s3, v38, vcc_lo
	s_waitcnt vmcnt(3)
	v_bfe_i32 v45, v17, 0, 8
	v_lshrrev_b32_e32 v46, 8, v17
	v_lshrrev_b32_e32 v47, 16, v17
	;; [unrolled: 1-line block ×3, first 2 shown]
	v_sub_co_u32 v17, vcc_lo, v39, s20
	v_bfe_i32 v49, v18, 0, 8
	v_lshrrev_b32_e32 v50, 8, v18
	v_lshrrev_b32_e32 v51, 16, v18
	;; [unrolled: 1-line block ×3, first 2 shown]
	v_subrev_co_ci_u32_e32 v18, vcc_lo, s3, v40, vcc_lo
	v_sub_co_u32 v39, vcc_lo, v41, s20
	v_lshlrev_b64 v[37:38], 2, v[37:38]
	v_subrev_co_ci_u32_e32 v40, vcc_lo, s3, v42, vcc_lo
	v_sub_co_u32 v41, vcc_lo, v43, s20
	v_lshlrev_b64 v[17:18], 2, v[17:18]
	v_subrev_co_ci_u32_e32 v42, vcc_lo, s3, v44, vcc_lo
	s_delay_alu instid0(VALU_DEP_4) | instskip(SKIP_2) | instid1(VALU_DEP_4)
	v_lshlrev_b64 v[39:40], 2, v[39:40]
	v_add_co_u32 v37, vcc_lo, s4, v37
	v_add_co_ci_u32_e32 v38, vcc_lo, s5, v38, vcc_lo
	v_lshlrev_b64 v[41:42], 2, v[41:42]
	v_add_co_u32 v17, vcc_lo, s4, v17
	v_add_co_ci_u32_e32 v18, vcc_lo, s5, v18, vcc_lo
	v_add_co_u32 v39, vcc_lo, s4, v39
	v_add_co_ci_u32_e32 v40, vcc_lo, s5, v40, vcc_lo
	;; [unrolled: 2-line block ×3, first 2 shown]
	s_clause 0x3
	global_load_b32 v37, v[37:38], off
	global_load_b32 v17, v[17:18], off
	global_load_b32 v18, v[39:40], off
	global_load_b32 v38, v[41:42], off
	v_bfe_i32 v53, v19, 0, 8
	v_lshrrev_b32_e32 v54, 8, v19
	v_lshrrev_b32_e32 v55, 16, v19
	v_bfe_i32 v46, v46, 0, 8
	v_bfe_i32 v45, v45, 0, 16
	;; [unrolled: 1-line block ×4, first 2 shown]
	v_lshrrev_b32_e32 v19, 24, v19
	v_bfe_i32 v55, v55, 0, 8
	v_bfe_i32 v49, v49, 0, 16
	v_cvt_f32_i32_e32 v45, v45
	v_bfe_i32 v46, v46, 0, 16
	v_cvt_f32_i32_e32 v53, v53
	v_bfe_i32 v54, v54, 0, 16
	s_waitcnt vmcnt(6)
	v_lshrrev_b32_e32 v41, 16, v25
	v_bfe_i32 v19, v19, 0, 8
	v_cvt_f32_i32_e32 v49, v49
	v_bfe_i32 v55, v55, 0, 16
	v_cvt_f32_i32_e32 v46, v46
	v_cvt_f32_i32_e32 v54, v54
	v_lshrrev_b32_e32 v44, 16, v26
	v_bfe_i32 v59, v27, 0, 8
	v_lshrrev_b32_e32 v60, 8, v27
	v_bfe_i32 v47, v47, 0, 8
	v_bfe_i32 v41, v41, 0, 8
	;; [unrolled: 1-line block ×3, first 2 shown]
	v_cvt_f32_i32_e32 v55, v55
	v_bfe_i32 v56, v20, 0, 8
	v_lshrrev_b32_e32 v57, 8, v20
	v_lshrrev_b32_e32 v63, 8, v28
	v_bfe_i32 v48, v48, 0, 8
	v_bfe_i32 v44, v44, 0, 8
	;; [unrolled: 1-line block ×6, first 2 shown]
	v_cvt_f32_i32_e32 v19, v19
	v_lshrrev_b32_e32 v58, 16, v20
	v_bfe_i32 v39, v25, 0, 8
	v_lshrrev_b32_e32 v40, 8, v25
	v_lshrrev_b32_e32 v64, 16, v28
	v_bfe_i32 v50, v50, 0, 8
	v_bfe_i32 v57, v57, 0, 8
	;; [unrolled: 1-line block ×6, first 2 shown]
	v_cvt_f32_i32_e32 v59, v59
	v_bfe_i32 v60, v60, 0, 16
	v_cvt_f32_i32_e32 v47, v47
	v_cvt_f32_i32_e32 v41, v41
	v_lshrrev_b32_e32 v20, 24, v20
	v_lshrrev_b32_e32 v43, 8, v26
	v_bfe_i32 v58, v58, 0, 8
	v_bfe_i32 v40, v40, 0, 8
	;; [unrolled: 1-line block ×5, first 2 shown]
	v_cvt_f32_i32_e32 v56, v56
	v_bfe_i32 v57, v57, 0, 16
	v_bfe_i32 v63, v63, 0, 16
	v_cvt_f32_i32_e32 v48, v48
	v_cvt_f32_i32_e32 v44, v44
	;; [unrolled: 1-line block ×3, first 2 shown]
	v_lshrrev_b32_e32 v61, 16, v27
	v_bfe_i32 v20, v20, 0, 8
	v_bfe_i32 v43, v43, 0, 8
	;; [unrolled: 1-line block ×3, first 2 shown]
	v_cvt_f32_i32_e32 v39, v39
	v_bfe_i32 v40, v40, 0, 16
	v_bfe_i32 v64, v64, 0, 16
	v_cvt_f32_i32_e32 v50, v50
	v_cvt_f32_i32_e32 v57, v57
	;; [unrolled: 1-line block ×3, first 2 shown]
	v_lshrrev_b32_e32 v27, 24, v27
	s_waitcnt vmcnt(5)
	v_bfe_i32 v65, v29, 0, 8
	v_bfe_i32 v51, v51, 0, 8
	;; [unrolled: 1-line block ×5, first 2 shown]
	v_cvt_f32_i32_e32 v58, v58
	v_cvt_f32_i32_e32 v40, v40
	;; [unrolled: 1-line block ×3, first 2 shown]
	v_lshrrev_b32_e32 v70, 16, v30
	v_bfe_i32 v52, v52, 0, 8
	v_bfe_i32 v27, v27, 0, 8
	;; [unrolled: 1-line block ×5, first 2 shown]
	v_cvt_f32_i32_e32 v20, v20
	v_cvt_f32_i32_e32 v43, v43
	v_bfe_i32 v42, v26, 0, 8
	v_bfe_i32 v71, v31, 0, 8
	v_lshrrev_b32_e32 v73, 16, v31
	v_bfe_i32 v70, v70, 0, 8
	v_bfe_i32 v52, v52, 0, 16
	;; [unrolled: 1-line block ×3, first 2 shown]
	v_cvt_f32_i32_e32 v65, v65
	v_cvt_f32_i32_e32 v51, v51
	;; [unrolled: 1-line block ×3, first 2 shown]
	v_lshrrev_b32_e32 v25, 24, v25
	v_bfe_i32 v42, v42, 0, 16
	v_bfe_i32 v73, v73, 0, 8
	;; [unrolled: 1-line block ×4, first 2 shown]
	v_cvt_f32_i32_e32 v52, v52
	v_cvt_f32_i32_e32 v27, v27
	v_lshrrev_b32_e32 v26, 24, v26
	v_bfe_i32 v25, v25, 0, 8
	v_cvt_f32_i32_e32 v42, v42
	v_cvt_f32_i32_e32 v71, v71
	v_bfe_i32 v73, v73, 0, 16
	v_cvt_f32_i32_e32 v70, v70
	v_bfe_i32 v62, v28, 0, 8
	v_bfe_i32 v74, v32, 0, 8
	v_lshrrev_b32_e32 v76, 16, v32
	v_bfe_i32 v26, v26, 0, 8
	v_bfe_i32 v25, v25, 0, 16
	v_cvt_f32_i32_e32 v73, v73
	v_bfe_i32 v68, v30, 0, 8
	v_bfe_i32 v62, v62, 0, 16
	;; [unrolled: 1-line block ×5, first 2 shown]
	v_cvt_f32_i32_e32 v25, v25
	v_lshrrev_b32_e32 v28, 24, v28
	v_bfe_i32 v68, v68, 0, 16
	v_cvt_f32_i32_e32 v62, v62
	v_cvt_f32_i32_e32 v74, v74
	v_bfe_i32 v76, v76, 0, 16
	v_cvt_f32_i32_e32 v26, v26
	v_lshrrev_b32_e32 v66, 8, v29
	v_lshrrev_b32_e32 v67, 16, v29
	v_bfe_i32 v28, v28, 0, 8
	v_cvt_f32_i32_e32 v68, v68
	v_cvt_f32_i32_e32 v76, v76
	v_bfe_i32 v66, v66, 0, 8
	v_bfe_i32 v67, v67, 0, 8
	;; [unrolled: 1-line block ×3, first 2 shown]
	v_lshrrev_b32_e32 v69, 8, v30
	v_lshrrev_b32_e32 v72, 8, v31
	;; [unrolled: 1-line block ×3, first 2 shown]
	s_waitcnt vmcnt(4)
	v_bfe_i32 v83, v35, 0, 8
	v_bfe_i32 v66, v66, 0, 16
	;; [unrolled: 1-line block ×3, first 2 shown]
	v_cvt_f32_i32_e32 v28, v28
	v_lshrrev_b32_e32 v29, 24, v29
	v_bfe_i32 v69, v69, 0, 8
	v_bfe_i32 v72, v72, 0, 8
	;; [unrolled: 1-line block ×4, first 2 shown]
	v_cvt_f32_i32_e32 v66, v66
	v_cvt_f32_i32_e32 v67, v67
	v_lshrrev_b32_e32 v32, 24, v32
	v_bfe_i32 v77, v33, 0, 8
	v_bfe_i32 v80, v34, 0, 8
	;; [unrolled: 1-line block ×3, first 2 shown]
	v_lshrrev_b32_e32 v88, 16, v36
	v_bfe_i32 v29, v29, 0, 8
	v_bfe_i32 v69, v69, 0, 16
	;; [unrolled: 1-line block ×4, first 2 shown]
	v_cvt_f32_i32_e32 v83, v83
	v_lshrrev_b32_e32 v31, 24, v31
	v_lshrrev_b32_e32 v79, 16, v33
	v_bfe_i32 v32, v32, 0, 8
	v_bfe_i32 v88, v88, 0, 8
	;; [unrolled: 1-line block ×6, first 2 shown]
	v_cvt_f32_i32_e32 v69, v69
	v_cvt_f32_i32_e32 v72, v72
	;; [unrolled: 1-line block ×3, first 2 shown]
	v_lshrrev_b32_e32 v30, 24, v30
	v_lshrrev_b32_e32 v82, 16, v34
	v_bfe_i32 v31, v31, 0, 8
	v_bfe_i32 v79, v79, 0, 8
	;; [unrolled: 1-line block ×3, first 2 shown]
	v_cvt_f32_i32_e32 v77, v77
	v_cvt_f32_i32_e32 v80, v80
	;; [unrolled: 1-line block ×3, first 2 shown]
	v_bfe_i32 v88, v88, 0, 16
	v_cvt_f32_i32_e32 v29, v29
	v_lshrrev_b32_e32 v84, 8, v35
	v_lshrrev_b32_e32 v85, 16, v35
	v_bfe_i32 v30, v30, 0, 8
	v_bfe_i32 v82, v82, 0, 8
	;; [unrolled: 1-line block ×4, first 2 shown]
	v_cvt_f32_i32_e32 v32, v32
	v_cvt_f32_i32_e32 v88, v88
	v_bfe_i32 v84, v84, 0, 8
	v_bfe_i32 v85, v85, 0, 8
	;; [unrolled: 1-line block ×4, first 2 shown]
	v_cvt_f32_i32_e32 v31, v31
	v_cvt_f32_i32_e32 v79, v79
	v_lshrrev_b32_e32 v78, 8, v33
	v_lshrrev_b32_e32 v81, 8, v34
	;; [unrolled: 1-line block ×3, first 2 shown]
	v_bfe_i32 v84, v84, 0, 16
	v_bfe_i32 v85, v85, 0, 16
	v_cvt_f32_i32_e32 v30, v30
	v_cvt_f32_i32_e32 v82, v82
	v_bfe_i32 v78, v78, 0, 8
	v_bfe_i32 v81, v81, 0, 8
	;; [unrolled: 1-line block ×3, first 2 shown]
	v_cvt_f32_i32_e32 v84, v84
	v_cvt_f32_i32_e32 v85, v85
	v_lshrrev_b32_e32 v33, 24, v33
	v_lshrrev_b32_e32 v34, 24, v34
	;; [unrolled: 1-line block ×4, first 2 shown]
	v_bfe_i32 v78, v78, 0, 16
	v_bfe_i32 v81, v81, 0, 16
	;; [unrolled: 1-line block ×7, first 2 shown]
	v_cvt_f32_i32_e32 v78, v78
	v_cvt_f32_i32_e32 v81, v81
	;; [unrolled: 1-line block ×3, first 2 shown]
	v_bfe_i32 v33, v33, 0, 16
	v_bfe_i32 v34, v34, 0, 16
	;; [unrolled: 1-line block ×4, first 2 shown]
	v_cmp_ge_i64_e32 vcc_lo, v[11:12], v[5:6]
	v_cvt_f32_i32_e32 v33, v33
	v_cvt_f32_i32_e32 v34, v34
	v_cvt_f32_i32_e32 v35, v35
	v_cvt_f32_i32_e32 v36, v36
	s_or_b32 s11, vcc_lo, s11
	s_waitcnt vmcnt(3)
	v_bfe_i32 v90, v37, 0, 8
	v_lshrrev_b32_e32 v91, 8, v37
	v_lshrrev_b32_e32 v89, 16, v37
	;; [unrolled: 1-line block ×3, first 2 shown]
	s_waitcnt vmcnt(2)
	v_bfe_i32 v93, v17, 0, 8
	v_bfe_i32 v90, v90, 0, 16
	;; [unrolled: 1-line block ×5, first 2 shown]
	v_lshrrev_b32_e32 v94, 8, v17
	v_cvt_f32_i32_e32 v90, v90
	v_bfe_i32 v91, v91, 0, 16
	v_bfe_i32 v89, v89, 0, 16
	;; [unrolled: 1-line block ×4, first 2 shown]
	v_fmac_f32_e32 v23, v53, v90
	v_fmac_f32_e32 v22, v45, v90
	v_cvt_f32_i32_e32 v45, v91
	v_bfe_i32 v93, v93, 0, 16
	v_cvt_f32_i32_e32 v37, v37
	v_bfe_i32 v94, v94, 0, 16
	v_lshrrev_b32_e32 v92, 16, v17
	v_dual_fmac_f32 v23, v54, v45 :: v_dual_fmac_f32 v24, v49, v90
	v_cvt_f32_i32_e32 v49, v89
	v_cvt_f32_i32_e32 v93, v93
	v_fmac_f32_e32 v22, v46, v45
	v_lshrrev_b32_e32 v17, 24, v17
	s_waitcnt vmcnt(1)
	v_bfe_i32 v96, v18, 0, 8
	v_fmac_f32_e32 v23, v55, v49
	v_dual_fmac_f32 v21, v56, v90 :: v_dual_fmac_f32 v24, v50, v45
	v_bfe_i32 v92, v92, 0, 8
	v_bfe_i32 v17, v17, 0, 8
	s_delay_alu instid0(VALU_DEP_4)
	v_fmac_f32_e32 v23, v19, v37
	v_cvt_f32_i32_e32 v19, v94
	v_bfe_i32 v96, v96, 0, 16
	v_bfe_i32 v92, v92, 0, 16
	;; [unrolled: 1-line block ×3, first 2 shown]
	v_fmac_f32_e32 v23, v59, v93
	v_fmac_f32_e32 v22, v47, v49
	v_cvt_f32_i32_e32 v96, v96
	v_lshrrev_b32_e32 v95, 16, v18
	v_cvt_f32_i32_e32 v17, v17
	v_fmac_f32_e32 v23, v60, v19
	v_fmac_f32_e32 v22, v48, v37
	v_lshrrev_b32_e32 v97, 8, v18
	v_bfe_i32 v95, v95, 0, 8
	s_waitcnt vmcnt(0)
	v_bfe_i32 v99, v38, 0, 8
	v_lshrrev_b32_e32 v18, 24, v18
	v_fmac_f32_e32 v22, v39, v93
	v_fmac_f32_e32 v21, v57, v45
	v_bfe_i32 v97, v97, 0, 8
	v_bfe_i32 v95, v95, 0, 16
	;; [unrolled: 1-line block ×3, first 2 shown]
	s_delay_alu instid0(VALU_DEP_4) | instskip(NEXT) | instid1(VALU_DEP_4)
	v_dual_fmac_f32 v22, v40, v19 :: v_dual_fmac_f32 v21, v58, v49
	v_bfe_i32 v97, v97, 0, 16
	v_lshrrev_b32_e32 v98, 16, v38
	v_bfe_i32 v18, v18, 0, 8
	v_cvt_f32_i32_e32 v99, v99
	v_fmac_f32_e32 v21, v20, v37
	v_cvt_f32_i32_e32 v20, v92
	v_fmac_f32_e32 v24, v51, v49
	v_bfe_i32 v98, v98, 0, 8
	v_bfe_i32 v18, v18, 0, 16
	v_lshrrev_b32_e32 v100, 8, v38
	v_fmac_f32_e32 v23, v61, v20
	v_fmac_f32_e32 v22, v41, v20
	v_lshrrev_b32_e32 v38, 24, v38
	s_delay_alu instid0(VALU_DEP_4) | instskip(NEXT) | instid1(VALU_DEP_4)
	v_bfe_i32 v100, v100, 0, 8
	v_fmac_f32_e32 v23, v27, v17
	v_fmac_f32_e32 v24, v52, v37
	;; [unrolled: 1-line block ×3, first 2 shown]
	v_bfe_i32 v38, v38, 0, 8
	v_bfe_i32 v45, v100, 0, 16
	s_delay_alu instid0(VALU_DEP_4) | instskip(NEXT) | instid1(VALU_DEP_4)
	v_dual_fmac_f32 v23, v71, v96 :: v_dual_fmac_f32 v24, v42, v93
	v_fmac_f32_e32 v22, v65, v96
	s_delay_alu instid0(VALU_DEP_2) | instskip(NEXT) | instid1(VALU_DEP_1)
	v_fmac_f32_e32 v24, v43, v19
	v_fmac_f32_e32 v24, v44, v20
	s_delay_alu instid0(VALU_DEP_1) | instskip(NEXT) | instid1(VALU_DEP_1)
	v_fmac_f32_e32 v24, v26, v17
	v_dual_fmac_f32 v21, v62, v93 :: v_dual_fmac_f32 v24, v68, v96
	s_delay_alu instid0(VALU_DEP_1) | instskip(SKIP_1) | instid1(VALU_DEP_2)
	v_fmac_f32_e32 v21, v63, v19
	v_bfe_i32 v19, v98, 0, 16
	v_fmac_f32_e32 v21, v64, v20
	v_cvt_f32_i32_e32 v20, v95
	s_delay_alu instid0(VALU_DEP_3) | instskip(NEXT) | instid1(VALU_DEP_3)
	v_cvt_f32_i32_e32 v19, v19
	v_fmac_f32_e32 v21, v28, v17
	v_cvt_f32_i32_e32 v17, v97
	s_delay_alu instid0(VALU_DEP_1) | instskip(SKIP_1) | instid1(VALU_DEP_2)
	v_fmac_f32_e32 v22, v66, v17
	v_fmac_f32_e32 v24, v69, v17
	v_dual_fmac_f32 v23, v72, v17 :: v_dual_fmac_f32 v22, v67, v20
	v_fmac_f32_e32 v21, v74, v96
	s_delay_alu instid0(VALU_DEP_1) | instskip(SKIP_2) | instid1(VALU_DEP_2)
	v_fmac_f32_e32 v21, v75, v17
	v_cvt_f32_i32_e32 v17, v18
	v_bfe_i32 v18, v38, 0, 16
	v_dual_fmac_f32 v21, v76, v20 :: v_dual_fmac_f32 v22, v29, v17
	s_delay_alu instid0(VALU_DEP_1) | instskip(SKIP_1) | instid1(VALU_DEP_2)
	v_dual_fmac_f32 v21, v32, v17 :: v_dual_fmac_f32 v22, v77, v99
	v_fmac_f32_e32 v23, v73, v20
	v_fmac_f32_e32 v21, v86, v99
	s_delay_alu instid0(VALU_DEP_2) | instskip(NEXT) | instid1(VALU_DEP_1)
	v_dual_fmac_f32 v24, v70, v20 :: v_dual_fmac_f32 v23, v31, v17
	v_fmac_f32_e32 v24, v30, v17
	v_cvt_f32_i32_e32 v17, v45
	s_delay_alu instid0(VALU_DEP_1) | instskip(NEXT) | instid1(VALU_DEP_1)
	v_dual_fmac_f32 v23, v83, v99 :: v_dual_fmac_f32 v22, v78, v17
	v_fmac_f32_e32 v23, v84, v17
	v_fmac_f32_e32 v21, v87, v17
	s_delay_alu instid0(VALU_DEP_3) | instskip(NEXT) | instid1(VALU_DEP_3)
	v_fmac_f32_e32 v22, v79, v19
	v_fmac_f32_e32 v23, v85, v19
	;; [unrolled: 1-line block ×3, first 2 shown]
	s_delay_alu instid0(VALU_DEP_1) | instskip(SKIP_1) | instid1(VALU_DEP_2)
	v_dual_fmac_f32 v21, v88, v19 :: v_dual_fmac_f32 v24, v81, v17
	v_cvt_f32_i32_e32 v17, v18
	v_fmac_f32_e32 v24, v82, v19
	s_delay_alu instid0(VALU_DEP_2) | instskip(SKIP_2) | instid1(VALU_DEP_4)
	v_fmac_f32_e32 v22, v33, v17
	v_fmac_f32_e32 v23, v35, v17
	;; [unrolled: 1-line block ×4, first 2 shown]
	s_and_not1_b32 exec_lo, exec_lo, s11
	s_cbranch_execnz .LBB85_23
; %bb.24:
	s_or_b32 exec_lo, exec_lo, s11
.LBB85_25:
	s_delay_alu instid0(SALU_CYCLE_1)
	s_or_b32 exec_lo, exec_lo, s10
.LBB85_26:
	s_delay_alu instid0(SALU_CYCLE_1) | instskip(NEXT) | instid1(SALU_CYCLE_1)
	s_or_b32 exec_lo, exec_lo, s7
	s_and_not1_b32 vcc_lo, exec_lo, s6
	s_cbranch_vccz .LBB85_28
	s_branch .LBB85_39
.LBB85_27:
                                        ; implicit-def: $vgpr21
                                        ; implicit-def: $vgpr23
                                        ; implicit-def: $vgpr24
                                        ; implicit-def: $vgpr22
.LBB85_28:
	v_dual_mov_b32 v21, 0 :: v_dual_mov_b32 v24, 0
	v_dual_mov_b32 v23, 0 :: v_dual_mov_b32 v22, 0
	s_delay_alu instid0(VALU_DEP_3)
	s_and_saveexec_b32 s6, s2
	s_cbranch_execz .LBB85_38
; %bb.29:
	v_or_b32_e32 v11, 4, v2
	v_mov_b32_e32 v23, 0
	v_dual_mov_b32 v21, 0 :: v_dual_mov_b32 v22, 0
	v_mov_b32_e32 v24, 0
	s_delay_alu instid0(VALU_DEP_4) | instskip(NEXT) | instid1(VALU_DEP_1)
	v_sub_co_u32 v11, s2, v11, s20
	v_sub_co_ci_u32_e64 v12, null, 0, s3, s2
	v_sub_co_u32 v13, s2, s20, v2
	s_delay_alu instid0(VALU_DEP_3) | instskip(NEXT) | instid1(VALU_DEP_3)
	v_add_co_u32 v11, vcc_lo, v11, v9
	v_add_co_ci_u32_e32 v12, vcc_lo, v12, v10, vcc_lo
	v_not_b32_e32 v9, v9
	v_not_b32_e32 v10, v10
	v_sub_co_ci_u32_e64 v14, null, s3, 0, s2
	s_delay_alu instid0(VALU_DEP_4) | instskip(SKIP_4) | instid1(VALU_DEP_2)
	v_cmp_gt_i64_e32 vcc_lo, v[11:12], v[5:6]
	s_mov_b32 s2, exec_lo
	v_dual_cndmask_b32 v12, v6, v12 :: v_dual_cndmask_b32 v11, v5, v11
	v_add_co_u32 v9, vcc_lo, v13, v9
	v_add_co_ci_u32_e32 v10, vcc_lo, v14, v10, vcc_lo
	v_add_co_u32 v9, vcc_lo, v9, v11
	s_delay_alu instid0(VALU_DEP_2) | instskip(NEXT) | instid1(VALU_DEP_2)
	v_add_co_ci_u32_e32 v10, vcc_lo, v10, v12, vcc_lo
	v_lshrrev_b32_e32 v11, 2, v9
	s_delay_alu instid0(VALU_DEP_1) | instskip(NEXT) | instid1(VALU_DEP_1)
	v_add_nc_u32_e32 v11, 1, v11
	v_and_b32_e32 v11, 3, v11
	s_delay_alu instid0(VALU_DEP_1)
	v_cmpx_ne_u32_e32 0, v11
	s_cbranch_execz .LBB85_33
; %bb.30:
	v_lshlrev_b64 v[13:14], 3, v[0:1]
	v_dual_mov_b32 v12, 0 :: v_dual_lshlrev_b32 v11, 1, v11
	s_mov_b32 s7, 0
	s_delay_alu instid0(VALU_DEP_1) | instskip(NEXT) | instid1(VALU_DEP_3)
	v_mov_b32_e32 v21, v12
	v_add_co_u32 v13, vcc_lo, s8, v13
	s_delay_alu instid0(VALU_DEP_4)
	v_add_co_ci_u32_e32 v14, vcc_lo, s9, v14, vcc_lo
	v_mov_b32_e32 v23, v12
	v_mov_b32_e32 v24, v12
	;; [unrolled: 1-line block ×3, first 2 shown]
.LBB85_31:                              ; =>This Inner Loop Header: Depth=1
	global_load_b64 v[19:20], v[13:14], off
	global_load_b128 v[15:18], v[7:8], off
	s_waitcnt vmcnt(1)
	v_sub_co_u32 v19, vcc_lo, v19, s20
	v_subrev_co_ci_u32_e32 v20, vcc_lo, s3, v20, vcc_lo
	s_waitcnt vmcnt(0)
	v_lshrrev_b32_e32 v25, 8, v15
	v_lshrrev_b32_e32 v26, 16, v15
	v_bfe_i32 v27, v16, 0, 8
	v_lshlrev_b64 v[19:20], 2, v[19:20]
	v_lshrrev_b32_e32 v28, 8, v16
	v_lshrrev_b32_e32 v29, 16, v16
	;; [unrolled: 1-line block ×3, first 2 shown]
	v_bfe_i32 v30, v17, 0, 8
	v_lshrrev_b32_e32 v31, 8, v17
	v_add_co_u32 v19, vcc_lo, s4, v19
	v_add_co_ci_u32_e32 v20, vcc_lo, s5, v20, vcc_lo
	v_lshrrev_b32_e32 v32, 16, v17
	v_lshrrev_b32_e32 v17, 24, v17
	v_bfe_i32 v26, v26, 0, 8
	global_load_b32 v19, v[19:20], off
	v_bfe_i32 v20, v15, 0, 8
	v_lshrrev_b32_e32 v15, 24, v15
	v_bfe_i32 v25, v25, 0, 8
	v_bfe_i32 v29, v29, 0, 8
	;; [unrolled: 1-line block ×12, first 2 shown]
	v_cvt_f32_i32_e32 v20, v20
	v_bfe_i32 v25, v25, 0, 16
	v_bfe_i32 v29, v29, 0, 16
	;; [unrolled: 1-line block ×5, first 2 shown]
	v_cvt_f32_i32_e32 v26, v26
	v_cvt_f32_i32_e32 v15, v15
	v_bfe_i32 v33, v18, 0, 8
	v_lshrrev_b32_e32 v34, 8, v18
	v_lshrrev_b32_e32 v35, 16, v18
	;; [unrolled: 1-line block ×3, first 2 shown]
	v_bfe_i32 v27, v27, 0, 16
	v_bfe_i32 v28, v28, 0, 16
	v_cvt_f32_i32_e32 v30, v30
	v_bfe_i32 v32, v32, 0, 16
	v_cvt_f32_i32_e32 v25, v25
	v_cvt_f32_i32_e32 v29, v29
	;; [unrolled: 1-line block ×5, first 2 shown]
	v_add_co_u32 v7, vcc_lo, v7, 64
	v_add_co_ci_u32_e32 v8, vcc_lo, 0, v8, vcc_lo
	v_add_co_u32 v0, vcc_lo, v0, 4
	v_bfe_i32 v34, v34, 0, 8
	v_bfe_i32 v35, v35, 0, 8
	;; [unrolled: 1-line block ×3, first 2 shown]
	v_cvt_f32_i32_e32 v27, v27
	v_cvt_f32_i32_e32 v28, v28
	;; [unrolled: 1-line block ×3, first 2 shown]
	v_add_co_ci_u32_e32 v1, vcc_lo, 0, v1, vcc_lo
	v_add_co_u32 v13, vcc_lo, v13, 32
	v_add_co_ci_u32_e32 v14, vcc_lo, 0, v14, vcc_lo
	v_add_co_u32 v11, vcc_lo, v11, -2
	v_bfe_i32 v33, v33, 0, 16
	v_bfe_i32 v34, v34, 0, 16
	v_bfe_i32 v35, v35, 0, 16
	v_bfe_i32 v18, v18, 0, 16
	v_add_co_ci_u32_e32 v12, vcc_lo, -1, v12, vcc_lo
	v_cvt_f32_i32_e32 v33, v33
	v_cvt_f32_i32_e32 v34, v34
	v_cvt_f32_i32_e32 v35, v35
	v_cvt_f32_i32_e32 v18, v18
	v_cmp_eq_u64_e32 vcc_lo, 0, v[11:12]
	s_or_b32 s7, vcc_lo, s7
	s_waitcnt vmcnt(0)
	v_bfe_i32 v36, v19, 0, 8
	v_lshrrev_b32_e32 v37, 8, v19
	v_lshrrev_b32_e32 v38, 16, v19
	;; [unrolled: 1-line block ×3, first 2 shown]
	s_delay_alu instid0(VALU_DEP_4) | instskip(NEXT) | instid1(VALU_DEP_4)
	v_bfe_i32 v36, v36, 0, 16
	v_bfe_i32 v37, v37, 0, 8
	s_delay_alu instid0(VALU_DEP_4) | instskip(NEXT) | instid1(VALU_DEP_4)
	v_bfe_i32 v38, v38, 0, 8
	v_bfe_i32 v19, v19, 0, 8
	s_delay_alu instid0(VALU_DEP_4) | instskip(NEXT) | instid1(VALU_DEP_4)
	v_cvt_f32_i32_e32 v36, v36
	v_bfe_i32 v37, v37, 0, 16
	s_delay_alu instid0(VALU_DEP_4) | instskip(NEXT) | instid1(VALU_DEP_4)
	v_bfe_i32 v38, v38, 0, 16
	v_bfe_i32 v19, v19, 0, 16
	s_delay_alu instid0(VALU_DEP_4) | instskip(NEXT) | instid1(VALU_DEP_3)
	v_fmac_f32_e32 v21, v15, v36
	v_cvt_f32_i32_e32 v15, v38
	v_fmac_f32_e32 v22, v20, v36
	v_cvt_f32_i32_e32 v20, v37
	v_fmac_f32_e32 v23, v26, v36
	s_delay_alu instid0(VALU_DEP_2) | instskip(NEXT) | instid1(VALU_DEP_2)
	v_fmac_f32_e32 v21, v16, v20
	v_fmac_f32_e32 v23, v29, v20
	;; [unrolled: 1-line block ×3, first 2 shown]
	v_cvt_f32_i32_e32 v16, v19
	s_delay_alu instid0(VALU_DEP_4) | instskip(NEXT) | instid1(VALU_DEP_4)
	v_fmac_f32_e32 v21, v17, v15
	v_dual_fmac_f32 v23, v32, v15 :: v_dual_fmac_f32 v22, v27, v20
	s_delay_alu instid0(VALU_DEP_4) | instskip(NEXT) | instid1(VALU_DEP_3)
	v_fmac_f32_e32 v24, v28, v20
	v_fmac_f32_e32 v21, v18, v16
	s_delay_alu instid0(VALU_DEP_3) | instskip(NEXT) | instid1(VALU_DEP_3)
	v_dual_fmac_f32 v23, v35, v16 :: v_dual_fmac_f32 v22, v30, v15
	v_fmac_f32_e32 v24, v31, v15
	s_delay_alu instid0(VALU_DEP_2) | instskip(NEXT) | instid1(VALU_DEP_2)
	v_fmac_f32_e32 v22, v33, v16
	v_fmac_f32_e32 v24, v34, v16
	s_and_not1_b32 exec_lo, exec_lo, s7
	s_cbranch_execnz .LBB85_31
; %bb.32:
	s_or_b32 exec_lo, exec_lo, s7
.LBB85_33:
	s_delay_alu instid0(SALU_CYCLE_1) | instskip(NEXT) | instid1(SALU_CYCLE_1)
	s_or_b32 exec_lo, exec_lo, s2
	s_mov_b32 s2, exec_lo
	v_cmpx_lt_u64_e32 11, v[9:10]
	s_cbranch_execz .LBB85_37
; %bb.34:
	v_lshlrev_b64 v[9:10], 3, v[0:1]
	s_mov_b32 s7, 0
	s_delay_alu instid0(VALU_DEP_1) | instskip(NEXT) | instid1(VALU_DEP_2)
	v_add_co_u32 v9, vcc_lo, v9, s8
	v_add_co_ci_u32_e32 v10, vcc_lo, s9, v10, vcc_lo
	s_delay_alu instid0(VALU_DEP_2) | instskip(NEXT) | instid1(VALU_DEP_2)
	v_add_co_u32 v9, vcc_lo, v9, 64
	v_add_co_ci_u32_e32 v10, vcc_lo, 0, v10, vcc_lo
.LBB85_35:                              ; =>This Inner Loop Header: Depth=1
	s_clause 0x3
	global_load_b64 v[19:20], v[9:10], off offset:-64
	global_load_b64 v[33:34], v[9:10], off offset:-32
	global_load_b64 v[35:36], v[9:10], off
	global_load_b64 v[37:38], v[9:10], off offset:32
	s_clause 0x3
	global_load_b128 v[11:14], v[7:8], off
	global_load_b128 v[15:18], v[7:8], off offset:64
	global_load_b128 v[25:28], v[7:8], off offset:128
	;; [unrolled: 1-line block ×3, first 2 shown]
	v_add_co_u32 v7, vcc_lo, 0x100, v7
	v_add_co_ci_u32_e32 v8, vcc_lo, 0, v8, vcc_lo
	v_add_co_u32 v0, vcc_lo, v0, 16
	v_add_co_ci_u32_e32 v1, vcc_lo, 0, v1, vcc_lo
	;; [unrolled: 2-line block ×3, first 2 shown]
	s_waitcnt vmcnt(7)
	v_sub_co_u32 v19, vcc_lo, v19, s20
	v_subrev_co_ci_u32_e32 v20, vcc_lo, s3, v20, vcc_lo
	s_waitcnt vmcnt(3)
	v_bfe_i32 v39, v11, 0, 8
	v_lshrrev_b32_e32 v40, 8, v11
	v_lshrrev_b32_e32 v41, 16, v11
	;; [unrolled: 1-line block ×3, first 2 shown]
	v_sub_co_u32 v11, vcc_lo, v33, s20
	v_bfe_i32 v43, v12, 0, 8
	v_lshrrev_b32_e32 v44, 8, v12
	v_lshrrev_b32_e32 v45, 16, v12
	;; [unrolled: 1-line block ×3, first 2 shown]
	v_subrev_co_ci_u32_e32 v12, vcc_lo, s3, v34, vcc_lo
	v_sub_co_u32 v33, vcc_lo, v35, s20
	v_lshlrev_b64 v[19:20], 2, v[19:20]
	v_subrev_co_ci_u32_e32 v34, vcc_lo, s3, v36, vcc_lo
	v_sub_co_u32 v35, vcc_lo, v37, s20
	v_lshlrev_b64 v[11:12], 2, v[11:12]
	v_subrev_co_ci_u32_e32 v36, vcc_lo, s3, v38, vcc_lo
	s_delay_alu instid0(VALU_DEP_4) | instskip(SKIP_2) | instid1(VALU_DEP_4)
	v_lshlrev_b64 v[33:34], 2, v[33:34]
	v_add_co_u32 v19, vcc_lo, s4, v19
	v_add_co_ci_u32_e32 v20, vcc_lo, s5, v20, vcc_lo
	v_lshlrev_b64 v[35:36], 2, v[35:36]
	v_add_co_u32 v11, vcc_lo, s4, v11
	v_add_co_ci_u32_e32 v12, vcc_lo, s5, v12, vcc_lo
	v_add_co_u32 v33, vcc_lo, s4, v33
	v_add_co_ci_u32_e32 v34, vcc_lo, s5, v34, vcc_lo
	;; [unrolled: 2-line block ×3, first 2 shown]
	s_clause 0x3
	global_load_b32 v19, v[19:20], off
	global_load_b32 v11, v[11:12], off
	;; [unrolled: 1-line block ×4, first 2 shown]
	v_bfe_i32 v41, v41, 0, 8
	v_lshrrev_b32_e32 v49, 16, v13
	v_bfe_i32 v40, v40, 0, 8
	v_bfe_i32 v42, v42, 0, 8
	;; [unrolled: 1-line block ×6, first 2 shown]
	v_lshrrev_b32_e32 v48, 8, v13
	v_lshrrev_b32_e32 v13, 24, v13
	;; [unrolled: 1-line block ×3, first 2 shown]
	v_bfe_i32 v44, v44, 0, 8
	v_bfe_i32 v46, v46, 0, 8
	;; [unrolled: 1-line block ×4, first 2 shown]
	v_cvt_f32_i32_e32 v39, v39
	v_bfe_i32 v40, v40, 0, 16
	v_bfe_i32 v42, v42, 0, 16
	;; [unrolled: 1-line block ×3, first 2 shown]
	v_cvt_f32_i32_e32 v41, v41
	v_bfe_i32 v50, v14, 0, 8
	v_lshrrev_b32_e32 v51, 8, v14
	v_lshrrev_b32_e32 v14, 24, v14
	s_waitcnt vmcnt(6)
	v_lshrrev_b32_e32 v35, 16, v15
	v_bfe_i32 v13, v13, 0, 8
	v_bfe_i32 v52, v52, 0, 8
	v_bfe_i32 v47, v47, 0, 16
	v_cvt_f32_i32_e32 v43, v43
	v_bfe_i32 v44, v44, 0, 16
	v_bfe_i32 v46, v46, 0, 16
	v_bfe_i32 v49, v49, 0, 16
	v_cvt_f32_i32_e32 v40, v40
	v_cvt_f32_i32_e32 v42, v42
	;; [unrolled: 1-line block ×3, first 2 shown]
	v_bfe_i32 v33, v15, 0, 8
	v_lshrrev_b32_e32 v34, 8, v15
	v_lshrrev_b32_e32 v15, 24, v15
	;; [unrolled: 1-line block ×3, first 2 shown]
	v_bfe_i32 v48, v48, 0, 8
	v_bfe_i32 v51, v51, 0, 8
	;; [unrolled: 1-line block ×5, first 2 shown]
	v_cvt_f32_i32_e32 v47, v47
	v_bfe_i32 v13, v13, 0, 16
	v_bfe_i32 v52, v52, 0, 16
	v_cvt_f32_i32_e32 v44, v44
	v_cvt_f32_i32_e32 v46, v46
	;; [unrolled: 1-line block ×3, first 2 shown]
	v_bfe_i32 v36, v16, 0, 8
	v_lshrrev_b32_e32 v37, 8, v16
	v_lshrrev_b32_e32 v16, 24, v16
	v_bfe_i32 v15, v15, 0, 8
	v_bfe_i32 v38, v38, 0, 8
	;; [unrolled: 1-line block ×4, first 2 shown]
	v_cvt_f32_i32_e32 v50, v50
	v_bfe_i32 v51, v51, 0, 16
	v_bfe_i32 v14, v14, 0, 16
	;; [unrolled: 1-line block ×3, first 2 shown]
	v_cvt_f32_i32_e32 v13, v13
	v_cvt_f32_i32_e32 v52, v52
	v_bfe_i32 v53, v17, 0, 8
	v_lshrrev_b32_e32 v54, 8, v17
	v_lshrrev_b32_e32 v55, 16, v17
	;; [unrolled: 1-line block ×3, first 2 shown]
	s_waitcnt vmcnt(4)
	v_lshrrev_b32_e32 v79, 16, v31
	v_bfe_i32 v34, v34, 0, 8
	v_bfe_i32 v37, v37, 0, 8
	v_bfe_i32 v16, v16, 0, 8
	v_bfe_i32 v36, v36, 0, 16
	v_cvt_f32_i32_e32 v33, v33
	v_bfe_i32 v15, v15, 0, 16
	v_bfe_i32 v38, v38, 0, 16
	v_cvt_f32_i32_e32 v48, v48
	v_cvt_f32_i32_e32 v51, v51
	;; [unrolled: 1-line block ×4, first 2 shown]
	v_bfe_i32 v56, v18, 0, 8
	v_lshrrev_b32_e32 v57, 8, v18
	v_lshrrev_b32_e32 v58, 16, v18
	;; [unrolled: 1-line block ×3, first 2 shown]
	v_bfe_i32 v59, v25, 0, 8
	v_lshrrev_b32_e32 v60, 8, v25
	v_lshrrev_b32_e32 v61, 16, v25
	v_lshrrev_b32_e32 v25, 24, v25
	v_bfe_i32 v55, v55, 0, 8
	v_bfe_i32 v17, v17, 0, 8
	v_bfe_i32 v53, v53, 0, 16
	v_bfe_i32 v79, v79, 0, 8
	v_bfe_i32 v34, v34, 0, 16
	v_cvt_f32_i32_e32 v36, v36
	v_bfe_i32 v37, v37, 0, 16
	v_bfe_i32 v16, v16, 0, 16
	v_cvt_f32_i32_e32 v15, v15
	v_cvt_f32_i32_e32 v38, v38
	v_lshrrev_b32_e32 v72, 8, v29
	v_bfe_i32 v54, v54, 0, 8
	v_bfe_i32 v58, v58, 0, 8
	;; [unrolled: 1-line block ×6, first 2 shown]
	v_cvt_f32_i32_e32 v53, v53
	v_bfe_i32 v55, v55, 0, 16
	v_bfe_i32 v17, v17, 0, 16
	;; [unrolled: 1-line block ×3, first 2 shown]
	v_cvt_f32_i32_e32 v34, v34
	v_cvt_f32_i32_e32 v37, v37
	;; [unrolled: 1-line block ×3, first 2 shown]
	v_bfe_i32 v62, v26, 0, 8
	v_lshrrev_b32_e32 v63, 8, v26
	v_lshrrev_b32_e32 v64, 16, v26
	;; [unrolled: 1-line block ×3, first 2 shown]
	v_bfe_i32 v71, v29, 0, 8
	v_bfe_i32 v77, v31, 0, 8
	v_lshrrev_b32_e32 v78, 8, v31
	v_lshrrev_b32_e32 v31, 24, v31
	v_bfe_i32 v57, v57, 0, 8
	v_bfe_i32 v61, v61, 0, 8
	;; [unrolled: 1-line block ×5, first 2 shown]
	v_cvt_f32_i32_e32 v56, v56
	v_bfe_i32 v58, v58, 0, 16
	v_bfe_i32 v18, v18, 0, 16
	;; [unrolled: 1-line block ×4, first 2 shown]
	v_cvt_f32_i32_e32 v55, v55
	v_cvt_f32_i32_e32 v17, v17
	;; [unrolled: 1-line block ×3, first 2 shown]
	v_bfe_i32 v65, v27, 0, 8
	v_lshrrev_b32_e32 v66, 8, v27
	v_lshrrev_b32_e32 v67, 16, v27
	;; [unrolled: 1-line block ×3, first 2 shown]
	v_bfe_i32 v64, v64, 0, 8
	v_bfe_i32 v26, v26, 0, 8
	v_bfe_i32 v31, v31, 0, 8
	v_bfe_i32 v71, v71, 0, 16
	v_bfe_i32 v57, v57, 0, 16
	v_cvt_f32_i32_e32 v59, v59
	v_bfe_i32 v61, v61, 0, 16
	v_bfe_i32 v72, v72, 0, 16
	v_cvt_f32_i32_e32 v54, v54
	v_cvt_f32_i32_e32 v58, v58
	;; [unrolled: 1-line block ×5, first 2 shown]
	v_bfe_i32 v68, v28, 0, 8
	v_lshrrev_b32_e32 v69, 8, v28
	v_lshrrev_b32_e32 v70, 16, v28
	;; [unrolled: 1-line block ×5, first 2 shown]
	v_bfe_i32 v63, v63, 0, 8
	v_bfe_i32 v67, v67, 0, 8
	;; [unrolled: 1-line block ×5, first 2 shown]
	v_cvt_f32_i32_e32 v71, v71
	v_bfe_i32 v31, v31, 0, 16
	v_cvt_f32_i32_e32 v57, v57
	v_cvt_f32_i32_e32 v61, v61
	;; [unrolled: 1-line block ×3, first 2 shown]
	v_bfe_i32 v70, v70, 0, 8
	v_bfe_i32 v28, v28, 0, 8
	;; [unrolled: 1-line block ×10, first 2 shown]
	v_cvt_f32_i32_e32 v64, v64
	v_cvt_f32_i32_e32 v26, v26
	;; [unrolled: 1-line block ×3, first 2 shown]
	v_bfe_i32 v66, v66, 0, 8
	v_cvt_f32_i32_e32 v62, v62
	v_bfe_i32 v70, v70, 0, 16
	v_bfe_i32 v28, v28, 0, 16
	;; [unrolled: 1-line block ×4, first 2 shown]
	v_cvt_f32_i32_e32 v77, v77
	v_bfe_i32 v78, v78, 0, 16
	v_cvt_f32_i32_e32 v63, v63
	v_cvt_f32_i32_e32 v67, v67
	;; [unrolled: 1-line block ×3, first 2 shown]
	v_bfe_i32 v69, v69, 0, 8
	v_bfe_i32 v65, v65, 0, 16
	;; [unrolled: 1-line block ×3, first 2 shown]
	v_cvt_f32_i32_e32 v70, v70
	v_cvt_f32_i32_e32 v28, v28
	;; [unrolled: 1-line block ×5, first 2 shown]
	v_bfe_i32 v74, v30, 0, 8
	v_lshrrev_b32_e32 v75, 8, v30
	v_lshrrev_b32_e32 v76, 16, v30
	;; [unrolled: 1-line block ×3, first 2 shown]
	v_bfe_i32 v68, v68, 0, 16
	v_cvt_f32_i32_e32 v65, v65
	v_bfe_i32 v69, v69, 0, 16
	v_cvt_f32_i32_e32 v66, v66
	v_bfe_i32 v75, v75, 0, 8
	v_bfe_i32 v76, v76, 0, 8
	v_bfe_i32 v30, v30, 0, 8
	v_cvt_f32_i32_e32 v68, v68
	v_cvt_f32_i32_e32 v69, v69
	v_bfe_i32 v80, v32, 0, 8
	v_lshrrev_b32_e32 v81, 8, v32
	v_lshrrev_b32_e32 v82, 16, v32
	;; [unrolled: 1-line block ×3, first 2 shown]
	v_bfe_i32 v74, v74, 0, 16
	v_bfe_i32 v75, v75, 0, 16
	;; [unrolled: 1-line block ×7, first 2 shown]
	v_cvt_f32_i32_e32 v74, v74
	v_cvt_f32_i32_e32 v75, v75
	;; [unrolled: 1-line block ×4, first 2 shown]
	v_bfe_i32 v80, v80, 0, 16
	v_bfe_i32 v81, v81, 0, 16
	v_bfe_i32 v82, v82, 0, 16
	v_bfe_i32 v32, v32, 0, 16
	v_cmp_ge_i64_e32 vcc_lo, v[0:1], v[5:6]
	v_cvt_f32_i32_e32 v80, v80
	v_cvt_f32_i32_e32 v81, v81
	;; [unrolled: 1-line block ×4, first 2 shown]
	s_or_b32 s7, vcc_lo, s7
	s_waitcnt vmcnt(3)
	v_bfe_i32 v84, v19, 0, 8
	v_lshrrev_b32_e32 v85, 8, v19
	v_lshrrev_b32_e32 v83, 16, v19
	;; [unrolled: 1-line block ×3, first 2 shown]
	s_waitcnt vmcnt(2)
	v_bfe_i32 v87, v11, 0, 8
	v_bfe_i32 v84, v84, 0, 16
	;; [unrolled: 1-line block ×5, first 2 shown]
	v_lshrrev_b32_e32 v88, 8, v11
	v_cvt_f32_i32_e32 v84, v84
	v_bfe_i32 v85, v85, 0, 16
	v_bfe_i32 v83, v83, 0, 16
	;; [unrolled: 1-line block ×3, first 2 shown]
	v_lshrrev_b32_e32 v86, 16, v11
	v_fmac_f32_e32 v23, v41, v84
	v_fmac_f32_e32 v22, v39, v84
	v_cvt_f32_i32_e32 v39, v85
	v_fmac_f32_e32 v21, v42, v84
	v_fmac_f32_e32 v24, v40, v84
	v_cvt_f32_i32_e32 v40, v83
	v_bfe_i32 v88, v88, 0, 8
	v_fmac_f32_e32 v23, v45, v39
	v_fmac_f32_e32 v21, v46, v39
	;; [unrolled: 1-line block ×3, first 2 shown]
	v_bfe_i32 v87, v87, 0, 16
	v_cvt_f32_i32_e32 v19, v19
	v_fmac_f32_e32 v23, v49, v40
	v_lshrrev_b32_e32 v11, 24, v11
	v_fmac_f32_e32 v22, v47, v40
	v_bfe_i32 v86, v86, 0, 8
	v_cvt_f32_i32_e32 v87, v87
	v_fmac_f32_e32 v23, v52, v19
	v_bfe_i32 v88, v88, 0, 16
	v_dual_fmac_f32 v24, v44, v39 :: v_dual_fmac_f32 v21, v13, v40
	v_fmac_f32_e32 v22, v50, v19
	v_bfe_i32 v11, v11, 0, 8
	v_bfe_i32 v86, v86, 0, 16
	s_delay_alu instid0(VALU_DEP_4)
	v_dual_fmac_f32 v24, v48, v40 :: v_dual_fmac_f32 v21, v14, v19
	v_cvt_f32_i32_e32 v14, v88
	v_fmac_f32_e32 v23, v35, v87
	v_fmac_f32_e32 v22, v33, v87
	s_waitcnt vmcnt(1)
	v_bfe_i32 v90, v12, 0, 8
	v_bfe_i32 v11, v11, 0, 16
	v_dual_fmac_f32 v24, v51, v19 :: v_dual_fmac_f32 v23, v38, v14
	v_fmac_f32_e32 v21, v15, v87
	v_cvt_f32_i32_e32 v15, v86
	v_fmac_f32_e32 v22, v36, v14
	v_lshrrev_b32_e32 v91, 8, v12
	s_waitcnt vmcnt(0)
	v_bfe_i32 v93, v20, 0, 8
	v_bfe_i32 v90, v90, 0, 16
	v_dual_fmac_f32 v24, v34, v87 :: v_dual_fmac_f32 v21, v16, v14
	v_cvt_f32_i32_e32 v11, v11
	v_fmac_f32_e32 v22, v53, v15
	v_lshrrev_b32_e32 v89, 16, v12
	v_bfe_i32 v91, v91, 0, 8
	v_bfe_i32 v93, v93, 0, 16
	v_cvt_f32_i32_e32 v90, v90
	v_dual_fmac_f32 v24, v37, v14 :: v_dual_fmac_f32 v23, v55, v15
	v_fmac_f32_e32 v22, v56, v11
	v_fmac_f32_e32 v21, v17, v15
	v_lshrrev_b32_e32 v12, 24, v12
	v_bfe_i32 v89, v89, 0, 8
	v_bfe_i32 v91, v91, 0, 16
	v_fmac_f32_e32 v22, v59, v90
	v_cvt_f32_i32_e32 v93, v93
	v_fmac_f32_e32 v23, v58, v11
	v_fmac_f32_e32 v24, v54, v15
	;; [unrolled: 1-line block ×3, first 2 shown]
	v_bfe_i32 v12, v12, 0, 8
	v_bfe_i32 v89, v89, 0, 16
	v_fmac_f32_e32 v23, v61, v90
	v_fmac_f32_e32 v24, v57, v11
	v_cvt_f32_i32_e32 v11, v91
	v_fmac_f32_e32 v21, v25, v90
	v_bfe_i32 v12, v12, 0, 16
	v_cvt_f32_i32_e32 v15, v89
	v_fmac_f32_e32 v24, v60, v90
	v_fmac_f32_e32 v23, v64, v11
	;; [unrolled: 1-line block ×4, first 2 shown]
	v_lshrrev_b32_e32 v94, 8, v20
	v_fmac_f32_e32 v24, v63, v11
	v_cvt_f32_i32_e32 v11, v12
	v_fmac_f32_e32 v23, v67, v15
	v_fmac_f32_e32 v21, v27, v15
	v_lshrrev_b32_e32 v92, 16, v20
	v_bfe_i32 v94, v94, 0, 8
	v_lshrrev_b32_e32 v20, 24, v20
	v_fmac_f32_e32 v23, v70, v11
	v_fmac_f32_e32 v21, v28, v11
	v_bfe_i32 v92, v92, 0, 8
	v_bfe_i32 v13, v94, 0, 16
	;; [unrolled: 1-line block ×3, first 2 shown]
	v_fmac_f32_e32 v23, v73, v93
	v_fmac_f32_e32 v22, v65, v15
	v_dual_fmac_f32 v21, v29, v93 :: v_dual_fmac_f32 v24, v66, v15
	v_bfe_i32 v14, v92, 0, 16
	v_bfe_i32 v12, v20, 0, 16
	s_delay_alu instid0(VALU_DEP_4) | instskip(NEXT) | instid1(VALU_DEP_4)
	v_fmac_f32_e32 v22, v68, v11
	v_fmac_f32_e32 v24, v69, v11
	v_cvt_f32_i32_e32 v11, v13
	v_cvt_f32_i32_e32 v13, v14
	s_delay_alu instid0(VALU_DEP_4) | instskip(NEXT) | instid1(VALU_DEP_4)
	v_fmac_f32_e32 v22, v71, v93
	v_fmac_f32_e32 v24, v72, v93
	s_delay_alu instid0(VALU_DEP_4) | instskip(SKIP_1) | instid1(VALU_DEP_4)
	v_fmac_f32_e32 v23, v76, v11
	v_fmac_f32_e32 v21, v30, v11
	;; [unrolled: 1-line block ×3, first 2 shown]
	s_delay_alu instid0(VALU_DEP_4) | instskip(SKIP_2) | instid1(VALU_DEP_4)
	v_fmac_f32_e32 v24, v75, v11
	v_cvt_f32_i32_e32 v11, v12
	v_fmac_f32_e32 v23, v79, v13
	v_fmac_f32_e32 v22, v77, v13
	;; [unrolled: 1-line block ×4, first 2 shown]
	s_delay_alu instid0(VALU_DEP_4) | instskip(NEXT) | instid1(VALU_DEP_4)
	v_fmac_f32_e32 v23, v82, v11
	v_fmac_f32_e32 v22, v80, v11
	s_delay_alu instid0(VALU_DEP_4) | instskip(NEXT) | instid1(VALU_DEP_4)
	v_fmac_f32_e32 v21, v32, v11
	v_fmac_f32_e32 v24, v81, v11
	s_and_not1_b32 exec_lo, exec_lo, s7
	s_cbranch_execnz .LBB85_35
; %bb.36:
	s_or_b32 exec_lo, exec_lo, s7
.LBB85_37:
	s_delay_alu instid0(SALU_CYCLE_1)
	s_or_b32 exec_lo, exec_lo, s2
.LBB85_38:
	s_delay_alu instid0(SALU_CYCLE_1)
	s_or_b32 exec_lo, exec_lo, s6
.LBB85_39:
	v_mbcnt_lo_u32_b32 v0, -1, 0
	s_mov_b32 s2, -1
	s_delay_alu instid0(VALU_DEP_1) | instskip(NEXT) | instid1(VALU_DEP_1)
	v_xor_b32_e32 v1, 2, v0
	v_cmp_gt_i32_e32 vcc_lo, 32, v1
	v_cndmask_b32_e32 v1, v0, v1, vcc_lo
	s_delay_alu instid0(VALU_DEP_1)
	v_lshlrev_b32_e32 v1, 2, v1
	ds_bpermute_b32 v5, v1, v22
	ds_bpermute_b32 v6, v1, v24
	;; [unrolled: 1-line block ×4, first 2 shown]
	v_xor_b32_e32 v1, 1, v0
	s_delay_alu instid0(VALU_DEP_1) | instskip(SKIP_2) | instid1(VALU_DEP_2)
	v_cmp_gt_i32_e32 vcc_lo, 32, v1
	v_cndmask_b32_e32 v0, v0, v1, vcc_lo
	v_cmp_eq_u32_e32 vcc_lo, 3, v2
	v_lshlrev_b32_e32 v10, 2, v0
	s_waitcnt lgkmcnt(2)
	v_dual_add_f32 v0, v22, v5 :: v_dual_add_f32 v1, v24, v6
	s_waitcnt lgkmcnt(0)
	v_dual_add_f32 v5, v23, v7 :: v_dual_add_f32 v6, v21, v8
	ds_bpermute_b32 v7, v10, v0
	ds_bpermute_b32 v8, v10, v1
	;; [unrolled: 1-line block ×4, first 2 shown]
	s_and_b32 exec_lo, exec_lo, vcc_lo
	s_cbranch_execz .LBB85_10
; %bb.40:
	s_load_b64 s[0:1], s[0:1], 0x58
	s_waitcnt lgkmcnt(0)
	v_dual_add_f32 v0, v0, v7 :: v_dual_add_f32 v1, v1, v8
	v_add_f32_e32 v6, v6, v10
	v_cmp_eq_f32_e64 s3, s12, 0
	s_delay_alu instid0(VALU_DEP_3) | instskip(SKIP_4) | instid1(VALU_DEP_3)
	v_dual_mul_f32 v0, s16, v0 :: v_dual_mul_f32 v1, s16, v1
	v_add_f32_e32 v2, v5, v9
	v_lshlrev_b64 v[4:5], 4, v[3:4]
	v_mul_f32_e32 v3, s16, v6
	s_and_b32 vcc_lo, exec_lo, s3
	v_mul_f32_e32 v2, s16, v2
	s_cbranch_vccz .LBB85_42
; %bb.41:
	s_delay_alu instid0(VALU_DEP_3)
	v_add_co_u32 v6, vcc_lo, s0, v4
	v_add_co_ci_u32_e32 v7, vcc_lo, s1, v5, vcc_lo
	s_mov_b32 s2, 0
	global_store_b128 v[6:7], v[0:3], off
.LBB85_42:
	s_and_not1_b32 vcc_lo, exec_lo, s2
	s_cbranch_vccnz .LBB85_10
; %bb.43:
	v_add_co_u32 v8, vcc_lo, s0, v4
	v_add_co_ci_u32_e32 v9, vcc_lo, s1, v5, vcc_lo
	global_load_b128 v[4:7], v[8:9], off
	s_waitcnt vmcnt(0)
	v_dual_fmac_f32 v0, s12, v4 :: v_dual_fmac_f32 v1, s12, v5
	v_dual_fmac_f32 v2, s12, v6 :: v_dual_fmac_f32 v3, s12, v7
	global_store_b128 v[8:9], v[0:3], off
	s_nop 0
	s_sendmsg sendmsg(MSG_DEALLOC_VGPRS)
	s_endpgm
	.section	.rodata,"a",@progbits
	.p2align	6, 0x0
	.amdhsa_kernel _ZN9rocsparseL18bsrxmvn_4x4_kernelILj128ELj4EfllaafEEvT3_20rocsparse_direction_NS_24const_host_device_scalarIT1_EES1_PKS1_PKT2_SA_S7_PKT4_PKT5_S5_PT6_21rocsparse_index_base_b
		.amdhsa_group_segment_fixed_size 0
		.amdhsa_private_segment_fixed_size 0
		.amdhsa_kernarg_size 104
		.amdhsa_user_sgpr_count 15
		.amdhsa_user_sgpr_dispatch_ptr 0
		.amdhsa_user_sgpr_queue_ptr 0
		.amdhsa_user_sgpr_kernarg_segment_ptr 1
		.amdhsa_user_sgpr_dispatch_id 0
		.amdhsa_user_sgpr_private_segment_size 0
		.amdhsa_wavefront_size32 1
		.amdhsa_uses_dynamic_stack 0
		.amdhsa_enable_private_segment 0
		.amdhsa_system_sgpr_workgroup_id_x 1
		.amdhsa_system_sgpr_workgroup_id_y 0
		.amdhsa_system_sgpr_workgroup_id_z 0
		.amdhsa_system_sgpr_workgroup_info 0
		.amdhsa_system_vgpr_workitem_id 0
		.amdhsa_next_free_vgpr 101
		.amdhsa_next_free_sgpr 22
		.amdhsa_reserve_vcc 1
		.amdhsa_float_round_mode_32 0
		.amdhsa_float_round_mode_16_64 0
		.amdhsa_float_denorm_mode_32 3
		.amdhsa_float_denorm_mode_16_64 3
		.amdhsa_dx10_clamp 1
		.amdhsa_ieee_mode 1
		.amdhsa_fp16_overflow 0
		.amdhsa_workgroup_processor_mode 1
		.amdhsa_memory_ordered 1
		.amdhsa_forward_progress 0
		.amdhsa_shared_vgpr_count 0
		.amdhsa_exception_fp_ieee_invalid_op 0
		.amdhsa_exception_fp_denorm_src 0
		.amdhsa_exception_fp_ieee_div_zero 0
		.amdhsa_exception_fp_ieee_overflow 0
		.amdhsa_exception_fp_ieee_underflow 0
		.amdhsa_exception_fp_ieee_inexact 0
		.amdhsa_exception_int_div_zero 0
	.end_amdhsa_kernel
	.section	.text._ZN9rocsparseL18bsrxmvn_4x4_kernelILj128ELj4EfllaafEEvT3_20rocsparse_direction_NS_24const_host_device_scalarIT1_EES1_PKS1_PKT2_SA_S7_PKT4_PKT5_S5_PT6_21rocsparse_index_base_b,"axG",@progbits,_ZN9rocsparseL18bsrxmvn_4x4_kernelILj128ELj4EfllaafEEvT3_20rocsparse_direction_NS_24const_host_device_scalarIT1_EES1_PKS1_PKT2_SA_S7_PKT4_PKT5_S5_PT6_21rocsparse_index_base_b,comdat
.Lfunc_end85:
	.size	_ZN9rocsparseL18bsrxmvn_4x4_kernelILj128ELj4EfllaafEEvT3_20rocsparse_direction_NS_24const_host_device_scalarIT1_EES1_PKS1_PKT2_SA_S7_PKT4_PKT5_S5_PT6_21rocsparse_index_base_b, .Lfunc_end85-_ZN9rocsparseL18bsrxmvn_4x4_kernelILj128ELj4EfllaafEEvT3_20rocsparse_direction_NS_24const_host_device_scalarIT1_EES1_PKS1_PKT2_SA_S7_PKT4_PKT5_S5_PT6_21rocsparse_index_base_b
                                        ; -- End function
	.section	.AMDGPU.csdata,"",@progbits
; Kernel info:
; codeLenInByte = 7916
; NumSgprs: 24
; NumVgprs: 101
; ScratchSize: 0
; MemoryBound: 0
; FloatMode: 240
; IeeeMode: 1
; LDSByteSize: 0 bytes/workgroup (compile time only)
; SGPRBlocks: 2
; VGPRBlocks: 12
; NumSGPRsForWavesPerEU: 24
; NumVGPRsForWavesPerEU: 101
; Occupancy: 12
; WaveLimiterHint : 1
; COMPUTE_PGM_RSRC2:SCRATCH_EN: 0
; COMPUTE_PGM_RSRC2:USER_SGPR: 15
; COMPUTE_PGM_RSRC2:TRAP_HANDLER: 0
; COMPUTE_PGM_RSRC2:TGID_X_EN: 1
; COMPUTE_PGM_RSRC2:TGID_Y_EN: 0
; COMPUTE_PGM_RSRC2:TGID_Z_EN: 0
; COMPUTE_PGM_RSRC2:TIDIG_COMP_CNT: 0
	.section	.text._ZN9rocsparseL18bsrxmvn_4x4_kernelILj128ELj8EfllaafEEvT3_20rocsparse_direction_NS_24const_host_device_scalarIT1_EES1_PKS1_PKT2_SA_S7_PKT4_PKT5_S5_PT6_21rocsparse_index_base_b,"axG",@progbits,_ZN9rocsparseL18bsrxmvn_4x4_kernelILj128ELj8EfllaafEEvT3_20rocsparse_direction_NS_24const_host_device_scalarIT1_EES1_PKS1_PKT2_SA_S7_PKT4_PKT5_S5_PT6_21rocsparse_index_base_b,comdat
	.globl	_ZN9rocsparseL18bsrxmvn_4x4_kernelILj128ELj8EfllaafEEvT3_20rocsparse_direction_NS_24const_host_device_scalarIT1_EES1_PKS1_PKT2_SA_S7_PKT4_PKT5_S5_PT6_21rocsparse_index_base_b ; -- Begin function _ZN9rocsparseL18bsrxmvn_4x4_kernelILj128ELj8EfllaafEEvT3_20rocsparse_direction_NS_24const_host_device_scalarIT1_EES1_PKS1_PKT2_SA_S7_PKT4_PKT5_S5_PT6_21rocsparse_index_base_b
	.p2align	8
	.type	_ZN9rocsparseL18bsrxmvn_4x4_kernelILj128ELj8EfllaafEEvT3_20rocsparse_direction_NS_24const_host_device_scalarIT1_EES1_PKS1_PKT2_SA_S7_PKT4_PKT5_S5_PT6_21rocsparse_index_base_b,@function
_ZN9rocsparseL18bsrxmvn_4x4_kernelILj128ELj8EfllaafEEvT3_20rocsparse_direction_NS_24const_host_device_scalarIT1_EES1_PKS1_PKT2_SA_S7_PKT4_PKT5_S5_PT6_21rocsparse_index_base_b: ; @_ZN9rocsparseL18bsrxmvn_4x4_kernelILj128ELj8EfllaafEEvT3_20rocsparse_direction_NS_24const_host_device_scalarIT1_EES1_PKS1_PKT2_SA_S7_PKT4_PKT5_S5_PT6_21rocsparse_index_base_b
; %bb.0:
	s_clause 0x2
	s_load_b64 s[20:21], s[0:1], 0x60
	s_load_b128 s[16:19], s[0:1], 0x10
	s_load_b64 s[12:13], s[0:1], 0x50
	s_waitcnt lgkmcnt(0)
	s_bitcmp1_b32 s21, 0
	s_cselect_b32 s2, -1, 0
	s_delay_alu instid0(SALU_CYCLE_1)
	s_and_b32 vcc_lo, exec_lo, s2
	s_xor_b32 s2, s2, -1
	s_cbranch_vccnz .LBB86_2
; %bb.1:
	s_load_b32 s16, s[16:17], 0x0
.LBB86_2:
	s_and_not1_b32 vcc_lo, exec_lo, s2
	s_cbranch_vccnz .LBB86_4
; %bb.3:
	s_load_b32 s12, s[12:13], 0x0
.LBB86_4:
	s_waitcnt lgkmcnt(0)
	v_cmp_neq_f32_e64 s2, s16, 0
	v_cmp_neq_f32_e64 s3, s12, 1.0
	s_mov_b32 s6, 0
	s_delay_alu instid0(VALU_DEP_1) | instskip(NEXT) | instid1(SALU_CYCLE_1)
	s_or_b32 s2, s2, s3
	s_and_not1_b32 vcc_lo, exec_lo, s2
	s_cbranch_vccnz .LBB86_10
; %bb.5:
	s_load_b64 s[4:5], s[0:1], 0x20
	v_lshrrev_b32_e32 v1, 3, v0
	v_mov_b32_e32 v2, 0
	s_delay_alu instid0(VALU_DEP_2)
	v_lshl_or_b32 v1, s15, 4, v1
	s_waitcnt lgkmcnt(0)
	s_cmp_lg_u64 s[4:5], 0
	s_cbranch_scc0 .LBB86_11
; %bb.6:
	s_mov_b32 s7, 0
                                        ; implicit-def: $vgpr3_vgpr4
	s_mov_b32 s2, exec_lo
	v_cmpx_gt_i64_e64 s[18:19], v[1:2]
	s_xor_b32 s8, exec_lo, s2
                                        ; implicit-def: $sgpr2_sgpr3
	s_cbranch_execz .LBB86_8
; %bb.7:
	v_lshlrev_b64 v[3:4], 3, v[1:2]
	s_mov_b32 s6, exec_lo
	s_mov_b32 s3, 0
	s_delay_alu instid0(VALU_DEP_1) | instskip(NEXT) | instid1(VALU_DEP_2)
	v_add_co_u32 v3, vcc_lo, s4, v3
	v_add_co_ci_u32_e32 v4, vcc_lo, s5, v4, vcc_lo
	global_load_b64 v[3:4], v[3:4], off
	s_waitcnt vmcnt(0)
	v_sub_co_u32 v3, vcc_lo, v3, s20
	v_subrev_co_ci_u32_e32 v4, vcc_lo, 0, v4, vcc_lo
.LBB86_8:
	s_or_b32 exec_lo, exec_lo, s8
	s_delay_alu instid0(SALU_CYCLE_1)
	s_and_b32 vcc_lo, exec_lo, s7
	s_cbranch_vccnz .LBB86_12
.LBB86_9:
	s_and_saveexec_b32 s2, s6
	s_cbranch_execnz .LBB86_15
.LBB86_10:
	s_nop 0
	s_sendmsg sendmsg(MSG_DEALLOC_VGPRS)
	s_endpgm
.LBB86_11:
                                        ; implicit-def: $vgpr3_vgpr4
                                        ; implicit-def: $sgpr2_sgpr3
	s_cbranch_execz .LBB86_9
.LBB86_12:
	s_load_b64 s[2:3], s[0:1], 0x0
	s_mov_b32 s4, exec_lo
                                        ; implicit-def: $vgpr3_vgpr4
	s_waitcnt lgkmcnt(0)
	v_cmpx_gt_i64_e64 s[2:3], v[1:2]
                                        ; implicit-def: $sgpr2_sgpr3
; %bb.13:
	v_dual_mov_b32 v4, v2 :: v_dual_mov_b32 v3, v1
	s_mov_b32 s3, 0
	s_or_b32 s6, s6, exec_lo
; %bb.14:
	s_or_b32 exec_lo, exec_lo, s4
	s_and_saveexec_b32 s2, s6
	s_cbranch_execz .LBB86_10
.LBB86_15:
	s_load_b256 s[4:11], s[0:1], 0x28
	v_lshlrev_b64 v[1:2], 3, v[3:4]
	v_mov_b32_e32 v21, 0
	s_waitcnt lgkmcnt(0)
	s_delay_alu instid0(VALU_DEP_2) | instskip(NEXT) | instid1(VALU_DEP_3)
	v_add_co_u32 v5, vcc_lo, s4, v1
	v_add_co_ci_u32_e32 v6, vcc_lo, s5, v2, vcc_lo
	v_add_co_u32 v1, vcc_lo, s6, v1
	v_add_co_ci_u32_e32 v2, vcc_lo, s7, v2, vcc_lo
	s_delay_alu instid0(VALU_DEP_4)
	v_add_co_u32 v7, vcc_lo, v5, 8
	global_load_b64 v[9:10], v[5:6], off
	v_add_co_ci_u32_e32 v8, vcc_lo, 0, v6, vcc_lo
	s_cmp_eq_u64 s[6:7], 0
	s_clause 0x1
	s_load_b32 s6, s[0:1], 0x8
	s_load_b64 s[4:5], s[0:1], 0x48
	s_cselect_b32 vcc_lo, -1, 0
	v_dual_cndmask_b32 v2, v2, v8 :: v_dual_cndmask_b32 v1, v1, v7
	global_load_b64 v[5:6], v[1:2], off
	v_and_b32_e32 v2, 7, v0
	s_waitcnt lgkmcnt(0)
	s_cmp_eq_u32 s6, 1
	s_waitcnt vmcnt(1)
	v_sub_co_u32 v0, vcc_lo, v9, s20
	v_subrev_co_ci_u32_e32 v1, vcc_lo, s3, v10, vcc_lo
	s_delay_alu instid0(VALU_DEP_2) | instskip(NEXT) | instid1(VALU_DEP_2)
	v_add_co_u32 v0, vcc_lo, v0, v2
	v_add_co_ci_u32_e32 v1, vcc_lo, 0, v1, vcc_lo
	s_delay_alu instid0(VALU_DEP_1) | instskip(SKIP_3) | instid1(VALU_DEP_3)
	v_lshlrev_b64 v[7:8], 4, v[0:1]
	s_waitcnt vmcnt(0)
	v_sub_co_u32 v5, vcc_lo, v5, s20
	v_subrev_co_ci_u32_e32 v6, vcc_lo, s3, v6, vcc_lo
	v_add_co_u32 v7, vcc_lo, s10, v7
	s_delay_alu instid0(VALU_DEP_4) | instskip(NEXT) | instid1(VALU_DEP_3)
	v_add_co_ci_u32_e32 v8, vcc_lo, s11, v8, vcc_lo
	v_cmp_lt_i64_e64 s2, v[0:1], v[5:6]
	s_cbranch_scc1 .LBB86_27
; %bb.16:
	v_dual_mov_b32 v23, 0 :: v_dual_mov_b32 v24, 0
	v_mov_b32_e32 v22, 0
	s_mov_b32 s6, 0
	s_delay_alu instid0(VALU_DEP_3)
	s_and_saveexec_b32 s7, s2
	s_cbranch_execz .LBB86_26
; %bb.17:
	v_or_b32_e32 v11, 8, v2
	v_not_b32_e32 v14, v9
	v_not_b32_e32 v13, v10
	v_mov_b32_e32 v23, 0
	v_mov_b32_e32 v21, 0
	v_sub_co_u32 v11, s10, v11, s20
	s_delay_alu instid0(VALU_DEP_1) | instskip(SKIP_1) | instid1(VALU_DEP_3)
	v_sub_co_ci_u32_e64 v12, null, 0, s3, s10
	v_sub_co_u32 v15, s10, s20, v2
	v_add_co_u32 v11, vcc_lo, v11, v9
	s_delay_alu instid0(VALU_DEP_3) | instskip(SKIP_2) | instid1(VALU_DEP_2)
	v_add_co_ci_u32_e32 v12, vcc_lo, v12, v10, vcc_lo
	v_sub_co_ci_u32_e64 v16, null, s3, 0, s10
	s_mov_b32 s10, exec_lo
	v_cmp_gt_i64_e32 vcc_lo, v[11:12], v[5:6]
	v_mov_b32_e32 v22, 0
	v_mov_b32_e32 v24, 0
	v_dual_cndmask_b32 v12, v6, v12 :: v_dual_cndmask_b32 v11, v5, v11
	v_add_co_u32 v14, vcc_lo, v15, v14
	v_add_co_ci_u32_e32 v13, vcc_lo, v16, v13, vcc_lo
	s_delay_alu instid0(VALU_DEP_2) | instskip(NEXT) | instid1(VALU_DEP_2)
	v_add_co_u32 v15, vcc_lo, v14, v11
	v_add_co_ci_u32_e32 v16, vcc_lo, v13, v12, vcc_lo
	v_mov_b32_e32 v14, v8
	s_delay_alu instid0(VALU_DEP_3) | instskip(SKIP_1) | instid1(VALU_DEP_2)
	v_lshrrev_b32_e32 v11, 3, v15
	v_mov_b32_e32 v13, v7
	v_add_nc_u32_e32 v11, 1, v11
	s_delay_alu instid0(VALU_DEP_1) | instskip(SKIP_1) | instid1(VALU_DEP_2)
	v_dual_mov_b32 v12, v1 :: v_dual_and_b32 v17, 3, v11
	v_mov_b32_e32 v11, v0
	v_cmpx_ne_u32_e32 0, v17
	s_cbranch_execz .LBB86_21
; %bb.18:
	v_lshlrev_b64 v[11:12], 3, v[0:1]
	v_dual_mov_b32 v18, 0 :: v_dual_lshlrev_b32 v17, 1, v17
	v_dual_mov_b32 v14, v8 :: v_dual_mov_b32 v13, v7
	s_mov_b32 s11, 0
	s_delay_alu instid0(VALU_DEP_3) | instskip(NEXT) | instid1(VALU_DEP_4)
	v_add_co_u32 v19, vcc_lo, s8, v11
	v_add_co_ci_u32_e32 v20, vcc_lo, s9, v12, vcc_lo
	v_dual_mov_b32 v12, v1 :: v_dual_mov_b32 v11, v0
	v_mov_b32_e32 v21, v18
	v_mov_b32_e32 v23, v18
	;; [unrolled: 1-line block ×4, first 2 shown]
.LBB86_19:                              ; =>This Inner Loop Header: Depth=1
	global_load_b64 v[29:30], v[19:20], off
	global_load_b128 v[25:28], v[13:14], off
	s_waitcnt vmcnt(1)
	v_sub_co_u32 v29, vcc_lo, v29, s20
	v_subrev_co_ci_u32_e32 v30, vcc_lo, s3, v30, vcc_lo
	s_waitcnt vmcnt(0)
	v_lshrrev_b32_e32 v32, 16, v25
	v_bfe_i32 v33, v26, 0, 8
	v_lshrrev_b32_e32 v35, 16, v26
	v_lshlrev_b64 v[29:30], 2, v[29:30]
	v_bfe_i32 v36, v27, 0, 8
	v_lshrrev_b32_e32 v37, 8, v27
	v_lshrrev_b32_e32 v38, 16, v27
	v_bfe_i32 v39, v28, 0, 8
	v_lshrrev_b32_e32 v40, 8, v28
	v_add_co_u32 v29, vcc_lo, s4, v29
	v_add_co_ci_u32_e32 v30, vcc_lo, s5, v30, vcc_lo
	v_lshrrev_b32_e32 v41, 16, v28
	v_lshrrev_b32_e32 v31, 8, v25
	;; [unrolled: 1-line block ×3, first 2 shown]
	global_load_b32 v29, v[29:30], off
	v_bfe_i32 v30, v25, 0, 8
	v_lshrrev_b32_e32 v25, 24, v25
	v_lshrrev_b32_e32 v26, 24, v26
	v_bfe_i32 v32, v32, 0, 8
	v_bfe_i32 v35, v35, 0, 8
	;; [unrolled: 1-line block ×10, first 2 shown]
	v_lshrrev_b32_e32 v27, 24, v27
	v_lshrrev_b32_e32 v28, 24, v28
	v_bfe_i32 v31, v31, 0, 8
	v_bfe_i32 v25, v25, 0, 8
	;; [unrolled: 1-line block ×4, first 2 shown]
	v_cvt_f32_i32_e32 v30, v30
	v_bfe_i32 v32, v32, 0, 16
	v_cvt_f32_i32_e32 v33, v33
	v_bfe_i32 v35, v35, 0, 16
	v_cvt_f32_i32_e32 v36, v36
	v_bfe_i32 v37, v37, 0, 16
	v_bfe_i32 v38, v38, 0, 16
	v_cvt_f32_i32_e32 v39, v39
	v_bfe_i32 v40, v40, 0, 16
	v_bfe_i32 v41, v41, 0, 16
	;; [unrolled: 1-line block ×8, first 2 shown]
	v_cvt_f32_i32_e32 v32, v32
	v_cvt_f32_i32_e32 v35, v35
	;; [unrolled: 1-line block ×6, first 2 shown]
	v_add_co_u32 v13, vcc_lo, 0x80, v13
	v_add_co_ci_u32_e32 v14, vcc_lo, 0, v14, vcc_lo
	v_add_co_u32 v11, vcc_lo, v11, 8
	v_bfe_i32 v27, v27, 0, 16
	v_bfe_i32 v28, v28, 0, 16
	v_cvt_f32_i32_e32 v31, v31
	v_cvt_f32_i32_e32 v25, v25
	v_cvt_f32_i32_e32 v34, v34
	v_cvt_f32_i32_e32 v26, v26
	v_add_co_ci_u32_e32 v12, vcc_lo, 0, v12, vcc_lo
	v_add_co_u32 v19, vcc_lo, v19, 64
	v_add_co_ci_u32_e32 v20, vcc_lo, 0, v20, vcc_lo
	v_add_co_u32 v17, vcc_lo, v17, -2
	v_cvt_f32_i32_e32 v27, v27
	v_cvt_f32_i32_e32 v28, v28
	v_add_co_ci_u32_e32 v18, vcc_lo, -1, v18, vcc_lo
	s_delay_alu instid0(VALU_DEP_1)
	v_cmp_eq_u64_e32 vcc_lo, 0, v[17:18]
	s_or_b32 s11, vcc_lo, s11
	s_waitcnt vmcnt(0)
	v_bfe_i32 v42, v29, 0, 8
	v_lshrrev_b32_e32 v43, 8, v29
	v_lshrrev_b32_e32 v44, 16, v29
	;; [unrolled: 1-line block ×3, first 2 shown]
	s_delay_alu instid0(VALU_DEP_4) | instskip(NEXT) | instid1(VALU_DEP_4)
	v_bfe_i32 v42, v42, 0, 16
	v_bfe_i32 v43, v43, 0, 8
	s_delay_alu instid0(VALU_DEP_4) | instskip(NEXT) | instid1(VALU_DEP_4)
	v_bfe_i32 v44, v44, 0, 8
	v_bfe_i32 v29, v29, 0, 8
	s_delay_alu instid0(VALU_DEP_4) | instskip(NEXT) | instid1(VALU_DEP_4)
	v_cvt_f32_i32_e32 v42, v42
	v_bfe_i32 v43, v43, 0, 16
	s_delay_alu instid0(VALU_DEP_4) | instskip(NEXT) | instid1(VALU_DEP_4)
	v_bfe_i32 v44, v44, 0, 16
	v_bfe_i32 v29, v29, 0, 16
	s_delay_alu instid0(VALU_DEP_4) | instskip(NEXT) | instid1(VALU_DEP_3)
	v_fmac_f32_e32 v24, v33, v42
	v_cvt_f32_i32_e32 v33, v44
	v_fmac_f32_e32 v22, v30, v42
	v_cvt_f32_i32_e32 v30, v43
	v_fmac_f32_e32 v23, v36, v42
	v_fmac_f32_e32 v21, v39, v42
	v_cvt_f32_i32_e32 v29, v29
	s_delay_alu instid0(VALU_DEP_3) | instskip(NEXT) | instid1(VALU_DEP_3)
	v_fmac_f32_e32 v23, v37, v30
	v_fmac_f32_e32 v21, v40, v30
	s_delay_alu instid0(VALU_DEP_2) | instskip(NEXT) | instid1(VALU_DEP_2)
	v_fmac_f32_e32 v23, v38, v33
	v_dual_fmac_f32 v24, v34, v30 :: v_dual_fmac_f32 v21, v41, v33
	v_fmac_f32_e32 v22, v31, v30
	s_delay_alu instid0(VALU_DEP_3) | instskip(NEXT) | instid1(VALU_DEP_3)
	v_fmac_f32_e32 v23, v27, v29
	v_fmac_f32_e32 v24, v35, v33
	s_delay_alu instid0(VALU_DEP_4) | instskip(NEXT) | instid1(VALU_DEP_4)
	v_fmac_f32_e32 v21, v28, v29
	v_fmac_f32_e32 v22, v32, v33
	s_delay_alu instid0(VALU_DEP_3) | instskip(NEXT) | instid1(VALU_DEP_2)
	v_fmac_f32_e32 v24, v26, v29
	v_fmac_f32_e32 v22, v25, v29
	s_and_not1_b32 exec_lo, exec_lo, s11
	s_cbranch_execnz .LBB86_19
; %bb.20:
	s_or_b32 exec_lo, exec_lo, s11
.LBB86_21:
	s_delay_alu instid0(SALU_CYCLE_1) | instskip(NEXT) | instid1(SALU_CYCLE_1)
	s_or_b32 exec_lo, exec_lo, s10
	s_mov_b32 s10, exec_lo
	v_cmpx_lt_u64_e32 23, v[15:16]
	s_cbranch_execz .LBB86_25
; %bb.22:
	v_lshlrev_b64 v[15:16], 3, v[11:12]
	s_mov_b32 s11, 0
	s_delay_alu instid0(VALU_DEP_1) | instskip(NEXT) | instid1(VALU_DEP_2)
	v_add_co_u32 v15, vcc_lo, v15, s8
	v_add_co_ci_u32_e32 v16, vcc_lo, s9, v16, vcc_lo
	s_delay_alu instid0(VALU_DEP_2) | instskip(NEXT) | instid1(VALU_DEP_2)
	v_add_co_u32 v15, vcc_lo, 0x80, v15
	v_add_co_ci_u32_e32 v16, vcc_lo, 0, v16, vcc_lo
.LBB86_23:                              ; =>This Inner Loop Header: Depth=1
	s_clause 0x3
	global_load_b64 v[37:38], v[15:16], off offset:-128
	global_load_b64 v[39:40], v[15:16], off offset:-64
	global_load_b64 v[41:42], v[15:16], off
	global_load_b64 v[43:44], v[15:16], off offset:64
	s_clause 0x3
	global_load_b128 v[17:20], v[13:14], off
	global_load_b128 v[25:28], v[13:14], off offset:128
	global_load_b128 v[29:32], v[13:14], off offset:256
	;; [unrolled: 1-line block ×3, first 2 shown]
	v_add_co_u32 v13, vcc_lo, 0x200, v13
	v_add_co_ci_u32_e32 v14, vcc_lo, 0, v14, vcc_lo
	v_add_co_u32 v11, vcc_lo, v11, 32
	v_add_co_ci_u32_e32 v12, vcc_lo, 0, v12, vcc_lo
	;; [unrolled: 2-line block ×3, first 2 shown]
	s_waitcnt vmcnt(7)
	v_sub_co_u32 v37, vcc_lo, v37, s20
	v_subrev_co_ci_u32_e32 v38, vcc_lo, s3, v38, vcc_lo
	s_waitcnt vmcnt(3)
	v_bfe_i32 v45, v17, 0, 8
	v_lshrrev_b32_e32 v46, 8, v17
	v_lshrrev_b32_e32 v47, 16, v17
	;; [unrolled: 1-line block ×3, first 2 shown]
	v_sub_co_u32 v17, vcc_lo, v39, s20
	v_bfe_i32 v49, v18, 0, 8
	v_lshrrev_b32_e32 v50, 8, v18
	v_lshrrev_b32_e32 v51, 16, v18
	;; [unrolled: 1-line block ×3, first 2 shown]
	v_subrev_co_ci_u32_e32 v18, vcc_lo, s3, v40, vcc_lo
	v_sub_co_u32 v39, vcc_lo, v41, s20
	v_lshlrev_b64 v[37:38], 2, v[37:38]
	v_subrev_co_ci_u32_e32 v40, vcc_lo, s3, v42, vcc_lo
	v_sub_co_u32 v41, vcc_lo, v43, s20
	v_lshlrev_b64 v[17:18], 2, v[17:18]
	v_subrev_co_ci_u32_e32 v42, vcc_lo, s3, v44, vcc_lo
	s_delay_alu instid0(VALU_DEP_4) | instskip(SKIP_2) | instid1(VALU_DEP_4)
	v_lshlrev_b64 v[39:40], 2, v[39:40]
	v_add_co_u32 v37, vcc_lo, s4, v37
	v_add_co_ci_u32_e32 v38, vcc_lo, s5, v38, vcc_lo
	v_lshlrev_b64 v[41:42], 2, v[41:42]
	v_add_co_u32 v17, vcc_lo, s4, v17
	v_add_co_ci_u32_e32 v18, vcc_lo, s5, v18, vcc_lo
	v_add_co_u32 v39, vcc_lo, s4, v39
	v_add_co_ci_u32_e32 v40, vcc_lo, s5, v40, vcc_lo
	;; [unrolled: 2-line block ×3, first 2 shown]
	s_clause 0x3
	global_load_b32 v37, v[37:38], off
	global_load_b32 v17, v[17:18], off
	;; [unrolled: 1-line block ×4, first 2 shown]
	v_bfe_i32 v53, v19, 0, 8
	v_lshrrev_b32_e32 v54, 8, v19
	v_lshrrev_b32_e32 v55, 16, v19
	v_bfe_i32 v46, v46, 0, 8
	v_bfe_i32 v45, v45, 0, 16
	;; [unrolled: 1-line block ×4, first 2 shown]
	v_lshrrev_b32_e32 v19, 24, v19
	v_bfe_i32 v55, v55, 0, 8
	v_bfe_i32 v49, v49, 0, 16
	v_cvt_f32_i32_e32 v45, v45
	v_bfe_i32 v46, v46, 0, 16
	v_cvt_f32_i32_e32 v53, v53
	v_bfe_i32 v54, v54, 0, 16
	s_waitcnt vmcnt(6)
	v_lshrrev_b32_e32 v41, 16, v25
	v_bfe_i32 v19, v19, 0, 8
	v_cvt_f32_i32_e32 v49, v49
	v_bfe_i32 v55, v55, 0, 16
	v_cvt_f32_i32_e32 v46, v46
	v_cvt_f32_i32_e32 v54, v54
	v_lshrrev_b32_e32 v44, 16, v26
	v_bfe_i32 v59, v27, 0, 8
	v_lshrrev_b32_e32 v60, 8, v27
	v_bfe_i32 v47, v47, 0, 8
	v_bfe_i32 v41, v41, 0, 8
	;; [unrolled: 1-line block ×3, first 2 shown]
	v_cvt_f32_i32_e32 v55, v55
	v_bfe_i32 v56, v20, 0, 8
	v_lshrrev_b32_e32 v57, 8, v20
	v_lshrrev_b32_e32 v63, 8, v28
	v_bfe_i32 v48, v48, 0, 8
	v_bfe_i32 v44, v44, 0, 8
	;; [unrolled: 1-line block ×6, first 2 shown]
	v_cvt_f32_i32_e32 v19, v19
	v_lshrrev_b32_e32 v58, 16, v20
	v_bfe_i32 v39, v25, 0, 8
	v_lshrrev_b32_e32 v40, 8, v25
	v_lshrrev_b32_e32 v64, 16, v28
	v_bfe_i32 v50, v50, 0, 8
	v_bfe_i32 v57, v57, 0, 8
	;; [unrolled: 1-line block ×6, first 2 shown]
	v_cvt_f32_i32_e32 v59, v59
	v_bfe_i32 v60, v60, 0, 16
	v_cvt_f32_i32_e32 v47, v47
	v_cvt_f32_i32_e32 v41, v41
	v_lshrrev_b32_e32 v20, 24, v20
	v_lshrrev_b32_e32 v43, 8, v26
	v_bfe_i32 v58, v58, 0, 8
	v_bfe_i32 v40, v40, 0, 8
	v_bfe_i32 v64, v64, 0, 8
	v_bfe_i32 v39, v39, 0, 16
	v_bfe_i32 v50, v50, 0, 16
	v_cvt_f32_i32_e32 v56, v56
	v_bfe_i32 v57, v57, 0, 16
	v_bfe_i32 v63, v63, 0, 16
	v_cvt_f32_i32_e32 v48, v48
	v_cvt_f32_i32_e32 v44, v44
	;; [unrolled: 1-line block ×3, first 2 shown]
	v_lshrrev_b32_e32 v61, 16, v27
	v_bfe_i32 v20, v20, 0, 8
	v_bfe_i32 v43, v43, 0, 8
	;; [unrolled: 1-line block ×3, first 2 shown]
	v_cvt_f32_i32_e32 v39, v39
	v_bfe_i32 v40, v40, 0, 16
	v_bfe_i32 v64, v64, 0, 16
	v_cvt_f32_i32_e32 v50, v50
	v_cvt_f32_i32_e32 v57, v57
	v_cvt_f32_i32_e32 v63, v63
	v_lshrrev_b32_e32 v27, 24, v27
	s_waitcnt vmcnt(5)
	v_bfe_i32 v65, v29, 0, 8
	v_bfe_i32 v51, v51, 0, 8
	;; [unrolled: 1-line block ×5, first 2 shown]
	v_cvt_f32_i32_e32 v58, v58
	v_cvt_f32_i32_e32 v40, v40
	;; [unrolled: 1-line block ×3, first 2 shown]
	v_lshrrev_b32_e32 v70, 16, v30
	v_bfe_i32 v52, v52, 0, 8
	v_bfe_i32 v27, v27, 0, 8
	;; [unrolled: 1-line block ×5, first 2 shown]
	v_cvt_f32_i32_e32 v20, v20
	v_cvt_f32_i32_e32 v43, v43
	v_bfe_i32 v42, v26, 0, 8
	v_bfe_i32 v71, v31, 0, 8
	v_lshrrev_b32_e32 v73, 16, v31
	v_bfe_i32 v70, v70, 0, 8
	v_bfe_i32 v52, v52, 0, 16
	;; [unrolled: 1-line block ×3, first 2 shown]
	v_cvt_f32_i32_e32 v65, v65
	v_cvt_f32_i32_e32 v51, v51
	;; [unrolled: 1-line block ×3, first 2 shown]
	v_lshrrev_b32_e32 v25, 24, v25
	v_bfe_i32 v42, v42, 0, 16
	v_bfe_i32 v73, v73, 0, 8
	v_bfe_i32 v71, v71, 0, 16
	v_bfe_i32 v70, v70, 0, 16
	v_cvt_f32_i32_e32 v52, v52
	v_cvt_f32_i32_e32 v27, v27
	v_lshrrev_b32_e32 v26, 24, v26
	v_bfe_i32 v25, v25, 0, 8
	v_cvt_f32_i32_e32 v42, v42
	v_cvt_f32_i32_e32 v71, v71
	v_bfe_i32 v73, v73, 0, 16
	v_cvt_f32_i32_e32 v70, v70
	v_bfe_i32 v62, v28, 0, 8
	v_bfe_i32 v74, v32, 0, 8
	v_lshrrev_b32_e32 v76, 16, v32
	v_bfe_i32 v26, v26, 0, 8
	v_bfe_i32 v25, v25, 0, 16
	v_cvt_f32_i32_e32 v73, v73
	v_bfe_i32 v68, v30, 0, 8
	v_bfe_i32 v62, v62, 0, 16
	;; [unrolled: 1-line block ×5, first 2 shown]
	v_cvt_f32_i32_e32 v25, v25
	v_lshrrev_b32_e32 v28, 24, v28
	v_bfe_i32 v68, v68, 0, 16
	v_cvt_f32_i32_e32 v62, v62
	v_cvt_f32_i32_e32 v74, v74
	v_bfe_i32 v76, v76, 0, 16
	v_cvt_f32_i32_e32 v26, v26
	v_lshrrev_b32_e32 v66, 8, v29
	v_lshrrev_b32_e32 v67, 16, v29
	v_bfe_i32 v28, v28, 0, 8
	v_cvt_f32_i32_e32 v68, v68
	v_cvt_f32_i32_e32 v76, v76
	v_bfe_i32 v66, v66, 0, 8
	v_bfe_i32 v67, v67, 0, 8
	;; [unrolled: 1-line block ×3, first 2 shown]
	v_lshrrev_b32_e32 v69, 8, v30
	v_lshrrev_b32_e32 v72, 8, v31
	;; [unrolled: 1-line block ×3, first 2 shown]
	s_waitcnt vmcnt(4)
	v_bfe_i32 v83, v35, 0, 8
	v_bfe_i32 v66, v66, 0, 16
	;; [unrolled: 1-line block ×3, first 2 shown]
	v_cvt_f32_i32_e32 v28, v28
	v_lshrrev_b32_e32 v29, 24, v29
	v_bfe_i32 v69, v69, 0, 8
	v_bfe_i32 v72, v72, 0, 8
	;; [unrolled: 1-line block ×4, first 2 shown]
	v_cvt_f32_i32_e32 v66, v66
	v_cvt_f32_i32_e32 v67, v67
	v_lshrrev_b32_e32 v32, 24, v32
	v_bfe_i32 v77, v33, 0, 8
	v_bfe_i32 v80, v34, 0, 8
	;; [unrolled: 1-line block ×3, first 2 shown]
	v_lshrrev_b32_e32 v88, 16, v36
	v_bfe_i32 v29, v29, 0, 8
	v_bfe_i32 v69, v69, 0, 16
	;; [unrolled: 1-line block ×4, first 2 shown]
	v_cvt_f32_i32_e32 v83, v83
	v_lshrrev_b32_e32 v31, 24, v31
	v_lshrrev_b32_e32 v79, 16, v33
	v_bfe_i32 v32, v32, 0, 8
	v_bfe_i32 v88, v88, 0, 8
	;; [unrolled: 1-line block ×6, first 2 shown]
	v_cvt_f32_i32_e32 v69, v69
	v_cvt_f32_i32_e32 v72, v72
	;; [unrolled: 1-line block ×3, first 2 shown]
	v_lshrrev_b32_e32 v30, 24, v30
	v_lshrrev_b32_e32 v82, 16, v34
	v_bfe_i32 v31, v31, 0, 8
	v_bfe_i32 v79, v79, 0, 8
	;; [unrolled: 1-line block ×3, first 2 shown]
	v_cvt_f32_i32_e32 v77, v77
	v_cvt_f32_i32_e32 v80, v80
	;; [unrolled: 1-line block ×3, first 2 shown]
	v_bfe_i32 v88, v88, 0, 16
	v_cvt_f32_i32_e32 v29, v29
	v_lshrrev_b32_e32 v84, 8, v35
	v_lshrrev_b32_e32 v85, 16, v35
	v_bfe_i32 v30, v30, 0, 8
	v_bfe_i32 v82, v82, 0, 8
	;; [unrolled: 1-line block ×4, first 2 shown]
	v_cvt_f32_i32_e32 v32, v32
	v_cvt_f32_i32_e32 v88, v88
	v_bfe_i32 v84, v84, 0, 8
	v_bfe_i32 v85, v85, 0, 8
	;; [unrolled: 1-line block ×4, first 2 shown]
	v_cvt_f32_i32_e32 v31, v31
	v_cvt_f32_i32_e32 v79, v79
	v_lshrrev_b32_e32 v78, 8, v33
	v_lshrrev_b32_e32 v81, 8, v34
	;; [unrolled: 1-line block ×3, first 2 shown]
	v_bfe_i32 v84, v84, 0, 16
	v_bfe_i32 v85, v85, 0, 16
	v_cvt_f32_i32_e32 v30, v30
	v_cvt_f32_i32_e32 v82, v82
	v_bfe_i32 v78, v78, 0, 8
	v_bfe_i32 v81, v81, 0, 8
	;; [unrolled: 1-line block ×3, first 2 shown]
	v_cvt_f32_i32_e32 v84, v84
	v_cvt_f32_i32_e32 v85, v85
	v_lshrrev_b32_e32 v33, 24, v33
	v_lshrrev_b32_e32 v34, 24, v34
	;; [unrolled: 1-line block ×4, first 2 shown]
	v_bfe_i32 v78, v78, 0, 16
	v_bfe_i32 v81, v81, 0, 16
	;; [unrolled: 1-line block ×7, first 2 shown]
	v_cvt_f32_i32_e32 v78, v78
	v_cvt_f32_i32_e32 v81, v81
	;; [unrolled: 1-line block ×3, first 2 shown]
	v_bfe_i32 v33, v33, 0, 16
	v_bfe_i32 v34, v34, 0, 16
	;; [unrolled: 1-line block ×4, first 2 shown]
	v_cmp_ge_i64_e32 vcc_lo, v[11:12], v[5:6]
	v_cvt_f32_i32_e32 v33, v33
	v_cvt_f32_i32_e32 v34, v34
	;; [unrolled: 1-line block ×4, first 2 shown]
	s_or_b32 s11, vcc_lo, s11
	s_waitcnt vmcnt(3)
	v_bfe_i32 v90, v37, 0, 8
	v_lshrrev_b32_e32 v91, 8, v37
	v_lshrrev_b32_e32 v89, 16, v37
	;; [unrolled: 1-line block ×3, first 2 shown]
	s_waitcnt vmcnt(2)
	v_bfe_i32 v93, v17, 0, 8
	v_bfe_i32 v90, v90, 0, 16
	;; [unrolled: 1-line block ×5, first 2 shown]
	v_lshrrev_b32_e32 v94, 8, v17
	v_cvt_f32_i32_e32 v90, v90
	v_bfe_i32 v91, v91, 0, 16
	v_bfe_i32 v89, v89, 0, 16
	;; [unrolled: 1-line block ×4, first 2 shown]
	v_fmac_f32_e32 v23, v53, v90
	v_fmac_f32_e32 v22, v45, v90
	v_cvt_f32_i32_e32 v45, v91
	v_bfe_i32 v93, v93, 0, 16
	v_cvt_f32_i32_e32 v37, v37
	v_bfe_i32 v94, v94, 0, 16
	v_lshrrev_b32_e32 v92, 16, v17
	v_dual_fmac_f32 v23, v54, v45 :: v_dual_fmac_f32 v24, v49, v90
	v_cvt_f32_i32_e32 v49, v89
	v_cvt_f32_i32_e32 v93, v93
	v_fmac_f32_e32 v22, v46, v45
	v_lshrrev_b32_e32 v17, 24, v17
	s_waitcnt vmcnt(1)
	v_bfe_i32 v96, v18, 0, 8
	v_fmac_f32_e32 v23, v55, v49
	v_dual_fmac_f32 v21, v56, v90 :: v_dual_fmac_f32 v24, v50, v45
	v_bfe_i32 v92, v92, 0, 8
	v_bfe_i32 v17, v17, 0, 8
	s_delay_alu instid0(VALU_DEP_4)
	v_fmac_f32_e32 v23, v19, v37
	v_cvt_f32_i32_e32 v19, v94
	v_bfe_i32 v96, v96, 0, 16
	v_bfe_i32 v92, v92, 0, 16
	;; [unrolled: 1-line block ×3, first 2 shown]
	v_fmac_f32_e32 v23, v59, v93
	v_fmac_f32_e32 v22, v47, v49
	v_cvt_f32_i32_e32 v96, v96
	v_lshrrev_b32_e32 v95, 16, v18
	v_cvt_f32_i32_e32 v17, v17
	v_fmac_f32_e32 v23, v60, v19
	v_fmac_f32_e32 v22, v48, v37
	v_lshrrev_b32_e32 v97, 8, v18
	v_bfe_i32 v95, v95, 0, 8
	s_waitcnt vmcnt(0)
	v_bfe_i32 v99, v38, 0, 8
	v_lshrrev_b32_e32 v18, 24, v18
	v_fmac_f32_e32 v22, v39, v93
	v_fmac_f32_e32 v21, v57, v45
	v_bfe_i32 v97, v97, 0, 8
	v_bfe_i32 v95, v95, 0, 16
	;; [unrolled: 1-line block ×3, first 2 shown]
	s_delay_alu instid0(VALU_DEP_4) | instskip(NEXT) | instid1(VALU_DEP_4)
	v_dual_fmac_f32 v22, v40, v19 :: v_dual_fmac_f32 v21, v58, v49
	v_bfe_i32 v97, v97, 0, 16
	v_lshrrev_b32_e32 v98, 16, v38
	v_bfe_i32 v18, v18, 0, 8
	v_cvt_f32_i32_e32 v99, v99
	v_fmac_f32_e32 v21, v20, v37
	v_cvt_f32_i32_e32 v20, v92
	v_fmac_f32_e32 v24, v51, v49
	v_bfe_i32 v98, v98, 0, 8
	v_bfe_i32 v18, v18, 0, 16
	v_lshrrev_b32_e32 v100, 8, v38
	v_fmac_f32_e32 v23, v61, v20
	v_fmac_f32_e32 v22, v41, v20
	v_lshrrev_b32_e32 v38, 24, v38
	s_delay_alu instid0(VALU_DEP_4) | instskip(NEXT) | instid1(VALU_DEP_4)
	v_bfe_i32 v100, v100, 0, 8
	v_fmac_f32_e32 v23, v27, v17
	v_fmac_f32_e32 v24, v52, v37
	;; [unrolled: 1-line block ×3, first 2 shown]
	v_bfe_i32 v38, v38, 0, 8
	v_bfe_i32 v45, v100, 0, 16
	s_delay_alu instid0(VALU_DEP_4) | instskip(NEXT) | instid1(VALU_DEP_4)
	v_dual_fmac_f32 v23, v71, v96 :: v_dual_fmac_f32 v24, v42, v93
	v_fmac_f32_e32 v22, v65, v96
	s_delay_alu instid0(VALU_DEP_2) | instskip(NEXT) | instid1(VALU_DEP_1)
	v_fmac_f32_e32 v24, v43, v19
	v_fmac_f32_e32 v24, v44, v20
	s_delay_alu instid0(VALU_DEP_1) | instskip(NEXT) | instid1(VALU_DEP_1)
	v_fmac_f32_e32 v24, v26, v17
	v_dual_fmac_f32 v21, v62, v93 :: v_dual_fmac_f32 v24, v68, v96
	s_delay_alu instid0(VALU_DEP_1) | instskip(SKIP_1) | instid1(VALU_DEP_2)
	v_fmac_f32_e32 v21, v63, v19
	v_bfe_i32 v19, v98, 0, 16
	v_fmac_f32_e32 v21, v64, v20
	v_cvt_f32_i32_e32 v20, v95
	s_delay_alu instid0(VALU_DEP_3) | instskip(NEXT) | instid1(VALU_DEP_3)
	v_cvt_f32_i32_e32 v19, v19
	v_fmac_f32_e32 v21, v28, v17
	v_cvt_f32_i32_e32 v17, v97
	s_delay_alu instid0(VALU_DEP_1) | instskip(SKIP_1) | instid1(VALU_DEP_2)
	v_fmac_f32_e32 v22, v66, v17
	v_fmac_f32_e32 v24, v69, v17
	v_dual_fmac_f32 v23, v72, v17 :: v_dual_fmac_f32 v22, v67, v20
	v_fmac_f32_e32 v21, v74, v96
	s_delay_alu instid0(VALU_DEP_1) | instskip(SKIP_2) | instid1(VALU_DEP_2)
	v_fmac_f32_e32 v21, v75, v17
	v_cvt_f32_i32_e32 v17, v18
	v_bfe_i32 v18, v38, 0, 16
	v_dual_fmac_f32 v21, v76, v20 :: v_dual_fmac_f32 v22, v29, v17
	s_delay_alu instid0(VALU_DEP_1) | instskip(SKIP_1) | instid1(VALU_DEP_2)
	v_dual_fmac_f32 v21, v32, v17 :: v_dual_fmac_f32 v22, v77, v99
	v_fmac_f32_e32 v23, v73, v20
	v_fmac_f32_e32 v21, v86, v99
	s_delay_alu instid0(VALU_DEP_2) | instskip(NEXT) | instid1(VALU_DEP_1)
	v_dual_fmac_f32 v24, v70, v20 :: v_dual_fmac_f32 v23, v31, v17
	v_fmac_f32_e32 v24, v30, v17
	v_cvt_f32_i32_e32 v17, v45
	s_delay_alu instid0(VALU_DEP_1) | instskip(NEXT) | instid1(VALU_DEP_1)
	v_dual_fmac_f32 v23, v83, v99 :: v_dual_fmac_f32 v22, v78, v17
	v_fmac_f32_e32 v23, v84, v17
	v_fmac_f32_e32 v21, v87, v17
	s_delay_alu instid0(VALU_DEP_3) | instskip(NEXT) | instid1(VALU_DEP_3)
	v_fmac_f32_e32 v22, v79, v19
	v_fmac_f32_e32 v23, v85, v19
	;; [unrolled: 1-line block ×3, first 2 shown]
	s_delay_alu instid0(VALU_DEP_1) | instskip(SKIP_1) | instid1(VALU_DEP_2)
	v_dual_fmac_f32 v21, v88, v19 :: v_dual_fmac_f32 v24, v81, v17
	v_cvt_f32_i32_e32 v17, v18
	v_fmac_f32_e32 v24, v82, v19
	s_delay_alu instid0(VALU_DEP_2) | instskip(SKIP_2) | instid1(VALU_DEP_4)
	v_fmac_f32_e32 v22, v33, v17
	v_fmac_f32_e32 v23, v35, v17
	;; [unrolled: 1-line block ×4, first 2 shown]
	s_and_not1_b32 exec_lo, exec_lo, s11
	s_cbranch_execnz .LBB86_23
; %bb.24:
	s_or_b32 exec_lo, exec_lo, s11
.LBB86_25:
	s_delay_alu instid0(SALU_CYCLE_1)
	s_or_b32 exec_lo, exec_lo, s10
.LBB86_26:
	s_delay_alu instid0(SALU_CYCLE_1) | instskip(NEXT) | instid1(SALU_CYCLE_1)
	s_or_b32 exec_lo, exec_lo, s7
	s_and_not1_b32 vcc_lo, exec_lo, s6
	s_cbranch_vccz .LBB86_28
	s_branch .LBB86_39
.LBB86_27:
                                        ; implicit-def: $vgpr21
                                        ; implicit-def: $vgpr23
                                        ; implicit-def: $vgpr24
                                        ; implicit-def: $vgpr22
.LBB86_28:
	v_dual_mov_b32 v21, 0 :: v_dual_mov_b32 v24, 0
	v_dual_mov_b32 v23, 0 :: v_dual_mov_b32 v22, 0
	s_delay_alu instid0(VALU_DEP_3)
	s_and_saveexec_b32 s6, s2
	s_cbranch_execz .LBB86_38
; %bb.29:
	v_or_b32_e32 v11, 8, v2
	v_mov_b32_e32 v23, 0
	v_dual_mov_b32 v21, 0 :: v_dual_mov_b32 v22, 0
	v_mov_b32_e32 v24, 0
	s_delay_alu instid0(VALU_DEP_4) | instskip(NEXT) | instid1(VALU_DEP_1)
	v_sub_co_u32 v11, s2, v11, s20
	v_sub_co_ci_u32_e64 v12, null, 0, s3, s2
	v_sub_co_u32 v13, s2, s20, v2
	s_delay_alu instid0(VALU_DEP_3) | instskip(NEXT) | instid1(VALU_DEP_3)
	v_add_co_u32 v11, vcc_lo, v11, v9
	v_add_co_ci_u32_e32 v12, vcc_lo, v12, v10, vcc_lo
	v_not_b32_e32 v9, v9
	v_not_b32_e32 v10, v10
	v_sub_co_ci_u32_e64 v14, null, s3, 0, s2
	s_delay_alu instid0(VALU_DEP_4) | instskip(SKIP_4) | instid1(VALU_DEP_2)
	v_cmp_gt_i64_e32 vcc_lo, v[11:12], v[5:6]
	s_mov_b32 s2, exec_lo
	v_dual_cndmask_b32 v12, v6, v12 :: v_dual_cndmask_b32 v11, v5, v11
	v_add_co_u32 v9, vcc_lo, v13, v9
	v_add_co_ci_u32_e32 v10, vcc_lo, v14, v10, vcc_lo
	v_add_co_u32 v9, vcc_lo, v9, v11
	s_delay_alu instid0(VALU_DEP_2) | instskip(NEXT) | instid1(VALU_DEP_2)
	v_add_co_ci_u32_e32 v10, vcc_lo, v10, v12, vcc_lo
	v_lshrrev_b32_e32 v11, 3, v9
	s_delay_alu instid0(VALU_DEP_1) | instskip(NEXT) | instid1(VALU_DEP_1)
	v_add_nc_u32_e32 v11, 1, v11
	v_and_b32_e32 v11, 3, v11
	s_delay_alu instid0(VALU_DEP_1)
	v_cmpx_ne_u32_e32 0, v11
	s_cbranch_execz .LBB86_33
; %bb.30:
	v_lshlrev_b64 v[13:14], 3, v[0:1]
	v_dual_mov_b32 v12, 0 :: v_dual_lshlrev_b32 v11, 1, v11
	s_mov_b32 s7, 0
	s_delay_alu instid0(VALU_DEP_1) | instskip(NEXT) | instid1(VALU_DEP_3)
	v_mov_b32_e32 v21, v12
	v_add_co_u32 v13, vcc_lo, s8, v13
	s_delay_alu instid0(VALU_DEP_4)
	v_add_co_ci_u32_e32 v14, vcc_lo, s9, v14, vcc_lo
	v_mov_b32_e32 v23, v12
	v_mov_b32_e32 v24, v12
	;; [unrolled: 1-line block ×3, first 2 shown]
.LBB86_31:                              ; =>This Inner Loop Header: Depth=1
	global_load_b64 v[19:20], v[13:14], off
	global_load_b128 v[15:18], v[7:8], off
	s_waitcnt vmcnt(1)
	v_sub_co_u32 v19, vcc_lo, v19, s20
	v_subrev_co_ci_u32_e32 v20, vcc_lo, s3, v20, vcc_lo
	s_waitcnt vmcnt(0)
	v_lshrrev_b32_e32 v25, 8, v15
	v_lshrrev_b32_e32 v26, 16, v15
	v_bfe_i32 v27, v16, 0, 8
	v_lshlrev_b64 v[19:20], 2, v[19:20]
	v_lshrrev_b32_e32 v28, 8, v16
	v_lshrrev_b32_e32 v29, 16, v16
	;; [unrolled: 1-line block ×3, first 2 shown]
	v_bfe_i32 v30, v17, 0, 8
	v_lshrrev_b32_e32 v31, 8, v17
	v_add_co_u32 v19, vcc_lo, s4, v19
	v_add_co_ci_u32_e32 v20, vcc_lo, s5, v20, vcc_lo
	v_lshrrev_b32_e32 v32, 16, v17
	v_lshrrev_b32_e32 v17, 24, v17
	v_bfe_i32 v26, v26, 0, 8
	global_load_b32 v19, v[19:20], off
	v_bfe_i32 v20, v15, 0, 8
	v_lshrrev_b32_e32 v15, 24, v15
	v_bfe_i32 v25, v25, 0, 8
	v_bfe_i32 v29, v29, 0, 8
	;; [unrolled: 1-line block ×12, first 2 shown]
	v_cvt_f32_i32_e32 v20, v20
	v_bfe_i32 v25, v25, 0, 16
	v_bfe_i32 v29, v29, 0, 16
	;; [unrolled: 1-line block ×5, first 2 shown]
	v_cvt_f32_i32_e32 v26, v26
	v_cvt_f32_i32_e32 v15, v15
	v_bfe_i32 v33, v18, 0, 8
	v_lshrrev_b32_e32 v34, 8, v18
	v_lshrrev_b32_e32 v35, 16, v18
	;; [unrolled: 1-line block ×3, first 2 shown]
	v_bfe_i32 v27, v27, 0, 16
	v_bfe_i32 v28, v28, 0, 16
	v_cvt_f32_i32_e32 v30, v30
	v_bfe_i32 v32, v32, 0, 16
	v_cvt_f32_i32_e32 v25, v25
	v_cvt_f32_i32_e32 v29, v29
	;; [unrolled: 1-line block ×5, first 2 shown]
	v_add_co_u32 v7, vcc_lo, 0x80, v7
	v_add_co_ci_u32_e32 v8, vcc_lo, 0, v8, vcc_lo
	v_add_co_u32 v0, vcc_lo, v0, 8
	v_bfe_i32 v34, v34, 0, 8
	v_bfe_i32 v35, v35, 0, 8
	;; [unrolled: 1-line block ×3, first 2 shown]
	v_cvt_f32_i32_e32 v27, v27
	v_cvt_f32_i32_e32 v28, v28
	;; [unrolled: 1-line block ×3, first 2 shown]
	v_add_co_ci_u32_e32 v1, vcc_lo, 0, v1, vcc_lo
	v_add_co_u32 v13, vcc_lo, v13, 64
	v_add_co_ci_u32_e32 v14, vcc_lo, 0, v14, vcc_lo
	v_add_co_u32 v11, vcc_lo, v11, -2
	v_bfe_i32 v33, v33, 0, 16
	v_bfe_i32 v34, v34, 0, 16
	;; [unrolled: 1-line block ×4, first 2 shown]
	v_add_co_ci_u32_e32 v12, vcc_lo, -1, v12, vcc_lo
	v_cvt_f32_i32_e32 v33, v33
	v_cvt_f32_i32_e32 v34, v34
	;; [unrolled: 1-line block ×4, first 2 shown]
	v_cmp_eq_u64_e32 vcc_lo, 0, v[11:12]
	s_or_b32 s7, vcc_lo, s7
	s_waitcnt vmcnt(0)
	v_bfe_i32 v36, v19, 0, 8
	v_lshrrev_b32_e32 v37, 8, v19
	v_lshrrev_b32_e32 v38, 16, v19
	;; [unrolled: 1-line block ×3, first 2 shown]
	s_delay_alu instid0(VALU_DEP_4) | instskip(NEXT) | instid1(VALU_DEP_4)
	v_bfe_i32 v36, v36, 0, 16
	v_bfe_i32 v37, v37, 0, 8
	s_delay_alu instid0(VALU_DEP_4) | instskip(NEXT) | instid1(VALU_DEP_4)
	v_bfe_i32 v38, v38, 0, 8
	v_bfe_i32 v19, v19, 0, 8
	s_delay_alu instid0(VALU_DEP_4) | instskip(NEXT) | instid1(VALU_DEP_4)
	v_cvt_f32_i32_e32 v36, v36
	v_bfe_i32 v37, v37, 0, 16
	s_delay_alu instid0(VALU_DEP_4) | instskip(NEXT) | instid1(VALU_DEP_4)
	v_bfe_i32 v38, v38, 0, 16
	v_bfe_i32 v19, v19, 0, 16
	s_delay_alu instid0(VALU_DEP_4) | instskip(NEXT) | instid1(VALU_DEP_3)
	v_fmac_f32_e32 v21, v15, v36
	v_cvt_f32_i32_e32 v15, v38
	v_fmac_f32_e32 v22, v20, v36
	v_cvt_f32_i32_e32 v20, v37
	v_fmac_f32_e32 v23, v26, v36
	s_delay_alu instid0(VALU_DEP_2) | instskip(NEXT) | instid1(VALU_DEP_2)
	v_fmac_f32_e32 v21, v16, v20
	v_fmac_f32_e32 v23, v29, v20
	;; [unrolled: 1-line block ×3, first 2 shown]
	v_cvt_f32_i32_e32 v16, v19
	s_delay_alu instid0(VALU_DEP_4) | instskip(NEXT) | instid1(VALU_DEP_4)
	v_fmac_f32_e32 v21, v17, v15
	v_dual_fmac_f32 v23, v32, v15 :: v_dual_fmac_f32 v22, v27, v20
	s_delay_alu instid0(VALU_DEP_4) | instskip(NEXT) | instid1(VALU_DEP_3)
	v_fmac_f32_e32 v24, v28, v20
	v_fmac_f32_e32 v21, v18, v16
	s_delay_alu instid0(VALU_DEP_3) | instskip(NEXT) | instid1(VALU_DEP_3)
	v_dual_fmac_f32 v23, v35, v16 :: v_dual_fmac_f32 v22, v30, v15
	v_fmac_f32_e32 v24, v31, v15
	s_delay_alu instid0(VALU_DEP_2) | instskip(NEXT) | instid1(VALU_DEP_2)
	v_fmac_f32_e32 v22, v33, v16
	v_fmac_f32_e32 v24, v34, v16
	s_and_not1_b32 exec_lo, exec_lo, s7
	s_cbranch_execnz .LBB86_31
; %bb.32:
	s_or_b32 exec_lo, exec_lo, s7
.LBB86_33:
	s_delay_alu instid0(SALU_CYCLE_1) | instskip(NEXT) | instid1(SALU_CYCLE_1)
	s_or_b32 exec_lo, exec_lo, s2
	s_mov_b32 s2, exec_lo
	v_cmpx_lt_u64_e32 23, v[9:10]
	s_cbranch_execz .LBB86_37
; %bb.34:
	v_lshlrev_b64 v[9:10], 3, v[0:1]
	s_mov_b32 s7, 0
	s_delay_alu instid0(VALU_DEP_1) | instskip(NEXT) | instid1(VALU_DEP_2)
	v_add_co_u32 v9, vcc_lo, v9, s8
	v_add_co_ci_u32_e32 v10, vcc_lo, s9, v10, vcc_lo
	s_delay_alu instid0(VALU_DEP_2) | instskip(NEXT) | instid1(VALU_DEP_2)
	v_add_co_u32 v9, vcc_lo, 0x80, v9
	v_add_co_ci_u32_e32 v10, vcc_lo, 0, v10, vcc_lo
.LBB86_35:                              ; =>This Inner Loop Header: Depth=1
	s_clause 0x3
	global_load_b64 v[19:20], v[9:10], off offset:-128
	global_load_b64 v[33:34], v[9:10], off offset:-64
	global_load_b64 v[35:36], v[9:10], off
	global_load_b64 v[37:38], v[9:10], off offset:64
	s_clause 0x3
	global_load_b128 v[11:14], v[7:8], off
	global_load_b128 v[15:18], v[7:8], off offset:128
	global_load_b128 v[25:28], v[7:8], off offset:256
	;; [unrolled: 1-line block ×3, first 2 shown]
	v_add_co_u32 v7, vcc_lo, 0x200, v7
	v_add_co_ci_u32_e32 v8, vcc_lo, 0, v8, vcc_lo
	v_add_co_u32 v0, vcc_lo, v0, 32
	v_add_co_ci_u32_e32 v1, vcc_lo, 0, v1, vcc_lo
	;; [unrolled: 2-line block ×3, first 2 shown]
	s_waitcnt vmcnt(7)
	v_sub_co_u32 v19, vcc_lo, v19, s20
	v_subrev_co_ci_u32_e32 v20, vcc_lo, s3, v20, vcc_lo
	s_waitcnt vmcnt(3)
	v_bfe_i32 v39, v11, 0, 8
	v_lshrrev_b32_e32 v40, 8, v11
	v_lshrrev_b32_e32 v41, 16, v11
	;; [unrolled: 1-line block ×3, first 2 shown]
	v_sub_co_u32 v11, vcc_lo, v33, s20
	v_bfe_i32 v43, v12, 0, 8
	v_lshrrev_b32_e32 v44, 8, v12
	v_lshrrev_b32_e32 v45, 16, v12
	;; [unrolled: 1-line block ×3, first 2 shown]
	v_subrev_co_ci_u32_e32 v12, vcc_lo, s3, v34, vcc_lo
	v_sub_co_u32 v33, vcc_lo, v35, s20
	v_lshlrev_b64 v[19:20], 2, v[19:20]
	v_subrev_co_ci_u32_e32 v34, vcc_lo, s3, v36, vcc_lo
	v_sub_co_u32 v35, vcc_lo, v37, s20
	v_lshlrev_b64 v[11:12], 2, v[11:12]
	v_subrev_co_ci_u32_e32 v36, vcc_lo, s3, v38, vcc_lo
	s_delay_alu instid0(VALU_DEP_4) | instskip(SKIP_2) | instid1(VALU_DEP_4)
	v_lshlrev_b64 v[33:34], 2, v[33:34]
	v_add_co_u32 v19, vcc_lo, s4, v19
	v_add_co_ci_u32_e32 v20, vcc_lo, s5, v20, vcc_lo
	v_lshlrev_b64 v[35:36], 2, v[35:36]
	v_add_co_u32 v11, vcc_lo, s4, v11
	v_add_co_ci_u32_e32 v12, vcc_lo, s5, v12, vcc_lo
	v_add_co_u32 v33, vcc_lo, s4, v33
	v_add_co_ci_u32_e32 v34, vcc_lo, s5, v34, vcc_lo
	;; [unrolled: 2-line block ×3, first 2 shown]
	s_clause 0x3
	global_load_b32 v19, v[19:20], off
	global_load_b32 v11, v[11:12], off
	;; [unrolled: 1-line block ×4, first 2 shown]
	v_bfe_i32 v41, v41, 0, 8
	v_lshrrev_b32_e32 v49, 16, v13
	v_bfe_i32 v40, v40, 0, 8
	v_bfe_i32 v42, v42, 0, 8
	;; [unrolled: 1-line block ×6, first 2 shown]
	v_lshrrev_b32_e32 v48, 8, v13
	v_lshrrev_b32_e32 v13, 24, v13
	;; [unrolled: 1-line block ×3, first 2 shown]
	v_bfe_i32 v44, v44, 0, 8
	v_bfe_i32 v46, v46, 0, 8
	;; [unrolled: 1-line block ×4, first 2 shown]
	v_cvt_f32_i32_e32 v39, v39
	v_bfe_i32 v40, v40, 0, 16
	v_bfe_i32 v42, v42, 0, 16
	;; [unrolled: 1-line block ×3, first 2 shown]
	v_cvt_f32_i32_e32 v41, v41
	v_bfe_i32 v50, v14, 0, 8
	v_lshrrev_b32_e32 v51, 8, v14
	v_lshrrev_b32_e32 v14, 24, v14
	s_waitcnt vmcnt(6)
	v_lshrrev_b32_e32 v35, 16, v15
	v_bfe_i32 v13, v13, 0, 8
	v_bfe_i32 v52, v52, 0, 8
	;; [unrolled: 1-line block ×3, first 2 shown]
	v_cvt_f32_i32_e32 v43, v43
	v_bfe_i32 v44, v44, 0, 16
	v_bfe_i32 v46, v46, 0, 16
	;; [unrolled: 1-line block ×3, first 2 shown]
	v_cvt_f32_i32_e32 v40, v40
	v_cvt_f32_i32_e32 v42, v42
	;; [unrolled: 1-line block ×3, first 2 shown]
	v_bfe_i32 v33, v15, 0, 8
	v_lshrrev_b32_e32 v34, 8, v15
	v_lshrrev_b32_e32 v15, 24, v15
	v_lshrrev_b32_e32 v38, 16, v16
	v_bfe_i32 v48, v48, 0, 8
	v_bfe_i32 v51, v51, 0, 8
	v_bfe_i32 v14, v14, 0, 8
	v_bfe_i32 v50, v50, 0, 16
	v_bfe_i32 v35, v35, 0, 8
	v_cvt_f32_i32_e32 v47, v47
	v_bfe_i32 v13, v13, 0, 16
	v_bfe_i32 v52, v52, 0, 16
	v_cvt_f32_i32_e32 v44, v44
	v_cvt_f32_i32_e32 v46, v46
	;; [unrolled: 1-line block ×3, first 2 shown]
	v_bfe_i32 v36, v16, 0, 8
	v_lshrrev_b32_e32 v37, 8, v16
	v_lshrrev_b32_e32 v16, 24, v16
	v_bfe_i32 v15, v15, 0, 8
	v_bfe_i32 v38, v38, 0, 8
	;; [unrolled: 1-line block ×4, first 2 shown]
	v_cvt_f32_i32_e32 v50, v50
	v_bfe_i32 v51, v51, 0, 16
	v_bfe_i32 v14, v14, 0, 16
	;; [unrolled: 1-line block ×3, first 2 shown]
	v_cvt_f32_i32_e32 v13, v13
	v_cvt_f32_i32_e32 v52, v52
	v_bfe_i32 v53, v17, 0, 8
	v_lshrrev_b32_e32 v54, 8, v17
	v_lshrrev_b32_e32 v55, 16, v17
	;; [unrolled: 1-line block ×3, first 2 shown]
	s_waitcnt vmcnt(4)
	v_lshrrev_b32_e32 v79, 16, v31
	v_bfe_i32 v34, v34, 0, 8
	v_bfe_i32 v37, v37, 0, 8
	;; [unrolled: 1-line block ×4, first 2 shown]
	v_cvt_f32_i32_e32 v33, v33
	v_bfe_i32 v15, v15, 0, 16
	v_bfe_i32 v38, v38, 0, 16
	v_cvt_f32_i32_e32 v48, v48
	v_cvt_f32_i32_e32 v51, v51
	;; [unrolled: 1-line block ×4, first 2 shown]
	v_bfe_i32 v56, v18, 0, 8
	v_lshrrev_b32_e32 v57, 8, v18
	v_lshrrev_b32_e32 v58, 16, v18
	v_lshrrev_b32_e32 v18, 24, v18
	v_bfe_i32 v59, v25, 0, 8
	v_lshrrev_b32_e32 v60, 8, v25
	v_lshrrev_b32_e32 v61, 16, v25
	;; [unrolled: 1-line block ×3, first 2 shown]
	v_bfe_i32 v55, v55, 0, 8
	v_bfe_i32 v17, v17, 0, 8
	;; [unrolled: 1-line block ×5, first 2 shown]
	v_cvt_f32_i32_e32 v36, v36
	v_bfe_i32 v37, v37, 0, 16
	v_bfe_i32 v16, v16, 0, 16
	v_cvt_f32_i32_e32 v15, v15
	v_cvt_f32_i32_e32 v38, v38
	v_lshrrev_b32_e32 v72, 8, v29
	v_bfe_i32 v54, v54, 0, 8
	v_bfe_i32 v58, v58, 0, 8
	;; [unrolled: 1-line block ×6, first 2 shown]
	v_cvt_f32_i32_e32 v53, v53
	v_bfe_i32 v55, v55, 0, 16
	v_bfe_i32 v17, v17, 0, 16
	;; [unrolled: 1-line block ×3, first 2 shown]
	v_cvt_f32_i32_e32 v34, v34
	v_cvt_f32_i32_e32 v37, v37
	;; [unrolled: 1-line block ×3, first 2 shown]
	v_bfe_i32 v62, v26, 0, 8
	v_lshrrev_b32_e32 v63, 8, v26
	v_lshrrev_b32_e32 v64, 16, v26
	;; [unrolled: 1-line block ×3, first 2 shown]
	v_bfe_i32 v71, v29, 0, 8
	v_bfe_i32 v77, v31, 0, 8
	v_lshrrev_b32_e32 v78, 8, v31
	v_lshrrev_b32_e32 v31, 24, v31
	v_bfe_i32 v57, v57, 0, 8
	v_bfe_i32 v61, v61, 0, 8
	;; [unrolled: 1-line block ×5, first 2 shown]
	v_cvt_f32_i32_e32 v56, v56
	v_bfe_i32 v58, v58, 0, 16
	v_bfe_i32 v18, v18, 0, 16
	;; [unrolled: 1-line block ×4, first 2 shown]
	v_cvt_f32_i32_e32 v55, v55
	v_cvt_f32_i32_e32 v17, v17
	;; [unrolled: 1-line block ×3, first 2 shown]
	v_bfe_i32 v65, v27, 0, 8
	v_lshrrev_b32_e32 v66, 8, v27
	v_lshrrev_b32_e32 v67, 16, v27
	;; [unrolled: 1-line block ×3, first 2 shown]
	v_bfe_i32 v64, v64, 0, 8
	v_bfe_i32 v26, v26, 0, 8
	;; [unrolled: 1-line block ×5, first 2 shown]
	v_cvt_f32_i32_e32 v59, v59
	v_bfe_i32 v61, v61, 0, 16
	v_bfe_i32 v72, v72, 0, 16
	v_cvt_f32_i32_e32 v54, v54
	v_cvt_f32_i32_e32 v58, v58
	;; [unrolled: 1-line block ×5, first 2 shown]
	v_bfe_i32 v68, v28, 0, 8
	v_lshrrev_b32_e32 v69, 8, v28
	v_lshrrev_b32_e32 v70, 16, v28
	;; [unrolled: 1-line block ×5, first 2 shown]
	v_bfe_i32 v63, v63, 0, 8
	v_bfe_i32 v67, v67, 0, 8
	;; [unrolled: 1-line block ×5, first 2 shown]
	v_cvt_f32_i32_e32 v71, v71
	v_bfe_i32 v31, v31, 0, 16
	v_cvt_f32_i32_e32 v57, v57
	v_cvt_f32_i32_e32 v61, v61
	;; [unrolled: 1-line block ×3, first 2 shown]
	v_bfe_i32 v70, v70, 0, 8
	v_bfe_i32 v28, v28, 0, 8
	;; [unrolled: 1-line block ×10, first 2 shown]
	v_cvt_f32_i32_e32 v64, v64
	v_cvt_f32_i32_e32 v26, v26
	;; [unrolled: 1-line block ×3, first 2 shown]
	v_bfe_i32 v66, v66, 0, 8
	v_cvt_f32_i32_e32 v62, v62
	v_bfe_i32 v70, v70, 0, 16
	v_bfe_i32 v28, v28, 0, 16
	;; [unrolled: 1-line block ×4, first 2 shown]
	v_cvt_f32_i32_e32 v77, v77
	v_bfe_i32 v78, v78, 0, 16
	v_cvt_f32_i32_e32 v63, v63
	v_cvt_f32_i32_e32 v67, v67
	v_cvt_f32_i32_e32 v27, v27
	v_bfe_i32 v69, v69, 0, 8
	v_bfe_i32 v65, v65, 0, 16
	v_bfe_i32 v66, v66, 0, 16
	v_cvt_f32_i32_e32 v70, v70
	v_cvt_f32_i32_e32 v28, v28
	v_cvt_f32_i32_e32 v73, v73
	v_cvt_f32_i32_e32 v29, v29
	v_cvt_f32_i32_e32 v78, v78
	v_bfe_i32 v74, v30, 0, 8
	v_lshrrev_b32_e32 v75, 8, v30
	v_lshrrev_b32_e32 v76, 16, v30
	;; [unrolled: 1-line block ×3, first 2 shown]
	v_bfe_i32 v68, v68, 0, 16
	v_cvt_f32_i32_e32 v65, v65
	v_bfe_i32 v69, v69, 0, 16
	v_cvt_f32_i32_e32 v66, v66
	v_bfe_i32 v75, v75, 0, 8
	v_bfe_i32 v76, v76, 0, 8
	;; [unrolled: 1-line block ×3, first 2 shown]
	v_cvt_f32_i32_e32 v68, v68
	v_cvt_f32_i32_e32 v69, v69
	v_bfe_i32 v80, v32, 0, 8
	v_lshrrev_b32_e32 v81, 8, v32
	v_lshrrev_b32_e32 v82, 16, v32
	;; [unrolled: 1-line block ×3, first 2 shown]
	v_bfe_i32 v74, v74, 0, 16
	v_bfe_i32 v75, v75, 0, 16
	;; [unrolled: 1-line block ×7, first 2 shown]
	v_cvt_f32_i32_e32 v74, v74
	v_cvt_f32_i32_e32 v75, v75
	;; [unrolled: 1-line block ×4, first 2 shown]
	v_bfe_i32 v80, v80, 0, 16
	v_bfe_i32 v81, v81, 0, 16
	v_bfe_i32 v82, v82, 0, 16
	v_bfe_i32 v32, v32, 0, 16
	v_cmp_ge_i64_e32 vcc_lo, v[0:1], v[5:6]
	v_cvt_f32_i32_e32 v80, v80
	v_cvt_f32_i32_e32 v81, v81
	;; [unrolled: 1-line block ×4, first 2 shown]
	s_or_b32 s7, vcc_lo, s7
	s_waitcnt vmcnt(3)
	v_bfe_i32 v84, v19, 0, 8
	v_lshrrev_b32_e32 v85, 8, v19
	v_lshrrev_b32_e32 v83, 16, v19
	;; [unrolled: 1-line block ×3, first 2 shown]
	s_waitcnt vmcnt(2)
	v_bfe_i32 v87, v11, 0, 8
	v_bfe_i32 v84, v84, 0, 16
	;; [unrolled: 1-line block ×5, first 2 shown]
	v_lshrrev_b32_e32 v88, 8, v11
	v_cvt_f32_i32_e32 v84, v84
	v_bfe_i32 v85, v85, 0, 16
	v_bfe_i32 v83, v83, 0, 16
	;; [unrolled: 1-line block ×3, first 2 shown]
	v_lshrrev_b32_e32 v86, 16, v11
	v_fmac_f32_e32 v23, v41, v84
	v_fmac_f32_e32 v22, v39, v84
	v_cvt_f32_i32_e32 v39, v85
	v_fmac_f32_e32 v21, v42, v84
	v_fmac_f32_e32 v24, v40, v84
	v_cvt_f32_i32_e32 v40, v83
	v_bfe_i32 v88, v88, 0, 8
	v_fmac_f32_e32 v23, v45, v39
	v_fmac_f32_e32 v21, v46, v39
	;; [unrolled: 1-line block ×3, first 2 shown]
	v_bfe_i32 v87, v87, 0, 16
	v_cvt_f32_i32_e32 v19, v19
	v_fmac_f32_e32 v23, v49, v40
	v_lshrrev_b32_e32 v11, 24, v11
	v_fmac_f32_e32 v22, v47, v40
	v_bfe_i32 v86, v86, 0, 8
	v_cvt_f32_i32_e32 v87, v87
	v_fmac_f32_e32 v23, v52, v19
	v_bfe_i32 v88, v88, 0, 16
	v_dual_fmac_f32 v24, v44, v39 :: v_dual_fmac_f32 v21, v13, v40
	v_fmac_f32_e32 v22, v50, v19
	v_bfe_i32 v11, v11, 0, 8
	v_bfe_i32 v86, v86, 0, 16
	s_delay_alu instid0(VALU_DEP_4)
	v_dual_fmac_f32 v24, v48, v40 :: v_dual_fmac_f32 v21, v14, v19
	v_cvt_f32_i32_e32 v14, v88
	v_fmac_f32_e32 v23, v35, v87
	v_fmac_f32_e32 v22, v33, v87
	s_waitcnt vmcnt(1)
	v_bfe_i32 v90, v12, 0, 8
	v_bfe_i32 v11, v11, 0, 16
	v_dual_fmac_f32 v24, v51, v19 :: v_dual_fmac_f32 v23, v38, v14
	v_fmac_f32_e32 v21, v15, v87
	v_cvt_f32_i32_e32 v15, v86
	v_fmac_f32_e32 v22, v36, v14
	v_lshrrev_b32_e32 v91, 8, v12
	s_waitcnt vmcnt(0)
	v_bfe_i32 v93, v20, 0, 8
	v_bfe_i32 v90, v90, 0, 16
	v_dual_fmac_f32 v24, v34, v87 :: v_dual_fmac_f32 v21, v16, v14
	v_cvt_f32_i32_e32 v11, v11
	v_fmac_f32_e32 v22, v53, v15
	v_lshrrev_b32_e32 v89, 16, v12
	v_bfe_i32 v91, v91, 0, 8
	v_bfe_i32 v93, v93, 0, 16
	v_cvt_f32_i32_e32 v90, v90
	v_dual_fmac_f32 v24, v37, v14 :: v_dual_fmac_f32 v23, v55, v15
	v_fmac_f32_e32 v22, v56, v11
	v_fmac_f32_e32 v21, v17, v15
	v_lshrrev_b32_e32 v12, 24, v12
	v_bfe_i32 v89, v89, 0, 8
	v_bfe_i32 v91, v91, 0, 16
	v_fmac_f32_e32 v22, v59, v90
	v_cvt_f32_i32_e32 v93, v93
	v_fmac_f32_e32 v23, v58, v11
	v_fmac_f32_e32 v24, v54, v15
	;; [unrolled: 1-line block ×3, first 2 shown]
	v_bfe_i32 v12, v12, 0, 8
	v_bfe_i32 v89, v89, 0, 16
	v_fmac_f32_e32 v23, v61, v90
	v_fmac_f32_e32 v24, v57, v11
	v_cvt_f32_i32_e32 v11, v91
	v_fmac_f32_e32 v21, v25, v90
	v_bfe_i32 v12, v12, 0, 16
	v_cvt_f32_i32_e32 v15, v89
	v_fmac_f32_e32 v24, v60, v90
	v_fmac_f32_e32 v23, v64, v11
	;; [unrolled: 1-line block ×4, first 2 shown]
	v_lshrrev_b32_e32 v94, 8, v20
	v_fmac_f32_e32 v24, v63, v11
	v_cvt_f32_i32_e32 v11, v12
	v_fmac_f32_e32 v23, v67, v15
	v_fmac_f32_e32 v21, v27, v15
	v_lshrrev_b32_e32 v92, 16, v20
	v_bfe_i32 v94, v94, 0, 8
	v_lshrrev_b32_e32 v20, 24, v20
	v_fmac_f32_e32 v23, v70, v11
	v_fmac_f32_e32 v21, v28, v11
	v_bfe_i32 v92, v92, 0, 8
	v_bfe_i32 v13, v94, 0, 16
	;; [unrolled: 1-line block ×3, first 2 shown]
	v_fmac_f32_e32 v23, v73, v93
	v_fmac_f32_e32 v22, v65, v15
	v_dual_fmac_f32 v21, v29, v93 :: v_dual_fmac_f32 v24, v66, v15
	v_bfe_i32 v14, v92, 0, 16
	v_bfe_i32 v12, v20, 0, 16
	s_delay_alu instid0(VALU_DEP_4) | instskip(NEXT) | instid1(VALU_DEP_4)
	v_fmac_f32_e32 v22, v68, v11
	v_fmac_f32_e32 v24, v69, v11
	v_cvt_f32_i32_e32 v11, v13
	v_cvt_f32_i32_e32 v13, v14
	s_delay_alu instid0(VALU_DEP_4) | instskip(NEXT) | instid1(VALU_DEP_4)
	v_fmac_f32_e32 v22, v71, v93
	v_fmac_f32_e32 v24, v72, v93
	s_delay_alu instid0(VALU_DEP_4) | instskip(SKIP_1) | instid1(VALU_DEP_4)
	v_fmac_f32_e32 v23, v76, v11
	v_fmac_f32_e32 v21, v30, v11
	;; [unrolled: 1-line block ×3, first 2 shown]
	s_delay_alu instid0(VALU_DEP_4) | instskip(SKIP_2) | instid1(VALU_DEP_4)
	v_fmac_f32_e32 v24, v75, v11
	v_cvt_f32_i32_e32 v11, v12
	v_fmac_f32_e32 v23, v79, v13
	v_fmac_f32_e32 v22, v77, v13
	;; [unrolled: 1-line block ×4, first 2 shown]
	s_delay_alu instid0(VALU_DEP_4) | instskip(NEXT) | instid1(VALU_DEP_4)
	v_fmac_f32_e32 v23, v82, v11
	v_fmac_f32_e32 v22, v80, v11
	s_delay_alu instid0(VALU_DEP_4) | instskip(NEXT) | instid1(VALU_DEP_4)
	v_fmac_f32_e32 v21, v32, v11
	v_fmac_f32_e32 v24, v81, v11
	s_and_not1_b32 exec_lo, exec_lo, s7
	s_cbranch_execnz .LBB86_35
; %bb.36:
	s_or_b32 exec_lo, exec_lo, s7
.LBB86_37:
	s_delay_alu instid0(SALU_CYCLE_1)
	s_or_b32 exec_lo, exec_lo, s2
.LBB86_38:
	s_delay_alu instid0(SALU_CYCLE_1)
	s_or_b32 exec_lo, exec_lo, s6
.LBB86_39:
	v_mbcnt_lo_u32_b32 v0, -1, 0
	s_mov_b32 s2, -1
	s_delay_alu instid0(VALU_DEP_1) | instskip(SKIP_2) | instid1(VALU_DEP_3)
	v_xor_b32_e32 v1, 4, v0
	v_xor_b32_e32 v8, 2, v0
	;; [unrolled: 1-line block ×3, first 2 shown]
	v_cmp_gt_i32_e32 vcc_lo, 32, v1
	v_cndmask_b32_e32 v1, v0, v1, vcc_lo
	s_delay_alu instid0(VALU_DEP_4) | instskip(SKIP_2) | instid1(VALU_DEP_2)
	v_cmp_gt_i32_e32 vcc_lo, 32, v8
	v_cndmask_b32_e32 v8, v0, v8, vcc_lo
	v_cmp_gt_i32_e32 vcc_lo, 32, v12
	v_lshlrev_b32_e32 v8, 2, v8
	v_dual_cndmask_b32 v0, v0, v12 :: v_dual_lshlrev_b32 v1, 2, v1
	v_cmp_eq_u32_e32 vcc_lo, 7, v2
	ds_bpermute_b32 v6, v1, v24
	v_lshlrev_b32_e32 v12, 2, v0
	s_waitcnt lgkmcnt(0)
	v_add_f32_e32 v6, v24, v6
	ds_bpermute_b32 v5, v1, v22
	ds_bpermute_b32 v7, v1, v23
	;; [unrolled: 1-line block ×4, first 2 shown]
	s_waitcnt lgkmcnt(3)
	v_add_f32_e32 v5, v22, v5
	s_waitcnt lgkmcnt(2)
	v_add_f32_e32 v7, v23, v7
	;; [unrolled: 2-line block ×3, first 2 shown]
	ds_bpermute_b32 v1, v8, v5
	ds_bpermute_b32 v11, v8, v7
	;; [unrolled: 1-line block ×3, first 2 shown]
	s_waitcnt lgkmcnt(2)
	v_dual_add_f32 v0, v5, v1 :: v_dual_add_f32 v1, v6, v10
	s_waitcnt lgkmcnt(0)
	v_dual_add_f32 v5, v7, v11 :: v_dual_add_f32 v6, v9, v8
	ds_bpermute_b32 v7, v12, v0
	ds_bpermute_b32 v8, v12, v1
	;; [unrolled: 1-line block ×4, first 2 shown]
	s_and_b32 exec_lo, exec_lo, vcc_lo
	s_cbranch_execz .LBB86_10
; %bb.40:
	s_load_b64 s[0:1], s[0:1], 0x58
	s_waitcnt lgkmcnt(0)
	v_dual_add_f32 v0, v0, v7 :: v_dual_add_f32 v1, v1, v8
	v_add_f32_e32 v6, v6, v10
	v_cmp_eq_f32_e64 s3, s12, 0
	s_delay_alu instid0(VALU_DEP_3) | instskip(SKIP_4) | instid1(VALU_DEP_3)
	v_dual_mul_f32 v0, s16, v0 :: v_dual_mul_f32 v1, s16, v1
	v_add_f32_e32 v2, v5, v9
	v_lshlrev_b64 v[4:5], 4, v[3:4]
	v_mul_f32_e32 v3, s16, v6
	s_and_b32 vcc_lo, exec_lo, s3
	v_mul_f32_e32 v2, s16, v2
	s_cbranch_vccz .LBB86_42
; %bb.41:
	s_delay_alu instid0(VALU_DEP_3)
	v_add_co_u32 v6, vcc_lo, s0, v4
	v_add_co_ci_u32_e32 v7, vcc_lo, s1, v5, vcc_lo
	s_mov_b32 s2, 0
	global_store_b128 v[6:7], v[0:3], off
.LBB86_42:
	s_and_not1_b32 vcc_lo, exec_lo, s2
	s_cbranch_vccnz .LBB86_10
; %bb.43:
	v_add_co_u32 v8, vcc_lo, s0, v4
	v_add_co_ci_u32_e32 v9, vcc_lo, s1, v5, vcc_lo
	global_load_b128 v[4:7], v[8:9], off
	s_waitcnt vmcnt(0)
	v_dual_fmac_f32 v0, s12, v4 :: v_dual_fmac_f32 v1, s12, v5
	v_dual_fmac_f32 v2, s12, v6 :: v_dual_fmac_f32 v3, s12, v7
	global_store_b128 v[8:9], v[0:3], off
	s_nop 0
	s_sendmsg sendmsg(MSG_DEALLOC_VGPRS)
	s_endpgm
	.section	.rodata,"a",@progbits
	.p2align	6, 0x0
	.amdhsa_kernel _ZN9rocsparseL18bsrxmvn_4x4_kernelILj128ELj8EfllaafEEvT3_20rocsparse_direction_NS_24const_host_device_scalarIT1_EES1_PKS1_PKT2_SA_S7_PKT4_PKT5_S5_PT6_21rocsparse_index_base_b
		.amdhsa_group_segment_fixed_size 0
		.amdhsa_private_segment_fixed_size 0
		.amdhsa_kernarg_size 104
		.amdhsa_user_sgpr_count 15
		.amdhsa_user_sgpr_dispatch_ptr 0
		.amdhsa_user_sgpr_queue_ptr 0
		.amdhsa_user_sgpr_kernarg_segment_ptr 1
		.amdhsa_user_sgpr_dispatch_id 0
		.amdhsa_user_sgpr_private_segment_size 0
		.amdhsa_wavefront_size32 1
		.amdhsa_uses_dynamic_stack 0
		.amdhsa_enable_private_segment 0
		.amdhsa_system_sgpr_workgroup_id_x 1
		.amdhsa_system_sgpr_workgroup_id_y 0
		.amdhsa_system_sgpr_workgroup_id_z 0
		.amdhsa_system_sgpr_workgroup_info 0
		.amdhsa_system_vgpr_workitem_id 0
		.amdhsa_next_free_vgpr 101
		.amdhsa_next_free_sgpr 22
		.amdhsa_reserve_vcc 1
		.amdhsa_float_round_mode_32 0
		.amdhsa_float_round_mode_16_64 0
		.amdhsa_float_denorm_mode_32 3
		.amdhsa_float_denorm_mode_16_64 3
		.amdhsa_dx10_clamp 1
		.amdhsa_ieee_mode 1
		.amdhsa_fp16_overflow 0
		.amdhsa_workgroup_processor_mode 1
		.amdhsa_memory_ordered 1
		.amdhsa_forward_progress 0
		.amdhsa_shared_vgpr_count 0
		.amdhsa_exception_fp_ieee_invalid_op 0
		.amdhsa_exception_fp_denorm_src 0
		.amdhsa_exception_fp_ieee_div_zero 0
		.amdhsa_exception_fp_ieee_overflow 0
		.amdhsa_exception_fp_ieee_underflow 0
		.amdhsa_exception_fp_ieee_inexact 0
		.amdhsa_exception_int_div_zero 0
	.end_amdhsa_kernel
	.section	.text._ZN9rocsparseL18bsrxmvn_4x4_kernelILj128ELj8EfllaafEEvT3_20rocsparse_direction_NS_24const_host_device_scalarIT1_EES1_PKS1_PKT2_SA_S7_PKT4_PKT5_S5_PT6_21rocsparse_index_base_b,"axG",@progbits,_ZN9rocsparseL18bsrxmvn_4x4_kernelILj128ELj8EfllaafEEvT3_20rocsparse_direction_NS_24const_host_device_scalarIT1_EES1_PKS1_PKT2_SA_S7_PKT4_PKT5_S5_PT6_21rocsparse_index_base_b,comdat
.Lfunc_end86:
	.size	_ZN9rocsparseL18bsrxmvn_4x4_kernelILj128ELj8EfllaafEEvT3_20rocsparse_direction_NS_24const_host_device_scalarIT1_EES1_PKS1_PKT2_SA_S7_PKT4_PKT5_S5_PT6_21rocsparse_index_base_b, .Lfunc_end86-_ZN9rocsparseL18bsrxmvn_4x4_kernelILj128ELj8EfllaafEEvT3_20rocsparse_direction_NS_24const_host_device_scalarIT1_EES1_PKS1_PKT2_SA_S7_PKT4_PKT5_S5_PT6_21rocsparse_index_base_b
                                        ; -- End function
	.section	.AMDGPU.csdata,"",@progbits
; Kernel info:
; codeLenInByte = 8008
; NumSgprs: 24
; NumVgprs: 101
; ScratchSize: 0
; MemoryBound: 0
; FloatMode: 240
; IeeeMode: 1
; LDSByteSize: 0 bytes/workgroup (compile time only)
; SGPRBlocks: 2
; VGPRBlocks: 12
; NumSGPRsForWavesPerEU: 24
; NumVGPRsForWavesPerEU: 101
; Occupancy: 12
; WaveLimiterHint : 1
; COMPUTE_PGM_RSRC2:SCRATCH_EN: 0
; COMPUTE_PGM_RSRC2:USER_SGPR: 15
; COMPUTE_PGM_RSRC2:TRAP_HANDLER: 0
; COMPUTE_PGM_RSRC2:TGID_X_EN: 1
; COMPUTE_PGM_RSRC2:TGID_Y_EN: 0
; COMPUTE_PGM_RSRC2:TGID_Z_EN: 0
; COMPUTE_PGM_RSRC2:TIDIG_COMP_CNT: 0
	.section	.text._ZN9rocsparseL18bsrxmvn_4x4_kernelILj128ELj16EfllaafEEvT3_20rocsparse_direction_NS_24const_host_device_scalarIT1_EES1_PKS1_PKT2_SA_S7_PKT4_PKT5_S5_PT6_21rocsparse_index_base_b,"axG",@progbits,_ZN9rocsparseL18bsrxmvn_4x4_kernelILj128ELj16EfllaafEEvT3_20rocsparse_direction_NS_24const_host_device_scalarIT1_EES1_PKS1_PKT2_SA_S7_PKT4_PKT5_S5_PT6_21rocsparse_index_base_b,comdat
	.globl	_ZN9rocsparseL18bsrxmvn_4x4_kernelILj128ELj16EfllaafEEvT3_20rocsparse_direction_NS_24const_host_device_scalarIT1_EES1_PKS1_PKT2_SA_S7_PKT4_PKT5_S5_PT6_21rocsparse_index_base_b ; -- Begin function _ZN9rocsparseL18bsrxmvn_4x4_kernelILj128ELj16EfllaafEEvT3_20rocsparse_direction_NS_24const_host_device_scalarIT1_EES1_PKS1_PKT2_SA_S7_PKT4_PKT5_S5_PT6_21rocsparse_index_base_b
	.p2align	8
	.type	_ZN9rocsparseL18bsrxmvn_4x4_kernelILj128ELj16EfllaafEEvT3_20rocsparse_direction_NS_24const_host_device_scalarIT1_EES1_PKS1_PKT2_SA_S7_PKT4_PKT5_S5_PT6_21rocsparse_index_base_b,@function
_ZN9rocsparseL18bsrxmvn_4x4_kernelILj128ELj16EfllaafEEvT3_20rocsparse_direction_NS_24const_host_device_scalarIT1_EES1_PKS1_PKT2_SA_S7_PKT4_PKT5_S5_PT6_21rocsparse_index_base_b: ; @_ZN9rocsparseL18bsrxmvn_4x4_kernelILj128ELj16EfllaafEEvT3_20rocsparse_direction_NS_24const_host_device_scalarIT1_EES1_PKS1_PKT2_SA_S7_PKT4_PKT5_S5_PT6_21rocsparse_index_base_b
; %bb.0:
	s_clause 0x2
	s_load_b64 s[20:21], s[0:1], 0x60
	s_load_b128 s[16:19], s[0:1], 0x10
	s_load_b64 s[12:13], s[0:1], 0x50
	s_waitcnt lgkmcnt(0)
	s_bitcmp1_b32 s21, 0
	s_cselect_b32 s2, -1, 0
	s_delay_alu instid0(SALU_CYCLE_1)
	s_and_b32 vcc_lo, exec_lo, s2
	s_xor_b32 s2, s2, -1
	s_cbranch_vccnz .LBB87_2
; %bb.1:
	s_load_b32 s16, s[16:17], 0x0
.LBB87_2:
	s_and_not1_b32 vcc_lo, exec_lo, s2
	s_cbranch_vccnz .LBB87_4
; %bb.3:
	s_load_b32 s12, s[12:13], 0x0
.LBB87_4:
	s_waitcnt lgkmcnt(0)
	v_cmp_neq_f32_e64 s2, s16, 0
	v_cmp_neq_f32_e64 s3, s12, 1.0
	s_mov_b32 s6, 0
	s_delay_alu instid0(VALU_DEP_1) | instskip(NEXT) | instid1(SALU_CYCLE_1)
	s_or_b32 s2, s2, s3
	s_and_not1_b32 vcc_lo, exec_lo, s2
	s_cbranch_vccnz .LBB87_10
; %bb.5:
	s_load_b64 s[4:5], s[0:1], 0x20
	v_lshrrev_b32_e32 v1, 4, v0
	v_mov_b32_e32 v2, 0
	s_delay_alu instid0(VALU_DEP_2)
	v_lshl_or_b32 v1, s15, 3, v1
	s_waitcnt lgkmcnt(0)
	s_cmp_lg_u64 s[4:5], 0
	s_cbranch_scc0 .LBB87_11
; %bb.6:
	s_mov_b32 s7, 0
                                        ; implicit-def: $vgpr3_vgpr4
	s_mov_b32 s2, exec_lo
	v_cmpx_gt_i64_e64 s[18:19], v[1:2]
	s_xor_b32 s8, exec_lo, s2
                                        ; implicit-def: $sgpr2_sgpr3
	s_cbranch_execz .LBB87_8
; %bb.7:
	v_lshlrev_b64 v[3:4], 3, v[1:2]
	s_mov_b32 s6, exec_lo
	s_mov_b32 s3, 0
	s_delay_alu instid0(VALU_DEP_1) | instskip(NEXT) | instid1(VALU_DEP_2)
	v_add_co_u32 v3, vcc_lo, s4, v3
	v_add_co_ci_u32_e32 v4, vcc_lo, s5, v4, vcc_lo
	global_load_b64 v[3:4], v[3:4], off
	s_waitcnt vmcnt(0)
	v_sub_co_u32 v3, vcc_lo, v3, s20
	v_subrev_co_ci_u32_e32 v4, vcc_lo, 0, v4, vcc_lo
.LBB87_8:
	s_or_b32 exec_lo, exec_lo, s8
	s_delay_alu instid0(SALU_CYCLE_1)
	s_and_b32 vcc_lo, exec_lo, s7
	s_cbranch_vccnz .LBB87_12
.LBB87_9:
	s_and_saveexec_b32 s2, s6
	s_cbranch_execnz .LBB87_15
.LBB87_10:
	s_nop 0
	s_sendmsg sendmsg(MSG_DEALLOC_VGPRS)
	s_endpgm
.LBB87_11:
                                        ; implicit-def: $vgpr3_vgpr4
                                        ; implicit-def: $sgpr2_sgpr3
	s_cbranch_execz .LBB87_9
.LBB87_12:
	s_load_b64 s[2:3], s[0:1], 0x0
	s_mov_b32 s4, exec_lo
                                        ; implicit-def: $vgpr3_vgpr4
	s_waitcnt lgkmcnt(0)
	v_cmpx_gt_i64_e64 s[2:3], v[1:2]
                                        ; implicit-def: $sgpr2_sgpr3
; %bb.13:
	v_dual_mov_b32 v4, v2 :: v_dual_mov_b32 v3, v1
	s_mov_b32 s3, 0
	s_or_b32 s6, s6, exec_lo
; %bb.14:
	s_or_b32 exec_lo, exec_lo, s4
	s_and_saveexec_b32 s2, s6
	s_cbranch_execz .LBB87_10
.LBB87_15:
	s_load_b256 s[4:11], s[0:1], 0x28
	v_lshlrev_b64 v[1:2], 3, v[3:4]
	v_mov_b32_e32 v21, 0
	s_waitcnt lgkmcnt(0)
	s_delay_alu instid0(VALU_DEP_2) | instskip(NEXT) | instid1(VALU_DEP_3)
	v_add_co_u32 v5, vcc_lo, s4, v1
	v_add_co_ci_u32_e32 v6, vcc_lo, s5, v2, vcc_lo
	v_add_co_u32 v1, vcc_lo, s6, v1
	v_add_co_ci_u32_e32 v2, vcc_lo, s7, v2, vcc_lo
	s_delay_alu instid0(VALU_DEP_4)
	v_add_co_u32 v7, vcc_lo, v5, 8
	global_load_b64 v[9:10], v[5:6], off
	v_add_co_ci_u32_e32 v8, vcc_lo, 0, v6, vcc_lo
	s_cmp_eq_u64 s[6:7], 0
	s_clause 0x1
	s_load_b32 s6, s[0:1], 0x8
	s_load_b64 s[4:5], s[0:1], 0x48
	s_cselect_b32 vcc_lo, -1, 0
	v_dual_cndmask_b32 v2, v2, v8 :: v_dual_cndmask_b32 v1, v1, v7
	global_load_b64 v[5:6], v[1:2], off
	v_and_b32_e32 v2, 15, v0
	s_waitcnt lgkmcnt(0)
	s_cmp_eq_u32 s6, 1
	s_waitcnt vmcnt(1)
	v_sub_co_u32 v0, vcc_lo, v9, s20
	v_subrev_co_ci_u32_e32 v1, vcc_lo, s3, v10, vcc_lo
	s_delay_alu instid0(VALU_DEP_2) | instskip(NEXT) | instid1(VALU_DEP_2)
	v_add_co_u32 v0, vcc_lo, v0, v2
	v_add_co_ci_u32_e32 v1, vcc_lo, 0, v1, vcc_lo
	s_delay_alu instid0(VALU_DEP_1) | instskip(SKIP_3) | instid1(VALU_DEP_3)
	v_lshlrev_b64 v[7:8], 4, v[0:1]
	s_waitcnt vmcnt(0)
	v_sub_co_u32 v5, vcc_lo, v5, s20
	v_subrev_co_ci_u32_e32 v6, vcc_lo, s3, v6, vcc_lo
	v_add_co_u32 v7, vcc_lo, s10, v7
	s_delay_alu instid0(VALU_DEP_4) | instskip(NEXT) | instid1(VALU_DEP_3)
	v_add_co_ci_u32_e32 v8, vcc_lo, s11, v8, vcc_lo
	v_cmp_lt_i64_e64 s2, v[0:1], v[5:6]
	s_cbranch_scc1 .LBB87_27
; %bb.16:
	v_dual_mov_b32 v23, 0 :: v_dual_mov_b32 v24, 0
	v_mov_b32_e32 v22, 0
	s_mov_b32 s6, 0
	s_delay_alu instid0(VALU_DEP_3)
	s_and_saveexec_b32 s7, s2
	s_cbranch_execz .LBB87_26
; %bb.17:
	v_or_b32_e32 v11, 16, v2
	v_not_b32_e32 v14, v9
	v_not_b32_e32 v13, v10
	v_mov_b32_e32 v23, 0
	v_mov_b32_e32 v21, 0
	v_sub_co_u32 v11, s10, v11, s20
	s_delay_alu instid0(VALU_DEP_1) | instskip(SKIP_1) | instid1(VALU_DEP_3)
	v_sub_co_ci_u32_e64 v12, null, 0, s3, s10
	v_sub_co_u32 v15, s10, s20, v2
	v_add_co_u32 v11, vcc_lo, v11, v9
	s_delay_alu instid0(VALU_DEP_3) | instskip(SKIP_2) | instid1(VALU_DEP_2)
	v_add_co_ci_u32_e32 v12, vcc_lo, v12, v10, vcc_lo
	v_sub_co_ci_u32_e64 v16, null, s3, 0, s10
	s_mov_b32 s10, exec_lo
	v_cmp_gt_i64_e32 vcc_lo, v[11:12], v[5:6]
	v_mov_b32_e32 v22, 0
	v_mov_b32_e32 v24, 0
	v_dual_cndmask_b32 v12, v6, v12 :: v_dual_cndmask_b32 v11, v5, v11
	v_add_co_u32 v14, vcc_lo, v15, v14
	v_add_co_ci_u32_e32 v13, vcc_lo, v16, v13, vcc_lo
	s_delay_alu instid0(VALU_DEP_2) | instskip(NEXT) | instid1(VALU_DEP_2)
	v_add_co_u32 v15, vcc_lo, v14, v11
	v_add_co_ci_u32_e32 v16, vcc_lo, v13, v12, vcc_lo
	v_mov_b32_e32 v14, v8
	s_delay_alu instid0(VALU_DEP_3) | instskip(SKIP_1) | instid1(VALU_DEP_2)
	v_lshrrev_b32_e32 v11, 4, v15
	v_mov_b32_e32 v13, v7
	v_add_nc_u32_e32 v11, 1, v11
	s_delay_alu instid0(VALU_DEP_1) | instskip(SKIP_1) | instid1(VALU_DEP_2)
	v_dual_mov_b32 v12, v1 :: v_dual_and_b32 v17, 3, v11
	v_mov_b32_e32 v11, v0
	v_cmpx_ne_u32_e32 0, v17
	s_cbranch_execz .LBB87_21
; %bb.18:
	v_lshlrev_b64 v[11:12], 3, v[0:1]
	v_dual_mov_b32 v18, 0 :: v_dual_lshlrev_b32 v17, 1, v17
	v_dual_mov_b32 v14, v8 :: v_dual_mov_b32 v13, v7
	s_mov_b32 s11, 0
	s_delay_alu instid0(VALU_DEP_3) | instskip(NEXT) | instid1(VALU_DEP_4)
	v_add_co_u32 v19, vcc_lo, s8, v11
	v_add_co_ci_u32_e32 v20, vcc_lo, s9, v12, vcc_lo
	v_dual_mov_b32 v12, v1 :: v_dual_mov_b32 v11, v0
	v_mov_b32_e32 v21, v18
	v_mov_b32_e32 v23, v18
	;; [unrolled: 1-line block ×4, first 2 shown]
.LBB87_19:                              ; =>This Inner Loop Header: Depth=1
	global_load_b64 v[29:30], v[19:20], off
	global_load_b128 v[25:28], v[13:14], off
	s_waitcnt vmcnt(1)
	v_sub_co_u32 v29, vcc_lo, v29, s20
	v_subrev_co_ci_u32_e32 v30, vcc_lo, s3, v30, vcc_lo
	s_waitcnt vmcnt(0)
	v_lshrrev_b32_e32 v32, 16, v25
	v_bfe_i32 v33, v26, 0, 8
	v_lshrrev_b32_e32 v35, 16, v26
	v_lshlrev_b64 v[29:30], 2, v[29:30]
	v_bfe_i32 v36, v27, 0, 8
	v_lshrrev_b32_e32 v37, 8, v27
	v_lshrrev_b32_e32 v38, 16, v27
	v_bfe_i32 v39, v28, 0, 8
	v_lshrrev_b32_e32 v40, 8, v28
	v_add_co_u32 v29, vcc_lo, s4, v29
	v_add_co_ci_u32_e32 v30, vcc_lo, s5, v30, vcc_lo
	v_lshrrev_b32_e32 v41, 16, v28
	v_lshrrev_b32_e32 v31, 8, v25
	;; [unrolled: 1-line block ×3, first 2 shown]
	global_load_b32 v29, v[29:30], off
	v_bfe_i32 v30, v25, 0, 8
	v_lshrrev_b32_e32 v25, 24, v25
	v_lshrrev_b32_e32 v26, 24, v26
	v_bfe_i32 v32, v32, 0, 8
	v_bfe_i32 v35, v35, 0, 8
	;; [unrolled: 1-line block ×10, first 2 shown]
	v_lshrrev_b32_e32 v27, 24, v27
	v_lshrrev_b32_e32 v28, 24, v28
	v_bfe_i32 v31, v31, 0, 8
	v_bfe_i32 v25, v25, 0, 8
	;; [unrolled: 1-line block ×4, first 2 shown]
	v_cvt_f32_i32_e32 v30, v30
	v_bfe_i32 v32, v32, 0, 16
	v_cvt_f32_i32_e32 v33, v33
	v_bfe_i32 v35, v35, 0, 16
	;; [unrolled: 2-line block ×3, first 2 shown]
	v_bfe_i32 v38, v38, 0, 16
	v_cvt_f32_i32_e32 v39, v39
	v_bfe_i32 v40, v40, 0, 16
	v_bfe_i32 v41, v41, 0, 16
	;; [unrolled: 1-line block ×8, first 2 shown]
	v_cvt_f32_i32_e32 v32, v32
	v_cvt_f32_i32_e32 v35, v35
	;; [unrolled: 1-line block ×6, first 2 shown]
	v_add_co_u32 v13, vcc_lo, 0x100, v13
	v_add_co_ci_u32_e32 v14, vcc_lo, 0, v14, vcc_lo
	v_add_co_u32 v11, vcc_lo, v11, 16
	v_bfe_i32 v27, v27, 0, 16
	v_bfe_i32 v28, v28, 0, 16
	v_cvt_f32_i32_e32 v31, v31
	v_cvt_f32_i32_e32 v25, v25
	;; [unrolled: 1-line block ×4, first 2 shown]
	v_add_co_ci_u32_e32 v12, vcc_lo, 0, v12, vcc_lo
	v_add_co_u32 v19, vcc_lo, 0x80, v19
	v_add_co_ci_u32_e32 v20, vcc_lo, 0, v20, vcc_lo
	v_add_co_u32 v17, vcc_lo, v17, -2
	v_cvt_f32_i32_e32 v27, v27
	v_cvt_f32_i32_e32 v28, v28
	v_add_co_ci_u32_e32 v18, vcc_lo, -1, v18, vcc_lo
	s_delay_alu instid0(VALU_DEP_1)
	v_cmp_eq_u64_e32 vcc_lo, 0, v[17:18]
	s_or_b32 s11, vcc_lo, s11
	s_waitcnt vmcnt(0)
	v_bfe_i32 v42, v29, 0, 8
	v_lshrrev_b32_e32 v43, 8, v29
	v_lshrrev_b32_e32 v44, 16, v29
	;; [unrolled: 1-line block ×3, first 2 shown]
	s_delay_alu instid0(VALU_DEP_4) | instskip(NEXT) | instid1(VALU_DEP_4)
	v_bfe_i32 v42, v42, 0, 16
	v_bfe_i32 v43, v43, 0, 8
	s_delay_alu instid0(VALU_DEP_4) | instskip(NEXT) | instid1(VALU_DEP_4)
	v_bfe_i32 v44, v44, 0, 8
	v_bfe_i32 v29, v29, 0, 8
	s_delay_alu instid0(VALU_DEP_4) | instskip(NEXT) | instid1(VALU_DEP_4)
	v_cvt_f32_i32_e32 v42, v42
	v_bfe_i32 v43, v43, 0, 16
	s_delay_alu instid0(VALU_DEP_4) | instskip(NEXT) | instid1(VALU_DEP_4)
	v_bfe_i32 v44, v44, 0, 16
	v_bfe_i32 v29, v29, 0, 16
	s_delay_alu instid0(VALU_DEP_4) | instskip(NEXT) | instid1(VALU_DEP_3)
	v_fmac_f32_e32 v24, v33, v42
	v_cvt_f32_i32_e32 v33, v44
	v_fmac_f32_e32 v22, v30, v42
	v_cvt_f32_i32_e32 v30, v43
	v_fmac_f32_e32 v23, v36, v42
	v_fmac_f32_e32 v21, v39, v42
	v_cvt_f32_i32_e32 v29, v29
	s_delay_alu instid0(VALU_DEP_3) | instskip(NEXT) | instid1(VALU_DEP_3)
	v_fmac_f32_e32 v23, v37, v30
	v_fmac_f32_e32 v21, v40, v30
	s_delay_alu instid0(VALU_DEP_2) | instskip(NEXT) | instid1(VALU_DEP_2)
	v_fmac_f32_e32 v23, v38, v33
	v_dual_fmac_f32 v24, v34, v30 :: v_dual_fmac_f32 v21, v41, v33
	v_fmac_f32_e32 v22, v31, v30
	s_delay_alu instid0(VALU_DEP_3) | instskip(NEXT) | instid1(VALU_DEP_3)
	v_fmac_f32_e32 v23, v27, v29
	v_fmac_f32_e32 v24, v35, v33
	s_delay_alu instid0(VALU_DEP_4) | instskip(NEXT) | instid1(VALU_DEP_4)
	v_fmac_f32_e32 v21, v28, v29
	v_fmac_f32_e32 v22, v32, v33
	s_delay_alu instid0(VALU_DEP_3) | instskip(NEXT) | instid1(VALU_DEP_2)
	v_fmac_f32_e32 v24, v26, v29
	v_fmac_f32_e32 v22, v25, v29
	s_and_not1_b32 exec_lo, exec_lo, s11
	s_cbranch_execnz .LBB87_19
; %bb.20:
	s_or_b32 exec_lo, exec_lo, s11
.LBB87_21:
	s_delay_alu instid0(SALU_CYCLE_1) | instskip(NEXT) | instid1(SALU_CYCLE_1)
	s_or_b32 exec_lo, exec_lo, s10
	s_mov_b32 s10, exec_lo
	v_cmpx_lt_u64_e32 47, v[15:16]
	s_cbranch_execz .LBB87_25
; %bb.22:
	v_lshlrev_b64 v[15:16], 3, v[11:12]
	s_mov_b32 s11, 0
	s_delay_alu instid0(VALU_DEP_1) | instskip(NEXT) | instid1(VALU_DEP_2)
	v_add_co_u32 v15, vcc_lo, v15, s8
	v_add_co_ci_u32_e32 v16, vcc_lo, s9, v16, vcc_lo
	s_delay_alu instid0(VALU_DEP_2) | instskip(NEXT) | instid1(VALU_DEP_2)
	v_add_co_u32 v15, vcc_lo, 0x100, v15
	v_add_co_ci_u32_e32 v16, vcc_lo, 0, v16, vcc_lo
.LBB87_23:                              ; =>This Inner Loop Header: Depth=1
	s_clause 0x3
	global_load_b64 v[37:38], v[15:16], off offset:-256
	global_load_b64 v[39:40], v[15:16], off offset:-128
	global_load_b64 v[41:42], v[15:16], off
	global_load_b64 v[43:44], v[15:16], off offset:128
	s_clause 0x3
	global_load_b128 v[17:20], v[13:14], off
	global_load_b128 v[25:28], v[13:14], off offset:256
	global_load_b128 v[29:32], v[13:14], off offset:512
	;; [unrolled: 1-line block ×3, first 2 shown]
	v_add_co_u32 v13, vcc_lo, 0x400, v13
	v_add_co_ci_u32_e32 v14, vcc_lo, 0, v14, vcc_lo
	v_add_co_u32 v11, vcc_lo, v11, 64
	v_add_co_ci_u32_e32 v12, vcc_lo, 0, v12, vcc_lo
	;; [unrolled: 2-line block ×3, first 2 shown]
	s_waitcnt vmcnt(7)
	v_sub_co_u32 v37, vcc_lo, v37, s20
	v_subrev_co_ci_u32_e32 v38, vcc_lo, s3, v38, vcc_lo
	s_waitcnt vmcnt(3)
	v_bfe_i32 v45, v17, 0, 8
	v_lshrrev_b32_e32 v46, 8, v17
	v_lshrrev_b32_e32 v47, 16, v17
	;; [unrolled: 1-line block ×3, first 2 shown]
	v_sub_co_u32 v17, vcc_lo, v39, s20
	v_bfe_i32 v49, v18, 0, 8
	v_lshrrev_b32_e32 v50, 8, v18
	v_lshrrev_b32_e32 v51, 16, v18
	;; [unrolled: 1-line block ×3, first 2 shown]
	v_subrev_co_ci_u32_e32 v18, vcc_lo, s3, v40, vcc_lo
	v_sub_co_u32 v39, vcc_lo, v41, s20
	v_lshlrev_b64 v[37:38], 2, v[37:38]
	v_subrev_co_ci_u32_e32 v40, vcc_lo, s3, v42, vcc_lo
	v_sub_co_u32 v41, vcc_lo, v43, s20
	v_lshlrev_b64 v[17:18], 2, v[17:18]
	v_subrev_co_ci_u32_e32 v42, vcc_lo, s3, v44, vcc_lo
	s_delay_alu instid0(VALU_DEP_4) | instskip(SKIP_2) | instid1(VALU_DEP_4)
	v_lshlrev_b64 v[39:40], 2, v[39:40]
	v_add_co_u32 v37, vcc_lo, s4, v37
	v_add_co_ci_u32_e32 v38, vcc_lo, s5, v38, vcc_lo
	v_lshlrev_b64 v[41:42], 2, v[41:42]
	v_add_co_u32 v17, vcc_lo, s4, v17
	v_add_co_ci_u32_e32 v18, vcc_lo, s5, v18, vcc_lo
	v_add_co_u32 v39, vcc_lo, s4, v39
	v_add_co_ci_u32_e32 v40, vcc_lo, s5, v40, vcc_lo
	;; [unrolled: 2-line block ×3, first 2 shown]
	s_clause 0x3
	global_load_b32 v37, v[37:38], off
	global_load_b32 v17, v[17:18], off
	;; [unrolled: 1-line block ×4, first 2 shown]
	v_bfe_i32 v53, v19, 0, 8
	v_lshrrev_b32_e32 v54, 8, v19
	v_lshrrev_b32_e32 v55, 16, v19
	v_bfe_i32 v46, v46, 0, 8
	v_bfe_i32 v45, v45, 0, 16
	;; [unrolled: 1-line block ×4, first 2 shown]
	v_lshrrev_b32_e32 v19, 24, v19
	v_bfe_i32 v55, v55, 0, 8
	v_bfe_i32 v49, v49, 0, 16
	v_cvt_f32_i32_e32 v45, v45
	v_bfe_i32 v46, v46, 0, 16
	v_cvt_f32_i32_e32 v53, v53
	v_bfe_i32 v54, v54, 0, 16
	s_waitcnt vmcnt(6)
	v_lshrrev_b32_e32 v41, 16, v25
	v_bfe_i32 v19, v19, 0, 8
	v_cvt_f32_i32_e32 v49, v49
	v_bfe_i32 v55, v55, 0, 16
	v_cvt_f32_i32_e32 v46, v46
	v_cvt_f32_i32_e32 v54, v54
	v_lshrrev_b32_e32 v44, 16, v26
	v_bfe_i32 v59, v27, 0, 8
	v_lshrrev_b32_e32 v60, 8, v27
	v_bfe_i32 v47, v47, 0, 8
	v_bfe_i32 v41, v41, 0, 8
	;; [unrolled: 1-line block ×3, first 2 shown]
	v_cvt_f32_i32_e32 v55, v55
	v_bfe_i32 v56, v20, 0, 8
	v_lshrrev_b32_e32 v57, 8, v20
	v_lshrrev_b32_e32 v63, 8, v28
	v_bfe_i32 v48, v48, 0, 8
	v_bfe_i32 v44, v44, 0, 8
	;; [unrolled: 1-line block ×6, first 2 shown]
	v_cvt_f32_i32_e32 v19, v19
	v_lshrrev_b32_e32 v58, 16, v20
	v_bfe_i32 v39, v25, 0, 8
	v_lshrrev_b32_e32 v40, 8, v25
	v_lshrrev_b32_e32 v64, 16, v28
	v_bfe_i32 v50, v50, 0, 8
	v_bfe_i32 v57, v57, 0, 8
	v_bfe_i32 v56, v56, 0, 16
	v_bfe_i32 v63, v63, 0, 8
	v_bfe_i32 v48, v48, 0, 16
	v_bfe_i32 v44, v44, 0, 16
	v_cvt_f32_i32_e32 v59, v59
	v_bfe_i32 v60, v60, 0, 16
	v_cvt_f32_i32_e32 v47, v47
	v_cvt_f32_i32_e32 v41, v41
	v_lshrrev_b32_e32 v20, 24, v20
	v_lshrrev_b32_e32 v43, 8, v26
	v_bfe_i32 v58, v58, 0, 8
	v_bfe_i32 v40, v40, 0, 8
	;; [unrolled: 1-line block ×5, first 2 shown]
	v_cvt_f32_i32_e32 v56, v56
	v_bfe_i32 v57, v57, 0, 16
	v_bfe_i32 v63, v63, 0, 16
	v_cvt_f32_i32_e32 v48, v48
	v_cvt_f32_i32_e32 v44, v44
	;; [unrolled: 1-line block ×3, first 2 shown]
	v_lshrrev_b32_e32 v61, 16, v27
	v_bfe_i32 v20, v20, 0, 8
	v_bfe_i32 v43, v43, 0, 8
	;; [unrolled: 1-line block ×3, first 2 shown]
	v_cvt_f32_i32_e32 v39, v39
	v_bfe_i32 v40, v40, 0, 16
	v_bfe_i32 v64, v64, 0, 16
	v_cvt_f32_i32_e32 v50, v50
	v_cvt_f32_i32_e32 v57, v57
	;; [unrolled: 1-line block ×3, first 2 shown]
	v_lshrrev_b32_e32 v27, 24, v27
	s_waitcnt vmcnt(5)
	v_bfe_i32 v65, v29, 0, 8
	v_bfe_i32 v51, v51, 0, 8
	;; [unrolled: 1-line block ×5, first 2 shown]
	v_cvt_f32_i32_e32 v58, v58
	v_cvt_f32_i32_e32 v40, v40
	;; [unrolled: 1-line block ×3, first 2 shown]
	v_lshrrev_b32_e32 v70, 16, v30
	v_bfe_i32 v52, v52, 0, 8
	v_bfe_i32 v27, v27, 0, 8
	v_bfe_i32 v65, v65, 0, 16
	v_bfe_i32 v51, v51, 0, 16
	v_bfe_i32 v61, v61, 0, 16
	v_cvt_f32_i32_e32 v20, v20
	v_cvt_f32_i32_e32 v43, v43
	v_bfe_i32 v42, v26, 0, 8
	v_bfe_i32 v71, v31, 0, 8
	v_lshrrev_b32_e32 v73, 16, v31
	v_bfe_i32 v70, v70, 0, 8
	v_bfe_i32 v52, v52, 0, 16
	;; [unrolled: 1-line block ×3, first 2 shown]
	v_cvt_f32_i32_e32 v65, v65
	v_cvt_f32_i32_e32 v51, v51
	;; [unrolled: 1-line block ×3, first 2 shown]
	v_lshrrev_b32_e32 v25, 24, v25
	v_bfe_i32 v42, v42, 0, 16
	v_bfe_i32 v73, v73, 0, 8
	;; [unrolled: 1-line block ×4, first 2 shown]
	v_cvt_f32_i32_e32 v52, v52
	v_cvt_f32_i32_e32 v27, v27
	v_lshrrev_b32_e32 v26, 24, v26
	v_bfe_i32 v25, v25, 0, 8
	v_cvt_f32_i32_e32 v42, v42
	v_cvt_f32_i32_e32 v71, v71
	v_bfe_i32 v73, v73, 0, 16
	v_cvt_f32_i32_e32 v70, v70
	v_bfe_i32 v62, v28, 0, 8
	v_bfe_i32 v74, v32, 0, 8
	v_lshrrev_b32_e32 v76, 16, v32
	v_bfe_i32 v26, v26, 0, 8
	v_bfe_i32 v25, v25, 0, 16
	v_cvt_f32_i32_e32 v73, v73
	v_bfe_i32 v68, v30, 0, 8
	v_bfe_i32 v62, v62, 0, 16
	;; [unrolled: 1-line block ×5, first 2 shown]
	v_cvt_f32_i32_e32 v25, v25
	v_lshrrev_b32_e32 v28, 24, v28
	v_bfe_i32 v68, v68, 0, 16
	v_cvt_f32_i32_e32 v62, v62
	v_cvt_f32_i32_e32 v74, v74
	v_bfe_i32 v76, v76, 0, 16
	v_cvt_f32_i32_e32 v26, v26
	v_lshrrev_b32_e32 v66, 8, v29
	v_lshrrev_b32_e32 v67, 16, v29
	v_bfe_i32 v28, v28, 0, 8
	v_cvt_f32_i32_e32 v68, v68
	v_cvt_f32_i32_e32 v76, v76
	v_bfe_i32 v66, v66, 0, 8
	v_bfe_i32 v67, v67, 0, 8
	;; [unrolled: 1-line block ×3, first 2 shown]
	v_lshrrev_b32_e32 v69, 8, v30
	v_lshrrev_b32_e32 v72, 8, v31
	;; [unrolled: 1-line block ×3, first 2 shown]
	s_waitcnt vmcnt(4)
	v_bfe_i32 v83, v35, 0, 8
	v_bfe_i32 v66, v66, 0, 16
	;; [unrolled: 1-line block ×3, first 2 shown]
	v_cvt_f32_i32_e32 v28, v28
	v_lshrrev_b32_e32 v29, 24, v29
	v_bfe_i32 v69, v69, 0, 8
	v_bfe_i32 v72, v72, 0, 8
	;; [unrolled: 1-line block ×4, first 2 shown]
	v_cvt_f32_i32_e32 v66, v66
	v_cvt_f32_i32_e32 v67, v67
	v_lshrrev_b32_e32 v32, 24, v32
	v_bfe_i32 v77, v33, 0, 8
	v_bfe_i32 v80, v34, 0, 8
	v_bfe_i32 v86, v36, 0, 8
	v_lshrrev_b32_e32 v88, 16, v36
	v_bfe_i32 v29, v29, 0, 8
	v_bfe_i32 v69, v69, 0, 16
	;; [unrolled: 1-line block ×4, first 2 shown]
	v_cvt_f32_i32_e32 v83, v83
	v_lshrrev_b32_e32 v31, 24, v31
	v_lshrrev_b32_e32 v79, 16, v33
	v_bfe_i32 v32, v32, 0, 8
	v_bfe_i32 v88, v88, 0, 8
	;; [unrolled: 1-line block ×6, first 2 shown]
	v_cvt_f32_i32_e32 v69, v69
	v_cvt_f32_i32_e32 v72, v72
	;; [unrolled: 1-line block ×3, first 2 shown]
	v_lshrrev_b32_e32 v30, 24, v30
	v_lshrrev_b32_e32 v82, 16, v34
	v_bfe_i32 v31, v31, 0, 8
	v_bfe_i32 v79, v79, 0, 8
	;; [unrolled: 1-line block ×3, first 2 shown]
	v_cvt_f32_i32_e32 v77, v77
	v_cvt_f32_i32_e32 v80, v80
	;; [unrolled: 1-line block ×3, first 2 shown]
	v_bfe_i32 v88, v88, 0, 16
	v_cvt_f32_i32_e32 v29, v29
	v_lshrrev_b32_e32 v84, 8, v35
	v_lshrrev_b32_e32 v85, 16, v35
	v_bfe_i32 v30, v30, 0, 8
	v_bfe_i32 v82, v82, 0, 8
	;; [unrolled: 1-line block ×4, first 2 shown]
	v_cvt_f32_i32_e32 v32, v32
	v_cvt_f32_i32_e32 v88, v88
	v_bfe_i32 v84, v84, 0, 8
	v_bfe_i32 v85, v85, 0, 8
	v_bfe_i32 v30, v30, 0, 16
	v_bfe_i32 v82, v82, 0, 16
	v_cvt_f32_i32_e32 v31, v31
	v_cvt_f32_i32_e32 v79, v79
	v_lshrrev_b32_e32 v78, 8, v33
	v_lshrrev_b32_e32 v81, 8, v34
	;; [unrolled: 1-line block ×3, first 2 shown]
	v_bfe_i32 v84, v84, 0, 16
	v_bfe_i32 v85, v85, 0, 16
	v_cvt_f32_i32_e32 v30, v30
	v_cvt_f32_i32_e32 v82, v82
	v_bfe_i32 v78, v78, 0, 8
	v_bfe_i32 v81, v81, 0, 8
	;; [unrolled: 1-line block ×3, first 2 shown]
	v_cvt_f32_i32_e32 v84, v84
	v_cvt_f32_i32_e32 v85, v85
	v_lshrrev_b32_e32 v33, 24, v33
	v_lshrrev_b32_e32 v34, 24, v34
	;; [unrolled: 1-line block ×4, first 2 shown]
	v_bfe_i32 v78, v78, 0, 16
	v_bfe_i32 v81, v81, 0, 16
	;; [unrolled: 1-line block ×7, first 2 shown]
	v_cvt_f32_i32_e32 v78, v78
	v_cvt_f32_i32_e32 v81, v81
	;; [unrolled: 1-line block ×3, first 2 shown]
	v_bfe_i32 v33, v33, 0, 16
	v_bfe_i32 v34, v34, 0, 16
	;; [unrolled: 1-line block ×4, first 2 shown]
	v_cmp_ge_i64_e32 vcc_lo, v[11:12], v[5:6]
	v_cvt_f32_i32_e32 v33, v33
	v_cvt_f32_i32_e32 v34, v34
	;; [unrolled: 1-line block ×4, first 2 shown]
	s_or_b32 s11, vcc_lo, s11
	s_waitcnt vmcnt(3)
	v_bfe_i32 v90, v37, 0, 8
	v_lshrrev_b32_e32 v91, 8, v37
	v_lshrrev_b32_e32 v89, 16, v37
	;; [unrolled: 1-line block ×3, first 2 shown]
	s_waitcnt vmcnt(2)
	v_bfe_i32 v93, v17, 0, 8
	v_bfe_i32 v90, v90, 0, 16
	;; [unrolled: 1-line block ×5, first 2 shown]
	v_lshrrev_b32_e32 v94, 8, v17
	v_cvt_f32_i32_e32 v90, v90
	v_bfe_i32 v91, v91, 0, 16
	v_bfe_i32 v89, v89, 0, 16
	;; [unrolled: 1-line block ×4, first 2 shown]
	v_fmac_f32_e32 v23, v53, v90
	v_fmac_f32_e32 v22, v45, v90
	v_cvt_f32_i32_e32 v45, v91
	v_bfe_i32 v93, v93, 0, 16
	v_cvt_f32_i32_e32 v37, v37
	v_bfe_i32 v94, v94, 0, 16
	v_lshrrev_b32_e32 v92, 16, v17
	v_dual_fmac_f32 v23, v54, v45 :: v_dual_fmac_f32 v24, v49, v90
	v_cvt_f32_i32_e32 v49, v89
	v_cvt_f32_i32_e32 v93, v93
	v_fmac_f32_e32 v22, v46, v45
	v_lshrrev_b32_e32 v17, 24, v17
	s_waitcnt vmcnt(1)
	v_bfe_i32 v96, v18, 0, 8
	v_fmac_f32_e32 v23, v55, v49
	v_dual_fmac_f32 v21, v56, v90 :: v_dual_fmac_f32 v24, v50, v45
	v_bfe_i32 v92, v92, 0, 8
	v_bfe_i32 v17, v17, 0, 8
	s_delay_alu instid0(VALU_DEP_4)
	v_fmac_f32_e32 v23, v19, v37
	v_cvt_f32_i32_e32 v19, v94
	v_bfe_i32 v96, v96, 0, 16
	v_bfe_i32 v92, v92, 0, 16
	;; [unrolled: 1-line block ×3, first 2 shown]
	v_fmac_f32_e32 v23, v59, v93
	v_fmac_f32_e32 v22, v47, v49
	v_cvt_f32_i32_e32 v96, v96
	v_lshrrev_b32_e32 v95, 16, v18
	v_cvt_f32_i32_e32 v17, v17
	v_fmac_f32_e32 v23, v60, v19
	v_fmac_f32_e32 v22, v48, v37
	v_lshrrev_b32_e32 v97, 8, v18
	v_bfe_i32 v95, v95, 0, 8
	s_waitcnt vmcnt(0)
	v_bfe_i32 v99, v38, 0, 8
	v_lshrrev_b32_e32 v18, 24, v18
	v_fmac_f32_e32 v22, v39, v93
	v_fmac_f32_e32 v21, v57, v45
	v_bfe_i32 v97, v97, 0, 8
	v_bfe_i32 v95, v95, 0, 16
	;; [unrolled: 1-line block ×3, first 2 shown]
	s_delay_alu instid0(VALU_DEP_4) | instskip(NEXT) | instid1(VALU_DEP_4)
	v_dual_fmac_f32 v22, v40, v19 :: v_dual_fmac_f32 v21, v58, v49
	v_bfe_i32 v97, v97, 0, 16
	v_lshrrev_b32_e32 v98, 16, v38
	v_bfe_i32 v18, v18, 0, 8
	v_cvt_f32_i32_e32 v99, v99
	v_fmac_f32_e32 v21, v20, v37
	v_cvt_f32_i32_e32 v20, v92
	v_fmac_f32_e32 v24, v51, v49
	v_bfe_i32 v98, v98, 0, 8
	v_bfe_i32 v18, v18, 0, 16
	v_lshrrev_b32_e32 v100, 8, v38
	v_fmac_f32_e32 v23, v61, v20
	v_fmac_f32_e32 v22, v41, v20
	v_lshrrev_b32_e32 v38, 24, v38
	s_delay_alu instid0(VALU_DEP_4) | instskip(NEXT) | instid1(VALU_DEP_4)
	v_bfe_i32 v100, v100, 0, 8
	v_fmac_f32_e32 v23, v27, v17
	v_fmac_f32_e32 v24, v52, v37
	;; [unrolled: 1-line block ×3, first 2 shown]
	v_bfe_i32 v38, v38, 0, 8
	v_bfe_i32 v45, v100, 0, 16
	s_delay_alu instid0(VALU_DEP_4) | instskip(NEXT) | instid1(VALU_DEP_4)
	v_dual_fmac_f32 v23, v71, v96 :: v_dual_fmac_f32 v24, v42, v93
	v_fmac_f32_e32 v22, v65, v96
	s_delay_alu instid0(VALU_DEP_2) | instskip(NEXT) | instid1(VALU_DEP_1)
	v_fmac_f32_e32 v24, v43, v19
	v_fmac_f32_e32 v24, v44, v20
	s_delay_alu instid0(VALU_DEP_1) | instskip(NEXT) | instid1(VALU_DEP_1)
	v_fmac_f32_e32 v24, v26, v17
	v_dual_fmac_f32 v21, v62, v93 :: v_dual_fmac_f32 v24, v68, v96
	s_delay_alu instid0(VALU_DEP_1) | instskip(SKIP_1) | instid1(VALU_DEP_2)
	v_fmac_f32_e32 v21, v63, v19
	v_bfe_i32 v19, v98, 0, 16
	v_fmac_f32_e32 v21, v64, v20
	v_cvt_f32_i32_e32 v20, v95
	s_delay_alu instid0(VALU_DEP_3) | instskip(NEXT) | instid1(VALU_DEP_3)
	v_cvt_f32_i32_e32 v19, v19
	v_fmac_f32_e32 v21, v28, v17
	v_cvt_f32_i32_e32 v17, v97
	s_delay_alu instid0(VALU_DEP_1) | instskip(SKIP_1) | instid1(VALU_DEP_2)
	v_fmac_f32_e32 v22, v66, v17
	v_fmac_f32_e32 v24, v69, v17
	v_dual_fmac_f32 v23, v72, v17 :: v_dual_fmac_f32 v22, v67, v20
	v_fmac_f32_e32 v21, v74, v96
	s_delay_alu instid0(VALU_DEP_1) | instskip(SKIP_2) | instid1(VALU_DEP_2)
	v_fmac_f32_e32 v21, v75, v17
	v_cvt_f32_i32_e32 v17, v18
	v_bfe_i32 v18, v38, 0, 16
	v_dual_fmac_f32 v21, v76, v20 :: v_dual_fmac_f32 v22, v29, v17
	s_delay_alu instid0(VALU_DEP_1) | instskip(SKIP_1) | instid1(VALU_DEP_2)
	v_dual_fmac_f32 v21, v32, v17 :: v_dual_fmac_f32 v22, v77, v99
	v_fmac_f32_e32 v23, v73, v20
	v_fmac_f32_e32 v21, v86, v99
	s_delay_alu instid0(VALU_DEP_2) | instskip(NEXT) | instid1(VALU_DEP_1)
	v_dual_fmac_f32 v24, v70, v20 :: v_dual_fmac_f32 v23, v31, v17
	v_fmac_f32_e32 v24, v30, v17
	v_cvt_f32_i32_e32 v17, v45
	s_delay_alu instid0(VALU_DEP_1) | instskip(NEXT) | instid1(VALU_DEP_1)
	v_dual_fmac_f32 v23, v83, v99 :: v_dual_fmac_f32 v22, v78, v17
	v_fmac_f32_e32 v23, v84, v17
	v_fmac_f32_e32 v21, v87, v17
	s_delay_alu instid0(VALU_DEP_3) | instskip(NEXT) | instid1(VALU_DEP_3)
	v_fmac_f32_e32 v22, v79, v19
	v_fmac_f32_e32 v23, v85, v19
	;; [unrolled: 1-line block ×3, first 2 shown]
	s_delay_alu instid0(VALU_DEP_1) | instskip(SKIP_1) | instid1(VALU_DEP_2)
	v_dual_fmac_f32 v21, v88, v19 :: v_dual_fmac_f32 v24, v81, v17
	v_cvt_f32_i32_e32 v17, v18
	v_fmac_f32_e32 v24, v82, v19
	s_delay_alu instid0(VALU_DEP_2) | instskip(SKIP_2) | instid1(VALU_DEP_4)
	v_fmac_f32_e32 v22, v33, v17
	v_fmac_f32_e32 v23, v35, v17
	;; [unrolled: 1-line block ×4, first 2 shown]
	s_and_not1_b32 exec_lo, exec_lo, s11
	s_cbranch_execnz .LBB87_23
; %bb.24:
	s_or_b32 exec_lo, exec_lo, s11
.LBB87_25:
	s_delay_alu instid0(SALU_CYCLE_1)
	s_or_b32 exec_lo, exec_lo, s10
.LBB87_26:
	s_delay_alu instid0(SALU_CYCLE_1) | instskip(NEXT) | instid1(SALU_CYCLE_1)
	s_or_b32 exec_lo, exec_lo, s7
	s_and_not1_b32 vcc_lo, exec_lo, s6
	s_cbranch_vccz .LBB87_28
	s_branch .LBB87_39
.LBB87_27:
                                        ; implicit-def: $vgpr21
                                        ; implicit-def: $vgpr23
                                        ; implicit-def: $vgpr24
                                        ; implicit-def: $vgpr22
.LBB87_28:
	v_dual_mov_b32 v21, 0 :: v_dual_mov_b32 v24, 0
	v_dual_mov_b32 v23, 0 :: v_dual_mov_b32 v22, 0
	s_delay_alu instid0(VALU_DEP_3)
	s_and_saveexec_b32 s6, s2
	s_cbranch_execz .LBB87_38
; %bb.29:
	v_or_b32_e32 v11, 16, v2
	v_mov_b32_e32 v23, 0
	v_dual_mov_b32 v21, 0 :: v_dual_mov_b32 v22, 0
	v_mov_b32_e32 v24, 0
	s_delay_alu instid0(VALU_DEP_4) | instskip(NEXT) | instid1(VALU_DEP_1)
	v_sub_co_u32 v11, s2, v11, s20
	v_sub_co_ci_u32_e64 v12, null, 0, s3, s2
	v_sub_co_u32 v13, s2, s20, v2
	s_delay_alu instid0(VALU_DEP_3) | instskip(NEXT) | instid1(VALU_DEP_3)
	v_add_co_u32 v11, vcc_lo, v11, v9
	v_add_co_ci_u32_e32 v12, vcc_lo, v12, v10, vcc_lo
	v_not_b32_e32 v9, v9
	v_not_b32_e32 v10, v10
	v_sub_co_ci_u32_e64 v14, null, s3, 0, s2
	s_delay_alu instid0(VALU_DEP_4) | instskip(SKIP_4) | instid1(VALU_DEP_2)
	v_cmp_gt_i64_e32 vcc_lo, v[11:12], v[5:6]
	s_mov_b32 s2, exec_lo
	v_dual_cndmask_b32 v12, v6, v12 :: v_dual_cndmask_b32 v11, v5, v11
	v_add_co_u32 v9, vcc_lo, v13, v9
	v_add_co_ci_u32_e32 v10, vcc_lo, v14, v10, vcc_lo
	v_add_co_u32 v9, vcc_lo, v9, v11
	s_delay_alu instid0(VALU_DEP_2) | instskip(NEXT) | instid1(VALU_DEP_2)
	v_add_co_ci_u32_e32 v10, vcc_lo, v10, v12, vcc_lo
	v_lshrrev_b32_e32 v11, 4, v9
	s_delay_alu instid0(VALU_DEP_1) | instskip(NEXT) | instid1(VALU_DEP_1)
	v_add_nc_u32_e32 v11, 1, v11
	v_and_b32_e32 v11, 3, v11
	s_delay_alu instid0(VALU_DEP_1)
	v_cmpx_ne_u32_e32 0, v11
	s_cbranch_execz .LBB87_33
; %bb.30:
	v_lshlrev_b64 v[13:14], 3, v[0:1]
	v_dual_mov_b32 v12, 0 :: v_dual_lshlrev_b32 v11, 1, v11
	s_mov_b32 s7, 0
	s_delay_alu instid0(VALU_DEP_1) | instskip(NEXT) | instid1(VALU_DEP_3)
	v_mov_b32_e32 v21, v12
	v_add_co_u32 v13, vcc_lo, s8, v13
	s_delay_alu instid0(VALU_DEP_4)
	v_add_co_ci_u32_e32 v14, vcc_lo, s9, v14, vcc_lo
	v_mov_b32_e32 v23, v12
	v_mov_b32_e32 v24, v12
	;; [unrolled: 1-line block ×3, first 2 shown]
.LBB87_31:                              ; =>This Inner Loop Header: Depth=1
	global_load_b64 v[19:20], v[13:14], off
	global_load_b128 v[15:18], v[7:8], off
	s_waitcnt vmcnt(1)
	v_sub_co_u32 v19, vcc_lo, v19, s20
	v_subrev_co_ci_u32_e32 v20, vcc_lo, s3, v20, vcc_lo
	s_waitcnt vmcnt(0)
	v_lshrrev_b32_e32 v25, 8, v15
	v_lshrrev_b32_e32 v26, 16, v15
	v_bfe_i32 v27, v16, 0, 8
	v_lshlrev_b64 v[19:20], 2, v[19:20]
	v_lshrrev_b32_e32 v28, 8, v16
	v_lshrrev_b32_e32 v29, 16, v16
	;; [unrolled: 1-line block ×3, first 2 shown]
	v_bfe_i32 v30, v17, 0, 8
	v_lshrrev_b32_e32 v31, 8, v17
	v_add_co_u32 v19, vcc_lo, s4, v19
	v_add_co_ci_u32_e32 v20, vcc_lo, s5, v20, vcc_lo
	v_lshrrev_b32_e32 v32, 16, v17
	v_lshrrev_b32_e32 v17, 24, v17
	v_bfe_i32 v26, v26, 0, 8
	global_load_b32 v19, v[19:20], off
	v_bfe_i32 v20, v15, 0, 8
	v_lshrrev_b32_e32 v15, 24, v15
	v_bfe_i32 v25, v25, 0, 8
	v_bfe_i32 v29, v29, 0, 8
	;; [unrolled: 1-line block ×12, first 2 shown]
	v_cvt_f32_i32_e32 v20, v20
	v_bfe_i32 v25, v25, 0, 16
	v_bfe_i32 v29, v29, 0, 16
	;; [unrolled: 1-line block ×5, first 2 shown]
	v_cvt_f32_i32_e32 v26, v26
	v_cvt_f32_i32_e32 v15, v15
	v_bfe_i32 v33, v18, 0, 8
	v_lshrrev_b32_e32 v34, 8, v18
	v_lshrrev_b32_e32 v35, 16, v18
	;; [unrolled: 1-line block ×3, first 2 shown]
	v_bfe_i32 v27, v27, 0, 16
	v_bfe_i32 v28, v28, 0, 16
	v_cvt_f32_i32_e32 v30, v30
	v_bfe_i32 v32, v32, 0, 16
	v_cvt_f32_i32_e32 v25, v25
	v_cvt_f32_i32_e32 v29, v29
	;; [unrolled: 1-line block ×5, first 2 shown]
	v_add_co_u32 v7, vcc_lo, 0x100, v7
	v_add_co_ci_u32_e32 v8, vcc_lo, 0, v8, vcc_lo
	v_add_co_u32 v0, vcc_lo, v0, 16
	v_bfe_i32 v34, v34, 0, 8
	v_bfe_i32 v35, v35, 0, 8
	;; [unrolled: 1-line block ×3, first 2 shown]
	v_cvt_f32_i32_e32 v27, v27
	v_cvt_f32_i32_e32 v28, v28
	;; [unrolled: 1-line block ×3, first 2 shown]
	v_add_co_ci_u32_e32 v1, vcc_lo, 0, v1, vcc_lo
	v_add_co_u32 v13, vcc_lo, 0x80, v13
	v_add_co_ci_u32_e32 v14, vcc_lo, 0, v14, vcc_lo
	v_add_co_u32 v11, vcc_lo, v11, -2
	v_bfe_i32 v33, v33, 0, 16
	v_bfe_i32 v34, v34, 0, 16
	;; [unrolled: 1-line block ×4, first 2 shown]
	v_add_co_ci_u32_e32 v12, vcc_lo, -1, v12, vcc_lo
	v_cvt_f32_i32_e32 v33, v33
	v_cvt_f32_i32_e32 v34, v34
	;; [unrolled: 1-line block ×4, first 2 shown]
	v_cmp_eq_u64_e32 vcc_lo, 0, v[11:12]
	s_or_b32 s7, vcc_lo, s7
	s_waitcnt vmcnt(0)
	v_bfe_i32 v36, v19, 0, 8
	v_lshrrev_b32_e32 v37, 8, v19
	v_lshrrev_b32_e32 v38, 16, v19
	;; [unrolled: 1-line block ×3, first 2 shown]
	s_delay_alu instid0(VALU_DEP_4) | instskip(NEXT) | instid1(VALU_DEP_4)
	v_bfe_i32 v36, v36, 0, 16
	v_bfe_i32 v37, v37, 0, 8
	s_delay_alu instid0(VALU_DEP_4) | instskip(NEXT) | instid1(VALU_DEP_4)
	v_bfe_i32 v38, v38, 0, 8
	v_bfe_i32 v19, v19, 0, 8
	s_delay_alu instid0(VALU_DEP_4) | instskip(NEXT) | instid1(VALU_DEP_4)
	v_cvt_f32_i32_e32 v36, v36
	v_bfe_i32 v37, v37, 0, 16
	s_delay_alu instid0(VALU_DEP_4) | instskip(NEXT) | instid1(VALU_DEP_4)
	v_bfe_i32 v38, v38, 0, 16
	v_bfe_i32 v19, v19, 0, 16
	s_delay_alu instid0(VALU_DEP_4) | instskip(NEXT) | instid1(VALU_DEP_3)
	v_fmac_f32_e32 v21, v15, v36
	v_cvt_f32_i32_e32 v15, v38
	v_fmac_f32_e32 v22, v20, v36
	v_cvt_f32_i32_e32 v20, v37
	v_fmac_f32_e32 v23, v26, v36
	s_delay_alu instid0(VALU_DEP_2) | instskip(NEXT) | instid1(VALU_DEP_2)
	v_fmac_f32_e32 v21, v16, v20
	v_fmac_f32_e32 v23, v29, v20
	;; [unrolled: 1-line block ×3, first 2 shown]
	v_cvt_f32_i32_e32 v16, v19
	s_delay_alu instid0(VALU_DEP_4) | instskip(NEXT) | instid1(VALU_DEP_4)
	v_fmac_f32_e32 v21, v17, v15
	v_dual_fmac_f32 v23, v32, v15 :: v_dual_fmac_f32 v22, v27, v20
	s_delay_alu instid0(VALU_DEP_4) | instskip(NEXT) | instid1(VALU_DEP_3)
	v_fmac_f32_e32 v24, v28, v20
	v_fmac_f32_e32 v21, v18, v16
	s_delay_alu instid0(VALU_DEP_3) | instskip(NEXT) | instid1(VALU_DEP_3)
	v_dual_fmac_f32 v23, v35, v16 :: v_dual_fmac_f32 v22, v30, v15
	v_fmac_f32_e32 v24, v31, v15
	s_delay_alu instid0(VALU_DEP_2) | instskip(NEXT) | instid1(VALU_DEP_2)
	v_fmac_f32_e32 v22, v33, v16
	v_fmac_f32_e32 v24, v34, v16
	s_and_not1_b32 exec_lo, exec_lo, s7
	s_cbranch_execnz .LBB87_31
; %bb.32:
	s_or_b32 exec_lo, exec_lo, s7
.LBB87_33:
	s_delay_alu instid0(SALU_CYCLE_1) | instskip(NEXT) | instid1(SALU_CYCLE_1)
	s_or_b32 exec_lo, exec_lo, s2
	s_mov_b32 s2, exec_lo
	v_cmpx_lt_u64_e32 47, v[9:10]
	s_cbranch_execz .LBB87_37
; %bb.34:
	v_lshlrev_b64 v[9:10], 3, v[0:1]
	s_mov_b32 s7, 0
	s_delay_alu instid0(VALU_DEP_1) | instskip(NEXT) | instid1(VALU_DEP_2)
	v_add_co_u32 v9, vcc_lo, v9, s8
	v_add_co_ci_u32_e32 v10, vcc_lo, s9, v10, vcc_lo
	s_delay_alu instid0(VALU_DEP_2) | instskip(NEXT) | instid1(VALU_DEP_2)
	v_add_co_u32 v9, vcc_lo, 0x100, v9
	v_add_co_ci_u32_e32 v10, vcc_lo, 0, v10, vcc_lo
.LBB87_35:                              ; =>This Inner Loop Header: Depth=1
	s_clause 0x3
	global_load_b64 v[19:20], v[9:10], off offset:-256
	global_load_b64 v[33:34], v[9:10], off offset:-128
	global_load_b64 v[35:36], v[9:10], off
	global_load_b64 v[37:38], v[9:10], off offset:128
	s_clause 0x3
	global_load_b128 v[11:14], v[7:8], off
	global_load_b128 v[15:18], v[7:8], off offset:256
	global_load_b128 v[25:28], v[7:8], off offset:512
	;; [unrolled: 1-line block ×3, first 2 shown]
	v_add_co_u32 v7, vcc_lo, 0x400, v7
	v_add_co_ci_u32_e32 v8, vcc_lo, 0, v8, vcc_lo
	v_add_co_u32 v0, vcc_lo, v0, 64
	v_add_co_ci_u32_e32 v1, vcc_lo, 0, v1, vcc_lo
	v_add_co_u32 v9, vcc_lo, 0x200, v9
	v_add_co_ci_u32_e32 v10, vcc_lo, 0, v10, vcc_lo
	s_waitcnt vmcnt(7)
	v_sub_co_u32 v19, vcc_lo, v19, s20
	v_subrev_co_ci_u32_e32 v20, vcc_lo, s3, v20, vcc_lo
	s_waitcnt vmcnt(3)
	v_bfe_i32 v39, v11, 0, 8
	v_lshrrev_b32_e32 v40, 8, v11
	v_lshrrev_b32_e32 v41, 16, v11
	v_lshrrev_b32_e32 v42, 24, v11
	v_sub_co_u32 v11, vcc_lo, v33, s20
	v_bfe_i32 v43, v12, 0, 8
	v_lshrrev_b32_e32 v44, 8, v12
	v_lshrrev_b32_e32 v45, 16, v12
	;; [unrolled: 1-line block ×3, first 2 shown]
	v_subrev_co_ci_u32_e32 v12, vcc_lo, s3, v34, vcc_lo
	v_sub_co_u32 v33, vcc_lo, v35, s20
	v_lshlrev_b64 v[19:20], 2, v[19:20]
	v_subrev_co_ci_u32_e32 v34, vcc_lo, s3, v36, vcc_lo
	v_sub_co_u32 v35, vcc_lo, v37, s20
	v_lshlrev_b64 v[11:12], 2, v[11:12]
	v_subrev_co_ci_u32_e32 v36, vcc_lo, s3, v38, vcc_lo
	s_delay_alu instid0(VALU_DEP_4) | instskip(SKIP_2) | instid1(VALU_DEP_4)
	v_lshlrev_b64 v[33:34], 2, v[33:34]
	v_add_co_u32 v19, vcc_lo, s4, v19
	v_add_co_ci_u32_e32 v20, vcc_lo, s5, v20, vcc_lo
	v_lshlrev_b64 v[35:36], 2, v[35:36]
	v_add_co_u32 v11, vcc_lo, s4, v11
	v_add_co_ci_u32_e32 v12, vcc_lo, s5, v12, vcc_lo
	v_add_co_u32 v33, vcc_lo, s4, v33
	v_add_co_ci_u32_e32 v34, vcc_lo, s5, v34, vcc_lo
	;; [unrolled: 2-line block ×3, first 2 shown]
	s_clause 0x3
	global_load_b32 v19, v[19:20], off
	global_load_b32 v11, v[11:12], off
	;; [unrolled: 1-line block ×4, first 2 shown]
	v_bfe_i32 v41, v41, 0, 8
	v_lshrrev_b32_e32 v49, 16, v13
	v_bfe_i32 v40, v40, 0, 8
	v_bfe_i32 v42, v42, 0, 8
	;; [unrolled: 1-line block ×6, first 2 shown]
	v_lshrrev_b32_e32 v48, 8, v13
	v_lshrrev_b32_e32 v13, 24, v13
	;; [unrolled: 1-line block ×3, first 2 shown]
	v_bfe_i32 v44, v44, 0, 8
	v_bfe_i32 v46, v46, 0, 8
	;; [unrolled: 1-line block ×4, first 2 shown]
	v_cvt_f32_i32_e32 v39, v39
	v_bfe_i32 v40, v40, 0, 16
	v_bfe_i32 v42, v42, 0, 16
	;; [unrolled: 1-line block ×3, first 2 shown]
	v_cvt_f32_i32_e32 v41, v41
	v_bfe_i32 v50, v14, 0, 8
	v_lshrrev_b32_e32 v51, 8, v14
	v_lshrrev_b32_e32 v14, 24, v14
	s_waitcnt vmcnt(6)
	v_lshrrev_b32_e32 v35, 16, v15
	v_bfe_i32 v13, v13, 0, 8
	v_bfe_i32 v52, v52, 0, 8
	;; [unrolled: 1-line block ×3, first 2 shown]
	v_cvt_f32_i32_e32 v43, v43
	v_bfe_i32 v44, v44, 0, 16
	v_bfe_i32 v46, v46, 0, 16
	v_bfe_i32 v49, v49, 0, 16
	v_cvt_f32_i32_e32 v40, v40
	v_cvt_f32_i32_e32 v42, v42
	v_cvt_f32_i32_e32 v45, v45
	v_bfe_i32 v33, v15, 0, 8
	v_lshrrev_b32_e32 v34, 8, v15
	v_lshrrev_b32_e32 v15, 24, v15
	;; [unrolled: 1-line block ×3, first 2 shown]
	v_bfe_i32 v48, v48, 0, 8
	v_bfe_i32 v51, v51, 0, 8
	;; [unrolled: 1-line block ×5, first 2 shown]
	v_cvt_f32_i32_e32 v47, v47
	v_bfe_i32 v13, v13, 0, 16
	v_bfe_i32 v52, v52, 0, 16
	v_cvt_f32_i32_e32 v44, v44
	v_cvt_f32_i32_e32 v46, v46
	;; [unrolled: 1-line block ×3, first 2 shown]
	v_bfe_i32 v36, v16, 0, 8
	v_lshrrev_b32_e32 v37, 8, v16
	v_lshrrev_b32_e32 v16, 24, v16
	v_bfe_i32 v15, v15, 0, 8
	v_bfe_i32 v38, v38, 0, 8
	;; [unrolled: 1-line block ×4, first 2 shown]
	v_cvt_f32_i32_e32 v50, v50
	v_bfe_i32 v51, v51, 0, 16
	v_bfe_i32 v14, v14, 0, 16
	;; [unrolled: 1-line block ×3, first 2 shown]
	v_cvt_f32_i32_e32 v13, v13
	v_cvt_f32_i32_e32 v52, v52
	v_bfe_i32 v53, v17, 0, 8
	v_lshrrev_b32_e32 v54, 8, v17
	v_lshrrev_b32_e32 v55, 16, v17
	;; [unrolled: 1-line block ×3, first 2 shown]
	s_waitcnt vmcnt(4)
	v_lshrrev_b32_e32 v79, 16, v31
	v_bfe_i32 v34, v34, 0, 8
	v_bfe_i32 v37, v37, 0, 8
	;; [unrolled: 1-line block ×4, first 2 shown]
	v_cvt_f32_i32_e32 v33, v33
	v_bfe_i32 v15, v15, 0, 16
	v_bfe_i32 v38, v38, 0, 16
	v_cvt_f32_i32_e32 v48, v48
	v_cvt_f32_i32_e32 v51, v51
	;; [unrolled: 1-line block ×4, first 2 shown]
	v_bfe_i32 v56, v18, 0, 8
	v_lshrrev_b32_e32 v57, 8, v18
	v_lshrrev_b32_e32 v58, 16, v18
	;; [unrolled: 1-line block ×3, first 2 shown]
	v_bfe_i32 v59, v25, 0, 8
	v_lshrrev_b32_e32 v60, 8, v25
	v_lshrrev_b32_e32 v61, 16, v25
	;; [unrolled: 1-line block ×3, first 2 shown]
	v_bfe_i32 v55, v55, 0, 8
	v_bfe_i32 v17, v17, 0, 8
	;; [unrolled: 1-line block ×5, first 2 shown]
	v_cvt_f32_i32_e32 v36, v36
	v_bfe_i32 v37, v37, 0, 16
	v_bfe_i32 v16, v16, 0, 16
	v_cvt_f32_i32_e32 v15, v15
	v_cvt_f32_i32_e32 v38, v38
	v_lshrrev_b32_e32 v72, 8, v29
	v_bfe_i32 v54, v54, 0, 8
	v_bfe_i32 v58, v58, 0, 8
	;; [unrolled: 1-line block ×6, first 2 shown]
	v_cvt_f32_i32_e32 v53, v53
	v_bfe_i32 v55, v55, 0, 16
	v_bfe_i32 v17, v17, 0, 16
	;; [unrolled: 1-line block ×3, first 2 shown]
	v_cvt_f32_i32_e32 v34, v34
	v_cvt_f32_i32_e32 v37, v37
	;; [unrolled: 1-line block ×3, first 2 shown]
	v_bfe_i32 v62, v26, 0, 8
	v_lshrrev_b32_e32 v63, 8, v26
	v_lshrrev_b32_e32 v64, 16, v26
	;; [unrolled: 1-line block ×3, first 2 shown]
	v_bfe_i32 v71, v29, 0, 8
	v_bfe_i32 v77, v31, 0, 8
	v_lshrrev_b32_e32 v78, 8, v31
	v_lshrrev_b32_e32 v31, 24, v31
	v_bfe_i32 v57, v57, 0, 8
	v_bfe_i32 v61, v61, 0, 8
	;; [unrolled: 1-line block ×5, first 2 shown]
	v_cvt_f32_i32_e32 v56, v56
	v_bfe_i32 v58, v58, 0, 16
	v_bfe_i32 v18, v18, 0, 16
	;; [unrolled: 1-line block ×4, first 2 shown]
	v_cvt_f32_i32_e32 v55, v55
	v_cvt_f32_i32_e32 v17, v17
	;; [unrolled: 1-line block ×3, first 2 shown]
	v_bfe_i32 v65, v27, 0, 8
	v_lshrrev_b32_e32 v66, 8, v27
	v_lshrrev_b32_e32 v67, 16, v27
	;; [unrolled: 1-line block ×3, first 2 shown]
	v_bfe_i32 v64, v64, 0, 8
	v_bfe_i32 v26, v26, 0, 8
	;; [unrolled: 1-line block ×5, first 2 shown]
	v_cvt_f32_i32_e32 v59, v59
	v_bfe_i32 v61, v61, 0, 16
	v_bfe_i32 v72, v72, 0, 16
	v_cvt_f32_i32_e32 v54, v54
	v_cvt_f32_i32_e32 v58, v58
	v_cvt_f32_i32_e32 v18, v18
	v_cvt_f32_i32_e32 v60, v60
	v_cvt_f32_i32_e32 v25, v25
	v_bfe_i32 v68, v28, 0, 8
	v_lshrrev_b32_e32 v69, 8, v28
	v_lshrrev_b32_e32 v70, 16, v28
	;; [unrolled: 1-line block ×5, first 2 shown]
	v_bfe_i32 v63, v63, 0, 8
	v_bfe_i32 v67, v67, 0, 8
	;; [unrolled: 1-line block ×5, first 2 shown]
	v_cvt_f32_i32_e32 v71, v71
	v_bfe_i32 v31, v31, 0, 16
	v_cvt_f32_i32_e32 v57, v57
	v_cvt_f32_i32_e32 v61, v61
	;; [unrolled: 1-line block ×3, first 2 shown]
	v_bfe_i32 v70, v70, 0, 8
	v_bfe_i32 v28, v28, 0, 8
	;; [unrolled: 1-line block ×10, first 2 shown]
	v_cvt_f32_i32_e32 v64, v64
	v_cvt_f32_i32_e32 v26, v26
	;; [unrolled: 1-line block ×3, first 2 shown]
	v_bfe_i32 v66, v66, 0, 8
	v_cvt_f32_i32_e32 v62, v62
	v_bfe_i32 v70, v70, 0, 16
	v_bfe_i32 v28, v28, 0, 16
	;; [unrolled: 1-line block ×4, first 2 shown]
	v_cvt_f32_i32_e32 v77, v77
	v_bfe_i32 v78, v78, 0, 16
	v_cvt_f32_i32_e32 v63, v63
	v_cvt_f32_i32_e32 v67, v67
	v_cvt_f32_i32_e32 v27, v27
	v_bfe_i32 v69, v69, 0, 8
	v_bfe_i32 v65, v65, 0, 16
	;; [unrolled: 1-line block ×3, first 2 shown]
	v_cvt_f32_i32_e32 v70, v70
	v_cvt_f32_i32_e32 v28, v28
	;; [unrolled: 1-line block ×5, first 2 shown]
	v_bfe_i32 v74, v30, 0, 8
	v_lshrrev_b32_e32 v75, 8, v30
	v_lshrrev_b32_e32 v76, 16, v30
	;; [unrolled: 1-line block ×3, first 2 shown]
	v_bfe_i32 v68, v68, 0, 16
	v_cvt_f32_i32_e32 v65, v65
	v_bfe_i32 v69, v69, 0, 16
	v_cvt_f32_i32_e32 v66, v66
	v_bfe_i32 v75, v75, 0, 8
	v_bfe_i32 v76, v76, 0, 8
	;; [unrolled: 1-line block ×3, first 2 shown]
	v_cvt_f32_i32_e32 v68, v68
	v_cvt_f32_i32_e32 v69, v69
	v_bfe_i32 v80, v32, 0, 8
	v_lshrrev_b32_e32 v81, 8, v32
	v_lshrrev_b32_e32 v82, 16, v32
	;; [unrolled: 1-line block ×3, first 2 shown]
	v_bfe_i32 v74, v74, 0, 16
	v_bfe_i32 v75, v75, 0, 16
	;; [unrolled: 1-line block ×7, first 2 shown]
	v_cvt_f32_i32_e32 v74, v74
	v_cvt_f32_i32_e32 v75, v75
	;; [unrolled: 1-line block ×4, first 2 shown]
	v_bfe_i32 v80, v80, 0, 16
	v_bfe_i32 v81, v81, 0, 16
	;; [unrolled: 1-line block ×4, first 2 shown]
	v_cmp_ge_i64_e32 vcc_lo, v[0:1], v[5:6]
	v_cvt_f32_i32_e32 v80, v80
	v_cvt_f32_i32_e32 v81, v81
	;; [unrolled: 1-line block ×4, first 2 shown]
	s_or_b32 s7, vcc_lo, s7
	s_waitcnt vmcnt(3)
	v_bfe_i32 v84, v19, 0, 8
	v_lshrrev_b32_e32 v85, 8, v19
	v_lshrrev_b32_e32 v83, 16, v19
	;; [unrolled: 1-line block ×3, first 2 shown]
	s_waitcnt vmcnt(2)
	v_bfe_i32 v87, v11, 0, 8
	v_bfe_i32 v84, v84, 0, 16
	;; [unrolled: 1-line block ×5, first 2 shown]
	v_lshrrev_b32_e32 v88, 8, v11
	v_cvt_f32_i32_e32 v84, v84
	v_bfe_i32 v85, v85, 0, 16
	v_bfe_i32 v83, v83, 0, 16
	;; [unrolled: 1-line block ×3, first 2 shown]
	v_lshrrev_b32_e32 v86, 16, v11
	v_fmac_f32_e32 v23, v41, v84
	v_fmac_f32_e32 v22, v39, v84
	v_cvt_f32_i32_e32 v39, v85
	v_fmac_f32_e32 v21, v42, v84
	v_fmac_f32_e32 v24, v40, v84
	v_cvt_f32_i32_e32 v40, v83
	v_bfe_i32 v88, v88, 0, 8
	v_fmac_f32_e32 v23, v45, v39
	v_fmac_f32_e32 v21, v46, v39
	;; [unrolled: 1-line block ×3, first 2 shown]
	v_bfe_i32 v87, v87, 0, 16
	v_cvt_f32_i32_e32 v19, v19
	v_fmac_f32_e32 v23, v49, v40
	v_lshrrev_b32_e32 v11, 24, v11
	v_fmac_f32_e32 v22, v47, v40
	v_bfe_i32 v86, v86, 0, 8
	v_cvt_f32_i32_e32 v87, v87
	v_fmac_f32_e32 v23, v52, v19
	v_bfe_i32 v88, v88, 0, 16
	v_dual_fmac_f32 v24, v44, v39 :: v_dual_fmac_f32 v21, v13, v40
	v_fmac_f32_e32 v22, v50, v19
	v_bfe_i32 v11, v11, 0, 8
	v_bfe_i32 v86, v86, 0, 16
	s_delay_alu instid0(VALU_DEP_4)
	v_dual_fmac_f32 v24, v48, v40 :: v_dual_fmac_f32 v21, v14, v19
	v_cvt_f32_i32_e32 v14, v88
	v_fmac_f32_e32 v23, v35, v87
	v_fmac_f32_e32 v22, v33, v87
	s_waitcnt vmcnt(1)
	v_bfe_i32 v90, v12, 0, 8
	v_bfe_i32 v11, v11, 0, 16
	v_dual_fmac_f32 v24, v51, v19 :: v_dual_fmac_f32 v23, v38, v14
	v_fmac_f32_e32 v21, v15, v87
	v_cvt_f32_i32_e32 v15, v86
	v_fmac_f32_e32 v22, v36, v14
	v_lshrrev_b32_e32 v91, 8, v12
	s_waitcnt vmcnt(0)
	v_bfe_i32 v93, v20, 0, 8
	v_bfe_i32 v90, v90, 0, 16
	v_dual_fmac_f32 v24, v34, v87 :: v_dual_fmac_f32 v21, v16, v14
	v_cvt_f32_i32_e32 v11, v11
	v_fmac_f32_e32 v22, v53, v15
	v_lshrrev_b32_e32 v89, 16, v12
	v_bfe_i32 v91, v91, 0, 8
	v_bfe_i32 v93, v93, 0, 16
	v_cvt_f32_i32_e32 v90, v90
	v_dual_fmac_f32 v24, v37, v14 :: v_dual_fmac_f32 v23, v55, v15
	v_fmac_f32_e32 v22, v56, v11
	v_fmac_f32_e32 v21, v17, v15
	v_lshrrev_b32_e32 v12, 24, v12
	v_bfe_i32 v89, v89, 0, 8
	v_bfe_i32 v91, v91, 0, 16
	v_fmac_f32_e32 v22, v59, v90
	v_cvt_f32_i32_e32 v93, v93
	v_fmac_f32_e32 v23, v58, v11
	v_fmac_f32_e32 v24, v54, v15
	;; [unrolled: 1-line block ×3, first 2 shown]
	v_bfe_i32 v12, v12, 0, 8
	v_bfe_i32 v89, v89, 0, 16
	v_fmac_f32_e32 v23, v61, v90
	v_fmac_f32_e32 v24, v57, v11
	v_cvt_f32_i32_e32 v11, v91
	v_fmac_f32_e32 v21, v25, v90
	v_bfe_i32 v12, v12, 0, 16
	v_cvt_f32_i32_e32 v15, v89
	v_fmac_f32_e32 v24, v60, v90
	v_fmac_f32_e32 v23, v64, v11
	;; [unrolled: 1-line block ×4, first 2 shown]
	v_lshrrev_b32_e32 v94, 8, v20
	v_fmac_f32_e32 v24, v63, v11
	v_cvt_f32_i32_e32 v11, v12
	v_fmac_f32_e32 v23, v67, v15
	v_fmac_f32_e32 v21, v27, v15
	v_lshrrev_b32_e32 v92, 16, v20
	v_bfe_i32 v94, v94, 0, 8
	v_lshrrev_b32_e32 v20, 24, v20
	v_fmac_f32_e32 v23, v70, v11
	v_fmac_f32_e32 v21, v28, v11
	v_bfe_i32 v92, v92, 0, 8
	v_bfe_i32 v13, v94, 0, 16
	;; [unrolled: 1-line block ×3, first 2 shown]
	v_fmac_f32_e32 v23, v73, v93
	v_fmac_f32_e32 v22, v65, v15
	v_dual_fmac_f32 v21, v29, v93 :: v_dual_fmac_f32 v24, v66, v15
	v_bfe_i32 v14, v92, 0, 16
	v_bfe_i32 v12, v20, 0, 16
	s_delay_alu instid0(VALU_DEP_4) | instskip(NEXT) | instid1(VALU_DEP_4)
	v_fmac_f32_e32 v22, v68, v11
	v_fmac_f32_e32 v24, v69, v11
	v_cvt_f32_i32_e32 v11, v13
	v_cvt_f32_i32_e32 v13, v14
	s_delay_alu instid0(VALU_DEP_4) | instskip(NEXT) | instid1(VALU_DEP_4)
	v_fmac_f32_e32 v22, v71, v93
	v_fmac_f32_e32 v24, v72, v93
	s_delay_alu instid0(VALU_DEP_4) | instskip(SKIP_1) | instid1(VALU_DEP_4)
	v_fmac_f32_e32 v23, v76, v11
	v_fmac_f32_e32 v21, v30, v11
	;; [unrolled: 1-line block ×3, first 2 shown]
	s_delay_alu instid0(VALU_DEP_4) | instskip(SKIP_2) | instid1(VALU_DEP_4)
	v_fmac_f32_e32 v24, v75, v11
	v_cvt_f32_i32_e32 v11, v12
	v_fmac_f32_e32 v23, v79, v13
	v_fmac_f32_e32 v22, v77, v13
	;; [unrolled: 1-line block ×4, first 2 shown]
	s_delay_alu instid0(VALU_DEP_4) | instskip(NEXT) | instid1(VALU_DEP_4)
	v_fmac_f32_e32 v23, v82, v11
	v_fmac_f32_e32 v22, v80, v11
	s_delay_alu instid0(VALU_DEP_4) | instskip(NEXT) | instid1(VALU_DEP_4)
	v_fmac_f32_e32 v21, v32, v11
	v_fmac_f32_e32 v24, v81, v11
	s_and_not1_b32 exec_lo, exec_lo, s7
	s_cbranch_execnz .LBB87_35
; %bb.36:
	s_or_b32 exec_lo, exec_lo, s7
.LBB87_37:
	s_delay_alu instid0(SALU_CYCLE_1)
	s_or_b32 exec_lo, exec_lo, s2
.LBB87_38:
	s_delay_alu instid0(SALU_CYCLE_1)
	s_or_b32 exec_lo, exec_lo, s6
.LBB87_39:
	v_mbcnt_lo_u32_b32 v0, -1, 0
	s_mov_b32 s2, -1
	s_delay_alu instid0(VALU_DEP_1) | instskip(SKIP_2) | instid1(VALU_DEP_3)
	v_xor_b32_e32 v1, 8, v0
	v_xor_b32_e32 v8, 4, v0
	;; [unrolled: 1-line block ×3, first 2 shown]
	v_cmp_gt_i32_e32 vcc_lo, 32, v1
	v_cndmask_b32_e32 v1, v0, v1, vcc_lo
	s_delay_alu instid0(VALU_DEP_4) | instskip(SKIP_2) | instid1(VALU_DEP_2)
	v_cmp_gt_i32_e32 vcc_lo, 32, v8
	v_cndmask_b32_e32 v8, v0, v8, vcc_lo
	v_cmp_gt_i32_e32 vcc_lo, 32, v12
	v_lshlrev_b32_e32 v8, 2, v8
	v_dual_cndmask_b32 v12, v0, v12 :: v_dual_lshlrev_b32 v1, 2, v1
	ds_bpermute_b32 v6, v1, v24
	v_lshlrev_b32_e32 v12, 2, v12
	s_waitcnt lgkmcnt(0)
	v_add_f32_e32 v6, v24, v6
	ds_bpermute_b32 v5, v1, v22
	ds_bpermute_b32 v7, v1, v23
	;; [unrolled: 1-line block ×4, first 2 shown]
	s_waitcnt lgkmcnt(3)
	v_add_f32_e32 v5, v22, v5
	s_waitcnt lgkmcnt(2)
	v_add_f32_e32 v7, v23, v7
	s_waitcnt lgkmcnt(0)
	v_dual_add_f32 v1, v21, v1 :: v_dual_add_f32 v6, v6, v10
	ds_bpermute_b32 v9, v8, v5
	ds_bpermute_b32 v11, v8, v7
	;; [unrolled: 1-line block ×3, first 2 shown]
	s_waitcnt lgkmcnt(2)
	v_add_f32_e32 v5, v5, v9
	s_waitcnt lgkmcnt(0)
	v_dual_add_f32 v7, v7, v11 :: v_dual_add_f32 v8, v1, v8
	ds_bpermute_b32 v9, v12, v6
	ds_bpermute_b32 v1, v12, v5
	;; [unrolled: 1-line block ×4, first 2 shown]
	v_xor_b32_e32 v12, 1, v0
	s_delay_alu instid0(VALU_DEP_1) | instskip(SKIP_2) | instid1(VALU_DEP_2)
	v_cmp_gt_i32_e32 vcc_lo, 32, v12
	v_cndmask_b32_e32 v0, v0, v12, vcc_lo
	v_cmp_eq_u32_e32 vcc_lo, 15, v2
	v_lshlrev_b32_e32 v12, 2, v0
	s_waitcnt lgkmcnt(1)
	v_dual_add_f32 v0, v5, v1 :: v_dual_add_f32 v5, v7, v10
	s_waitcnt lgkmcnt(0)
	v_dual_add_f32 v1, v6, v9 :: v_dual_add_f32 v6, v8, v11
	ds_bpermute_b32 v7, v12, v0
	ds_bpermute_b32 v9, v12, v5
	ds_bpermute_b32 v8, v12, v1
	ds_bpermute_b32 v10, v12, v6
	s_and_b32 exec_lo, exec_lo, vcc_lo
	s_cbranch_execz .LBB87_10
; %bb.40:
	s_load_b64 s[0:1], s[0:1], 0x58
	s_waitcnt lgkmcnt(0)
	v_dual_add_f32 v0, v0, v7 :: v_dual_add_f32 v1, v1, v8
	v_add_f32_e32 v6, v6, v10
	v_cmp_eq_f32_e64 s3, s12, 0
	s_delay_alu instid0(VALU_DEP_3) | instskip(SKIP_4) | instid1(VALU_DEP_3)
	v_dual_mul_f32 v0, s16, v0 :: v_dual_mul_f32 v1, s16, v1
	v_add_f32_e32 v2, v5, v9
	v_lshlrev_b64 v[4:5], 4, v[3:4]
	v_mul_f32_e32 v3, s16, v6
	s_and_b32 vcc_lo, exec_lo, s3
	v_mul_f32_e32 v2, s16, v2
	s_cbranch_vccz .LBB87_42
; %bb.41:
	s_delay_alu instid0(VALU_DEP_3)
	v_add_co_u32 v6, vcc_lo, s0, v4
	v_add_co_ci_u32_e32 v7, vcc_lo, s1, v5, vcc_lo
	s_mov_b32 s2, 0
	global_store_b128 v[6:7], v[0:3], off
.LBB87_42:
	s_and_not1_b32 vcc_lo, exec_lo, s2
	s_cbranch_vccnz .LBB87_10
; %bb.43:
	v_add_co_u32 v8, vcc_lo, s0, v4
	v_add_co_ci_u32_e32 v9, vcc_lo, s1, v5, vcc_lo
	global_load_b128 v[4:7], v[8:9], off
	s_waitcnt vmcnt(0)
	v_dual_fmac_f32 v0, s12, v4 :: v_dual_fmac_f32 v1, s12, v5
	v_dual_fmac_f32 v2, s12, v6 :: v_dual_fmac_f32 v3, s12, v7
	global_store_b128 v[8:9], v[0:3], off
	s_nop 0
	s_sendmsg sendmsg(MSG_DEALLOC_VGPRS)
	s_endpgm
	.section	.rodata,"a",@progbits
	.p2align	6, 0x0
	.amdhsa_kernel _ZN9rocsparseL18bsrxmvn_4x4_kernelILj128ELj16EfllaafEEvT3_20rocsparse_direction_NS_24const_host_device_scalarIT1_EES1_PKS1_PKT2_SA_S7_PKT4_PKT5_S5_PT6_21rocsparse_index_base_b
		.amdhsa_group_segment_fixed_size 0
		.amdhsa_private_segment_fixed_size 0
		.amdhsa_kernarg_size 104
		.amdhsa_user_sgpr_count 15
		.amdhsa_user_sgpr_dispatch_ptr 0
		.amdhsa_user_sgpr_queue_ptr 0
		.amdhsa_user_sgpr_kernarg_segment_ptr 1
		.amdhsa_user_sgpr_dispatch_id 0
		.amdhsa_user_sgpr_private_segment_size 0
		.amdhsa_wavefront_size32 1
		.amdhsa_uses_dynamic_stack 0
		.amdhsa_enable_private_segment 0
		.amdhsa_system_sgpr_workgroup_id_x 1
		.amdhsa_system_sgpr_workgroup_id_y 0
		.amdhsa_system_sgpr_workgroup_id_z 0
		.amdhsa_system_sgpr_workgroup_info 0
		.amdhsa_system_vgpr_workitem_id 0
		.amdhsa_next_free_vgpr 101
		.amdhsa_next_free_sgpr 22
		.amdhsa_reserve_vcc 1
		.amdhsa_float_round_mode_32 0
		.amdhsa_float_round_mode_16_64 0
		.amdhsa_float_denorm_mode_32 3
		.amdhsa_float_denorm_mode_16_64 3
		.amdhsa_dx10_clamp 1
		.amdhsa_ieee_mode 1
		.amdhsa_fp16_overflow 0
		.amdhsa_workgroup_processor_mode 1
		.amdhsa_memory_ordered 1
		.amdhsa_forward_progress 0
		.amdhsa_shared_vgpr_count 0
		.amdhsa_exception_fp_ieee_invalid_op 0
		.amdhsa_exception_fp_denorm_src 0
		.amdhsa_exception_fp_ieee_div_zero 0
		.amdhsa_exception_fp_ieee_overflow 0
		.amdhsa_exception_fp_ieee_underflow 0
		.amdhsa_exception_fp_ieee_inexact 0
		.amdhsa_exception_int_div_zero 0
	.end_amdhsa_kernel
	.section	.text._ZN9rocsparseL18bsrxmvn_4x4_kernelILj128ELj16EfllaafEEvT3_20rocsparse_direction_NS_24const_host_device_scalarIT1_EES1_PKS1_PKT2_SA_S7_PKT4_PKT5_S5_PT6_21rocsparse_index_base_b,"axG",@progbits,_ZN9rocsparseL18bsrxmvn_4x4_kernelILj128ELj16EfllaafEEvT3_20rocsparse_direction_NS_24const_host_device_scalarIT1_EES1_PKS1_PKT2_SA_S7_PKT4_PKT5_S5_PT6_21rocsparse_index_base_b,comdat
.Lfunc_end87:
	.size	_ZN9rocsparseL18bsrxmvn_4x4_kernelILj128ELj16EfllaafEEvT3_20rocsparse_direction_NS_24const_host_device_scalarIT1_EES1_PKS1_PKT2_SA_S7_PKT4_PKT5_S5_PT6_21rocsparse_index_base_b, .Lfunc_end87-_ZN9rocsparseL18bsrxmvn_4x4_kernelILj128ELj16EfllaafEEvT3_20rocsparse_direction_NS_24const_host_device_scalarIT1_EES1_PKS1_PKT2_SA_S7_PKT4_PKT5_S5_PT6_21rocsparse_index_base_b
                                        ; -- End function
	.section	.AMDGPU.csdata,"",@progbits
; Kernel info:
; codeLenInByte = 8092
; NumSgprs: 24
; NumVgprs: 101
; ScratchSize: 0
; MemoryBound: 0
; FloatMode: 240
; IeeeMode: 1
; LDSByteSize: 0 bytes/workgroup (compile time only)
; SGPRBlocks: 2
; VGPRBlocks: 12
; NumSGPRsForWavesPerEU: 24
; NumVGPRsForWavesPerEU: 101
; Occupancy: 12
; WaveLimiterHint : 1
; COMPUTE_PGM_RSRC2:SCRATCH_EN: 0
; COMPUTE_PGM_RSRC2:USER_SGPR: 15
; COMPUTE_PGM_RSRC2:TRAP_HANDLER: 0
; COMPUTE_PGM_RSRC2:TGID_X_EN: 1
; COMPUTE_PGM_RSRC2:TGID_Y_EN: 0
; COMPUTE_PGM_RSRC2:TGID_Z_EN: 0
; COMPUTE_PGM_RSRC2:TIDIG_COMP_CNT: 0
	.section	.text._ZN9rocsparseL18bsrxmvn_4x4_kernelILj128ELj32EfllaafEEvT3_20rocsparse_direction_NS_24const_host_device_scalarIT1_EES1_PKS1_PKT2_SA_S7_PKT4_PKT5_S5_PT6_21rocsparse_index_base_b,"axG",@progbits,_ZN9rocsparseL18bsrxmvn_4x4_kernelILj128ELj32EfllaafEEvT3_20rocsparse_direction_NS_24const_host_device_scalarIT1_EES1_PKS1_PKT2_SA_S7_PKT4_PKT5_S5_PT6_21rocsparse_index_base_b,comdat
	.globl	_ZN9rocsparseL18bsrxmvn_4x4_kernelILj128ELj32EfllaafEEvT3_20rocsparse_direction_NS_24const_host_device_scalarIT1_EES1_PKS1_PKT2_SA_S7_PKT4_PKT5_S5_PT6_21rocsparse_index_base_b ; -- Begin function _ZN9rocsparseL18bsrxmvn_4x4_kernelILj128ELj32EfllaafEEvT3_20rocsparse_direction_NS_24const_host_device_scalarIT1_EES1_PKS1_PKT2_SA_S7_PKT4_PKT5_S5_PT6_21rocsparse_index_base_b
	.p2align	8
	.type	_ZN9rocsparseL18bsrxmvn_4x4_kernelILj128ELj32EfllaafEEvT3_20rocsparse_direction_NS_24const_host_device_scalarIT1_EES1_PKS1_PKT2_SA_S7_PKT4_PKT5_S5_PT6_21rocsparse_index_base_b,@function
_ZN9rocsparseL18bsrxmvn_4x4_kernelILj128ELj32EfllaafEEvT3_20rocsparse_direction_NS_24const_host_device_scalarIT1_EES1_PKS1_PKT2_SA_S7_PKT4_PKT5_S5_PT6_21rocsparse_index_base_b: ; @_ZN9rocsparseL18bsrxmvn_4x4_kernelILj128ELj32EfllaafEEvT3_20rocsparse_direction_NS_24const_host_device_scalarIT1_EES1_PKS1_PKT2_SA_S7_PKT4_PKT5_S5_PT6_21rocsparse_index_base_b
; %bb.0:
	s_clause 0x2
	s_load_b64 s[20:21], s[0:1], 0x60
	s_load_b128 s[16:19], s[0:1], 0x10
	s_load_b64 s[12:13], s[0:1], 0x50
	s_waitcnt lgkmcnt(0)
	s_bitcmp1_b32 s21, 0
	s_cselect_b32 s2, -1, 0
	s_delay_alu instid0(SALU_CYCLE_1)
	s_and_b32 vcc_lo, exec_lo, s2
	s_xor_b32 s2, s2, -1
	s_cbranch_vccnz .LBB88_2
; %bb.1:
	s_load_b32 s16, s[16:17], 0x0
.LBB88_2:
	s_and_not1_b32 vcc_lo, exec_lo, s2
	s_cbranch_vccnz .LBB88_4
; %bb.3:
	s_load_b32 s12, s[12:13], 0x0
.LBB88_4:
	s_waitcnt lgkmcnt(0)
	v_cmp_neq_f32_e64 s2, s16, 0
	v_cmp_neq_f32_e64 s3, s12, 1.0
	s_mov_b32 s6, 0
	s_delay_alu instid0(VALU_DEP_1) | instskip(NEXT) | instid1(SALU_CYCLE_1)
	s_or_b32 s2, s2, s3
	s_and_not1_b32 vcc_lo, exec_lo, s2
	s_cbranch_vccnz .LBB88_10
; %bb.5:
	s_load_b64 s[4:5], s[0:1], 0x20
	v_lshrrev_b32_e32 v1, 5, v0
	v_mov_b32_e32 v2, 0
	s_delay_alu instid0(VALU_DEP_2)
	v_lshl_or_b32 v1, s15, 2, v1
	s_waitcnt lgkmcnt(0)
	s_cmp_lg_u64 s[4:5], 0
	s_cbranch_scc0 .LBB88_11
; %bb.6:
	s_mov_b32 s7, 0
                                        ; implicit-def: $vgpr3_vgpr4
	s_mov_b32 s2, exec_lo
	v_cmpx_gt_i64_e64 s[18:19], v[1:2]
	s_xor_b32 s8, exec_lo, s2
                                        ; implicit-def: $sgpr2_sgpr3
	s_cbranch_execz .LBB88_8
; %bb.7:
	v_lshlrev_b64 v[3:4], 3, v[1:2]
	s_mov_b32 s6, exec_lo
	s_mov_b32 s3, 0
	s_delay_alu instid0(VALU_DEP_1) | instskip(NEXT) | instid1(VALU_DEP_2)
	v_add_co_u32 v3, vcc_lo, s4, v3
	v_add_co_ci_u32_e32 v4, vcc_lo, s5, v4, vcc_lo
	global_load_b64 v[3:4], v[3:4], off
	s_waitcnt vmcnt(0)
	v_sub_co_u32 v3, vcc_lo, v3, s20
	v_subrev_co_ci_u32_e32 v4, vcc_lo, 0, v4, vcc_lo
.LBB88_8:
	s_or_b32 exec_lo, exec_lo, s8
	s_delay_alu instid0(SALU_CYCLE_1)
	s_and_b32 vcc_lo, exec_lo, s7
	s_cbranch_vccnz .LBB88_12
.LBB88_9:
	s_and_saveexec_b32 s2, s6
	s_cbranch_execnz .LBB88_15
.LBB88_10:
	s_nop 0
	s_sendmsg sendmsg(MSG_DEALLOC_VGPRS)
	s_endpgm
.LBB88_11:
                                        ; implicit-def: $vgpr3_vgpr4
                                        ; implicit-def: $sgpr2_sgpr3
	s_cbranch_execz .LBB88_9
.LBB88_12:
	s_load_b64 s[2:3], s[0:1], 0x0
	s_mov_b32 s4, exec_lo
                                        ; implicit-def: $vgpr3_vgpr4
	s_waitcnt lgkmcnt(0)
	v_cmpx_gt_i64_e64 s[2:3], v[1:2]
                                        ; implicit-def: $sgpr2_sgpr3
; %bb.13:
	v_dual_mov_b32 v4, v2 :: v_dual_mov_b32 v3, v1
	s_mov_b32 s3, 0
	s_or_b32 s6, s6, exec_lo
; %bb.14:
	s_or_b32 exec_lo, exec_lo, s4
	s_and_saveexec_b32 s2, s6
	s_cbranch_execz .LBB88_10
.LBB88_15:
	s_load_b256 s[4:11], s[0:1], 0x28
	v_lshlrev_b64 v[1:2], 3, v[3:4]
	v_mov_b32_e32 v21, 0
	s_waitcnt lgkmcnt(0)
	s_delay_alu instid0(VALU_DEP_2) | instskip(NEXT) | instid1(VALU_DEP_3)
	v_add_co_u32 v5, vcc_lo, s4, v1
	v_add_co_ci_u32_e32 v6, vcc_lo, s5, v2, vcc_lo
	v_add_co_u32 v1, vcc_lo, s6, v1
	v_add_co_ci_u32_e32 v2, vcc_lo, s7, v2, vcc_lo
	s_delay_alu instid0(VALU_DEP_4)
	v_add_co_u32 v7, vcc_lo, v5, 8
	global_load_b64 v[9:10], v[5:6], off
	v_add_co_ci_u32_e32 v8, vcc_lo, 0, v6, vcc_lo
	s_cmp_eq_u64 s[6:7], 0
	s_clause 0x1
	s_load_b32 s6, s[0:1], 0x8
	s_load_b64 s[4:5], s[0:1], 0x48
	s_cselect_b32 vcc_lo, -1, 0
	v_dual_cndmask_b32 v2, v2, v8 :: v_dual_cndmask_b32 v1, v1, v7
	global_load_b64 v[5:6], v[1:2], off
	v_and_b32_e32 v2, 31, v0
	s_waitcnt lgkmcnt(0)
	s_cmp_eq_u32 s6, 1
	s_waitcnt vmcnt(1)
	v_sub_co_u32 v0, vcc_lo, v9, s20
	v_subrev_co_ci_u32_e32 v1, vcc_lo, s3, v10, vcc_lo
	s_delay_alu instid0(VALU_DEP_2) | instskip(NEXT) | instid1(VALU_DEP_2)
	v_add_co_u32 v0, vcc_lo, v0, v2
	v_add_co_ci_u32_e32 v1, vcc_lo, 0, v1, vcc_lo
	s_delay_alu instid0(VALU_DEP_1) | instskip(SKIP_3) | instid1(VALU_DEP_3)
	v_lshlrev_b64 v[7:8], 4, v[0:1]
	s_waitcnt vmcnt(0)
	v_sub_co_u32 v5, vcc_lo, v5, s20
	v_subrev_co_ci_u32_e32 v6, vcc_lo, s3, v6, vcc_lo
	v_add_co_u32 v7, vcc_lo, s10, v7
	s_delay_alu instid0(VALU_DEP_4) | instskip(NEXT) | instid1(VALU_DEP_3)
	v_add_co_ci_u32_e32 v8, vcc_lo, s11, v8, vcc_lo
	v_cmp_lt_i64_e64 s2, v[0:1], v[5:6]
	s_cbranch_scc1 .LBB88_27
; %bb.16:
	v_dual_mov_b32 v23, 0 :: v_dual_mov_b32 v24, 0
	v_mov_b32_e32 v22, 0
	s_mov_b32 s6, 0
	s_delay_alu instid0(VALU_DEP_3)
	s_and_saveexec_b32 s7, s2
	s_cbranch_execz .LBB88_26
; %bb.17:
	v_or_b32_e32 v11, 32, v2
	v_not_b32_e32 v14, v9
	v_not_b32_e32 v13, v10
	v_mov_b32_e32 v23, 0
	v_mov_b32_e32 v21, 0
	v_sub_co_u32 v11, s10, v11, s20
	s_delay_alu instid0(VALU_DEP_1) | instskip(SKIP_1) | instid1(VALU_DEP_3)
	v_sub_co_ci_u32_e64 v12, null, 0, s3, s10
	v_sub_co_u32 v15, s10, s20, v2
	v_add_co_u32 v11, vcc_lo, v11, v9
	s_delay_alu instid0(VALU_DEP_3) | instskip(SKIP_2) | instid1(VALU_DEP_2)
	v_add_co_ci_u32_e32 v12, vcc_lo, v12, v10, vcc_lo
	v_sub_co_ci_u32_e64 v16, null, s3, 0, s10
	s_mov_b32 s10, exec_lo
	v_cmp_gt_i64_e32 vcc_lo, v[11:12], v[5:6]
	v_mov_b32_e32 v22, 0
	v_mov_b32_e32 v24, 0
	v_dual_cndmask_b32 v12, v6, v12 :: v_dual_cndmask_b32 v11, v5, v11
	v_add_co_u32 v14, vcc_lo, v15, v14
	v_add_co_ci_u32_e32 v13, vcc_lo, v16, v13, vcc_lo
	s_delay_alu instid0(VALU_DEP_2) | instskip(NEXT) | instid1(VALU_DEP_2)
	v_add_co_u32 v15, vcc_lo, v14, v11
	v_add_co_ci_u32_e32 v16, vcc_lo, v13, v12, vcc_lo
	v_mov_b32_e32 v14, v8
	s_delay_alu instid0(VALU_DEP_3) | instskip(SKIP_1) | instid1(VALU_DEP_2)
	v_lshrrev_b32_e32 v11, 5, v15
	v_mov_b32_e32 v13, v7
	v_add_nc_u32_e32 v11, 1, v11
	s_delay_alu instid0(VALU_DEP_1) | instskip(SKIP_1) | instid1(VALU_DEP_2)
	v_dual_mov_b32 v12, v1 :: v_dual_and_b32 v17, 3, v11
	v_mov_b32_e32 v11, v0
	v_cmpx_ne_u32_e32 0, v17
	s_cbranch_execz .LBB88_21
; %bb.18:
	v_lshlrev_b64 v[11:12], 3, v[0:1]
	v_dual_mov_b32 v18, 0 :: v_dual_lshlrev_b32 v17, 1, v17
	v_dual_mov_b32 v14, v8 :: v_dual_mov_b32 v13, v7
	s_mov_b32 s11, 0
	s_delay_alu instid0(VALU_DEP_3) | instskip(NEXT) | instid1(VALU_DEP_4)
	v_add_co_u32 v19, vcc_lo, s8, v11
	v_add_co_ci_u32_e32 v20, vcc_lo, s9, v12, vcc_lo
	v_dual_mov_b32 v12, v1 :: v_dual_mov_b32 v11, v0
	v_mov_b32_e32 v21, v18
	v_mov_b32_e32 v23, v18
	;; [unrolled: 1-line block ×4, first 2 shown]
.LBB88_19:                              ; =>This Inner Loop Header: Depth=1
	global_load_b64 v[29:30], v[19:20], off
	global_load_b128 v[25:28], v[13:14], off
	s_waitcnt vmcnt(1)
	v_sub_co_u32 v29, vcc_lo, v29, s20
	v_subrev_co_ci_u32_e32 v30, vcc_lo, s3, v30, vcc_lo
	s_waitcnt vmcnt(0)
	v_lshrrev_b32_e32 v32, 16, v25
	v_bfe_i32 v33, v26, 0, 8
	v_lshrrev_b32_e32 v35, 16, v26
	v_lshlrev_b64 v[29:30], 2, v[29:30]
	v_bfe_i32 v36, v27, 0, 8
	v_lshrrev_b32_e32 v37, 8, v27
	v_lshrrev_b32_e32 v38, 16, v27
	v_bfe_i32 v39, v28, 0, 8
	v_lshrrev_b32_e32 v40, 8, v28
	v_add_co_u32 v29, vcc_lo, s4, v29
	v_add_co_ci_u32_e32 v30, vcc_lo, s5, v30, vcc_lo
	v_lshrrev_b32_e32 v41, 16, v28
	v_lshrrev_b32_e32 v31, 8, v25
	;; [unrolled: 1-line block ×3, first 2 shown]
	global_load_b32 v29, v[29:30], off
	v_bfe_i32 v30, v25, 0, 8
	v_lshrrev_b32_e32 v25, 24, v25
	v_lshrrev_b32_e32 v26, 24, v26
	v_bfe_i32 v32, v32, 0, 8
	v_bfe_i32 v35, v35, 0, 8
	;; [unrolled: 1-line block ×10, first 2 shown]
	v_lshrrev_b32_e32 v27, 24, v27
	v_lshrrev_b32_e32 v28, 24, v28
	v_bfe_i32 v31, v31, 0, 8
	v_bfe_i32 v25, v25, 0, 8
	;; [unrolled: 1-line block ×4, first 2 shown]
	v_cvt_f32_i32_e32 v30, v30
	v_bfe_i32 v32, v32, 0, 16
	v_cvt_f32_i32_e32 v33, v33
	v_bfe_i32 v35, v35, 0, 16
	;; [unrolled: 2-line block ×3, first 2 shown]
	v_bfe_i32 v38, v38, 0, 16
	v_cvt_f32_i32_e32 v39, v39
	v_bfe_i32 v40, v40, 0, 16
	v_bfe_i32 v41, v41, 0, 16
	;; [unrolled: 1-line block ×8, first 2 shown]
	v_cvt_f32_i32_e32 v32, v32
	v_cvt_f32_i32_e32 v35, v35
	;; [unrolled: 1-line block ×6, first 2 shown]
	v_add_co_u32 v13, vcc_lo, 0x200, v13
	v_add_co_ci_u32_e32 v14, vcc_lo, 0, v14, vcc_lo
	v_add_co_u32 v11, vcc_lo, v11, 32
	v_bfe_i32 v27, v27, 0, 16
	v_bfe_i32 v28, v28, 0, 16
	v_cvt_f32_i32_e32 v31, v31
	v_cvt_f32_i32_e32 v25, v25
	;; [unrolled: 1-line block ×4, first 2 shown]
	v_add_co_ci_u32_e32 v12, vcc_lo, 0, v12, vcc_lo
	v_add_co_u32 v19, vcc_lo, 0x100, v19
	v_add_co_ci_u32_e32 v20, vcc_lo, 0, v20, vcc_lo
	v_add_co_u32 v17, vcc_lo, v17, -2
	v_cvt_f32_i32_e32 v27, v27
	v_cvt_f32_i32_e32 v28, v28
	v_add_co_ci_u32_e32 v18, vcc_lo, -1, v18, vcc_lo
	s_delay_alu instid0(VALU_DEP_1)
	v_cmp_eq_u64_e32 vcc_lo, 0, v[17:18]
	s_or_b32 s11, vcc_lo, s11
	s_waitcnt vmcnt(0)
	v_bfe_i32 v42, v29, 0, 8
	v_lshrrev_b32_e32 v43, 8, v29
	v_lshrrev_b32_e32 v44, 16, v29
	;; [unrolled: 1-line block ×3, first 2 shown]
	s_delay_alu instid0(VALU_DEP_4) | instskip(NEXT) | instid1(VALU_DEP_4)
	v_bfe_i32 v42, v42, 0, 16
	v_bfe_i32 v43, v43, 0, 8
	s_delay_alu instid0(VALU_DEP_4) | instskip(NEXT) | instid1(VALU_DEP_4)
	v_bfe_i32 v44, v44, 0, 8
	v_bfe_i32 v29, v29, 0, 8
	s_delay_alu instid0(VALU_DEP_4) | instskip(NEXT) | instid1(VALU_DEP_4)
	v_cvt_f32_i32_e32 v42, v42
	v_bfe_i32 v43, v43, 0, 16
	s_delay_alu instid0(VALU_DEP_4) | instskip(NEXT) | instid1(VALU_DEP_4)
	v_bfe_i32 v44, v44, 0, 16
	v_bfe_i32 v29, v29, 0, 16
	s_delay_alu instid0(VALU_DEP_4) | instskip(NEXT) | instid1(VALU_DEP_3)
	v_fmac_f32_e32 v24, v33, v42
	v_cvt_f32_i32_e32 v33, v44
	v_fmac_f32_e32 v22, v30, v42
	v_cvt_f32_i32_e32 v30, v43
	v_fmac_f32_e32 v23, v36, v42
	v_fmac_f32_e32 v21, v39, v42
	v_cvt_f32_i32_e32 v29, v29
	s_delay_alu instid0(VALU_DEP_3) | instskip(NEXT) | instid1(VALU_DEP_3)
	v_fmac_f32_e32 v23, v37, v30
	v_fmac_f32_e32 v21, v40, v30
	s_delay_alu instid0(VALU_DEP_2) | instskip(NEXT) | instid1(VALU_DEP_2)
	v_fmac_f32_e32 v23, v38, v33
	v_dual_fmac_f32 v24, v34, v30 :: v_dual_fmac_f32 v21, v41, v33
	v_fmac_f32_e32 v22, v31, v30
	s_delay_alu instid0(VALU_DEP_3) | instskip(NEXT) | instid1(VALU_DEP_3)
	v_fmac_f32_e32 v23, v27, v29
	v_fmac_f32_e32 v24, v35, v33
	s_delay_alu instid0(VALU_DEP_4) | instskip(NEXT) | instid1(VALU_DEP_4)
	v_fmac_f32_e32 v21, v28, v29
	v_fmac_f32_e32 v22, v32, v33
	s_delay_alu instid0(VALU_DEP_3) | instskip(NEXT) | instid1(VALU_DEP_2)
	v_fmac_f32_e32 v24, v26, v29
	v_fmac_f32_e32 v22, v25, v29
	s_and_not1_b32 exec_lo, exec_lo, s11
	s_cbranch_execnz .LBB88_19
; %bb.20:
	s_or_b32 exec_lo, exec_lo, s11
.LBB88_21:
	s_delay_alu instid0(SALU_CYCLE_1) | instskip(NEXT) | instid1(SALU_CYCLE_1)
	s_or_b32 exec_lo, exec_lo, s10
	s_mov_b32 s10, exec_lo
	v_cmpx_lt_u64_e32 0x5f, v[15:16]
	s_cbranch_execz .LBB88_25
; %bb.22:
	v_lshlrev_b64 v[15:16], 3, v[11:12]
	s_mov_b32 s11, 0
	s_delay_alu instid0(VALU_DEP_1) | instskip(NEXT) | instid1(VALU_DEP_2)
	v_add_co_u32 v15, vcc_lo, v15, s8
	v_add_co_ci_u32_e32 v16, vcc_lo, s9, v16, vcc_lo
	s_delay_alu instid0(VALU_DEP_2) | instskip(NEXT) | instid1(VALU_DEP_2)
	v_add_co_u32 v15, vcc_lo, 0x200, v15
	v_add_co_ci_u32_e32 v16, vcc_lo, 0, v16, vcc_lo
.LBB88_23:                              ; =>This Inner Loop Header: Depth=1
	s_clause 0x3
	global_load_b64 v[37:38], v[15:16], off offset:-512
	global_load_b64 v[39:40], v[15:16], off offset:-256
	global_load_b64 v[41:42], v[15:16], off
	global_load_b64 v[43:44], v[15:16], off offset:256
	s_clause 0x3
	global_load_b128 v[17:20], v[13:14], off
	global_load_b128 v[25:28], v[13:14], off offset:512
	global_load_b128 v[29:32], v[13:14], off offset:1024
	;; [unrolled: 1-line block ×3, first 2 shown]
	v_add_co_u32 v13, vcc_lo, 0x800, v13
	v_add_co_ci_u32_e32 v14, vcc_lo, 0, v14, vcc_lo
	v_add_co_u32 v11, vcc_lo, 0x80, v11
	v_add_co_ci_u32_e32 v12, vcc_lo, 0, v12, vcc_lo
	;; [unrolled: 2-line block ×3, first 2 shown]
	s_waitcnt vmcnt(7)
	v_sub_co_u32 v37, vcc_lo, v37, s20
	v_subrev_co_ci_u32_e32 v38, vcc_lo, s3, v38, vcc_lo
	s_waitcnt vmcnt(3)
	v_bfe_i32 v45, v17, 0, 8
	v_lshrrev_b32_e32 v46, 8, v17
	v_lshrrev_b32_e32 v47, 16, v17
	v_lshrrev_b32_e32 v48, 24, v17
	v_sub_co_u32 v17, vcc_lo, v39, s20
	v_bfe_i32 v49, v18, 0, 8
	v_lshrrev_b32_e32 v50, 8, v18
	v_lshrrev_b32_e32 v51, 16, v18
	;; [unrolled: 1-line block ×3, first 2 shown]
	v_subrev_co_ci_u32_e32 v18, vcc_lo, s3, v40, vcc_lo
	v_sub_co_u32 v39, vcc_lo, v41, s20
	v_lshlrev_b64 v[37:38], 2, v[37:38]
	v_subrev_co_ci_u32_e32 v40, vcc_lo, s3, v42, vcc_lo
	v_sub_co_u32 v41, vcc_lo, v43, s20
	v_lshlrev_b64 v[17:18], 2, v[17:18]
	v_subrev_co_ci_u32_e32 v42, vcc_lo, s3, v44, vcc_lo
	s_delay_alu instid0(VALU_DEP_4) | instskip(SKIP_2) | instid1(VALU_DEP_4)
	v_lshlrev_b64 v[39:40], 2, v[39:40]
	v_add_co_u32 v37, vcc_lo, s4, v37
	v_add_co_ci_u32_e32 v38, vcc_lo, s5, v38, vcc_lo
	v_lshlrev_b64 v[41:42], 2, v[41:42]
	v_add_co_u32 v17, vcc_lo, s4, v17
	v_add_co_ci_u32_e32 v18, vcc_lo, s5, v18, vcc_lo
	v_add_co_u32 v39, vcc_lo, s4, v39
	v_add_co_ci_u32_e32 v40, vcc_lo, s5, v40, vcc_lo
	v_add_co_u32 v41, vcc_lo, s4, v41
	v_add_co_ci_u32_e32 v42, vcc_lo, s5, v42, vcc_lo
	s_clause 0x3
	global_load_b32 v37, v[37:38], off
	global_load_b32 v17, v[17:18], off
	;; [unrolled: 1-line block ×4, first 2 shown]
	v_bfe_i32 v53, v19, 0, 8
	v_lshrrev_b32_e32 v54, 8, v19
	v_lshrrev_b32_e32 v55, 16, v19
	v_bfe_i32 v46, v46, 0, 8
	v_bfe_i32 v45, v45, 0, 16
	v_bfe_i32 v53, v53, 0, 16
	v_bfe_i32 v54, v54, 0, 8
	v_lshrrev_b32_e32 v19, 24, v19
	v_bfe_i32 v55, v55, 0, 8
	v_bfe_i32 v49, v49, 0, 16
	v_cvt_f32_i32_e32 v45, v45
	v_bfe_i32 v46, v46, 0, 16
	v_cvt_f32_i32_e32 v53, v53
	v_bfe_i32 v54, v54, 0, 16
	s_waitcnt vmcnt(6)
	v_lshrrev_b32_e32 v41, 16, v25
	v_bfe_i32 v19, v19, 0, 8
	v_cvt_f32_i32_e32 v49, v49
	v_bfe_i32 v55, v55, 0, 16
	v_cvt_f32_i32_e32 v46, v46
	v_cvt_f32_i32_e32 v54, v54
	v_lshrrev_b32_e32 v44, 16, v26
	v_bfe_i32 v59, v27, 0, 8
	v_lshrrev_b32_e32 v60, 8, v27
	v_bfe_i32 v47, v47, 0, 8
	v_bfe_i32 v41, v41, 0, 8
	;; [unrolled: 1-line block ×3, first 2 shown]
	v_cvt_f32_i32_e32 v55, v55
	v_bfe_i32 v56, v20, 0, 8
	v_lshrrev_b32_e32 v57, 8, v20
	v_lshrrev_b32_e32 v63, 8, v28
	v_bfe_i32 v48, v48, 0, 8
	v_bfe_i32 v44, v44, 0, 8
	;; [unrolled: 1-line block ×6, first 2 shown]
	v_cvt_f32_i32_e32 v19, v19
	v_lshrrev_b32_e32 v58, 16, v20
	v_bfe_i32 v39, v25, 0, 8
	v_lshrrev_b32_e32 v40, 8, v25
	v_lshrrev_b32_e32 v64, 16, v28
	v_bfe_i32 v50, v50, 0, 8
	v_bfe_i32 v57, v57, 0, 8
	;; [unrolled: 1-line block ×6, first 2 shown]
	v_cvt_f32_i32_e32 v59, v59
	v_bfe_i32 v60, v60, 0, 16
	v_cvt_f32_i32_e32 v47, v47
	v_cvt_f32_i32_e32 v41, v41
	v_lshrrev_b32_e32 v20, 24, v20
	v_lshrrev_b32_e32 v43, 8, v26
	v_bfe_i32 v58, v58, 0, 8
	v_bfe_i32 v40, v40, 0, 8
	;; [unrolled: 1-line block ×5, first 2 shown]
	v_cvt_f32_i32_e32 v56, v56
	v_bfe_i32 v57, v57, 0, 16
	v_bfe_i32 v63, v63, 0, 16
	v_cvt_f32_i32_e32 v48, v48
	v_cvt_f32_i32_e32 v44, v44
	;; [unrolled: 1-line block ×3, first 2 shown]
	v_lshrrev_b32_e32 v61, 16, v27
	v_bfe_i32 v20, v20, 0, 8
	v_bfe_i32 v43, v43, 0, 8
	;; [unrolled: 1-line block ×3, first 2 shown]
	v_cvt_f32_i32_e32 v39, v39
	v_bfe_i32 v40, v40, 0, 16
	v_bfe_i32 v64, v64, 0, 16
	v_cvt_f32_i32_e32 v50, v50
	v_cvt_f32_i32_e32 v57, v57
	;; [unrolled: 1-line block ×3, first 2 shown]
	v_lshrrev_b32_e32 v27, 24, v27
	s_waitcnt vmcnt(5)
	v_bfe_i32 v65, v29, 0, 8
	v_bfe_i32 v51, v51, 0, 8
	;; [unrolled: 1-line block ×5, first 2 shown]
	v_cvt_f32_i32_e32 v58, v58
	v_cvt_f32_i32_e32 v40, v40
	;; [unrolled: 1-line block ×3, first 2 shown]
	v_lshrrev_b32_e32 v70, 16, v30
	v_bfe_i32 v52, v52, 0, 8
	v_bfe_i32 v27, v27, 0, 8
	;; [unrolled: 1-line block ×5, first 2 shown]
	v_cvt_f32_i32_e32 v20, v20
	v_cvt_f32_i32_e32 v43, v43
	v_bfe_i32 v42, v26, 0, 8
	v_bfe_i32 v71, v31, 0, 8
	v_lshrrev_b32_e32 v73, 16, v31
	v_bfe_i32 v70, v70, 0, 8
	v_bfe_i32 v52, v52, 0, 16
	;; [unrolled: 1-line block ×3, first 2 shown]
	v_cvt_f32_i32_e32 v65, v65
	v_cvt_f32_i32_e32 v51, v51
	;; [unrolled: 1-line block ×3, first 2 shown]
	v_lshrrev_b32_e32 v25, 24, v25
	v_bfe_i32 v42, v42, 0, 16
	v_bfe_i32 v73, v73, 0, 8
	;; [unrolled: 1-line block ×4, first 2 shown]
	v_cvt_f32_i32_e32 v52, v52
	v_cvt_f32_i32_e32 v27, v27
	v_lshrrev_b32_e32 v26, 24, v26
	v_bfe_i32 v25, v25, 0, 8
	v_cvt_f32_i32_e32 v42, v42
	v_cvt_f32_i32_e32 v71, v71
	v_bfe_i32 v73, v73, 0, 16
	v_cvt_f32_i32_e32 v70, v70
	v_bfe_i32 v62, v28, 0, 8
	v_bfe_i32 v74, v32, 0, 8
	v_lshrrev_b32_e32 v76, 16, v32
	v_bfe_i32 v26, v26, 0, 8
	v_bfe_i32 v25, v25, 0, 16
	v_cvt_f32_i32_e32 v73, v73
	v_bfe_i32 v68, v30, 0, 8
	v_bfe_i32 v62, v62, 0, 16
	;; [unrolled: 1-line block ×5, first 2 shown]
	v_cvt_f32_i32_e32 v25, v25
	v_lshrrev_b32_e32 v28, 24, v28
	v_bfe_i32 v68, v68, 0, 16
	v_cvt_f32_i32_e32 v62, v62
	v_cvt_f32_i32_e32 v74, v74
	v_bfe_i32 v76, v76, 0, 16
	v_cvt_f32_i32_e32 v26, v26
	v_lshrrev_b32_e32 v66, 8, v29
	v_lshrrev_b32_e32 v67, 16, v29
	v_bfe_i32 v28, v28, 0, 8
	v_cvt_f32_i32_e32 v68, v68
	v_cvt_f32_i32_e32 v76, v76
	v_bfe_i32 v66, v66, 0, 8
	v_bfe_i32 v67, v67, 0, 8
	;; [unrolled: 1-line block ×3, first 2 shown]
	v_lshrrev_b32_e32 v69, 8, v30
	v_lshrrev_b32_e32 v72, 8, v31
	v_lshrrev_b32_e32 v75, 8, v32
	s_waitcnt vmcnt(4)
	v_bfe_i32 v83, v35, 0, 8
	v_bfe_i32 v66, v66, 0, 16
	;; [unrolled: 1-line block ×3, first 2 shown]
	v_cvt_f32_i32_e32 v28, v28
	v_lshrrev_b32_e32 v29, 24, v29
	v_bfe_i32 v69, v69, 0, 8
	v_bfe_i32 v72, v72, 0, 8
	;; [unrolled: 1-line block ×4, first 2 shown]
	v_cvt_f32_i32_e32 v66, v66
	v_cvt_f32_i32_e32 v67, v67
	v_lshrrev_b32_e32 v32, 24, v32
	v_bfe_i32 v77, v33, 0, 8
	v_bfe_i32 v80, v34, 0, 8
	;; [unrolled: 1-line block ×3, first 2 shown]
	v_lshrrev_b32_e32 v88, 16, v36
	v_bfe_i32 v29, v29, 0, 8
	v_bfe_i32 v69, v69, 0, 16
	;; [unrolled: 1-line block ×4, first 2 shown]
	v_cvt_f32_i32_e32 v83, v83
	v_lshrrev_b32_e32 v31, 24, v31
	v_lshrrev_b32_e32 v79, 16, v33
	v_bfe_i32 v32, v32, 0, 8
	v_bfe_i32 v88, v88, 0, 8
	;; [unrolled: 1-line block ×6, first 2 shown]
	v_cvt_f32_i32_e32 v69, v69
	v_cvt_f32_i32_e32 v72, v72
	;; [unrolled: 1-line block ×3, first 2 shown]
	v_lshrrev_b32_e32 v30, 24, v30
	v_lshrrev_b32_e32 v82, 16, v34
	v_bfe_i32 v31, v31, 0, 8
	v_bfe_i32 v79, v79, 0, 8
	;; [unrolled: 1-line block ×3, first 2 shown]
	v_cvt_f32_i32_e32 v77, v77
	v_cvt_f32_i32_e32 v80, v80
	v_cvt_f32_i32_e32 v86, v86
	v_bfe_i32 v88, v88, 0, 16
	v_cvt_f32_i32_e32 v29, v29
	v_lshrrev_b32_e32 v84, 8, v35
	v_lshrrev_b32_e32 v85, 16, v35
	v_bfe_i32 v30, v30, 0, 8
	v_bfe_i32 v82, v82, 0, 8
	;; [unrolled: 1-line block ×4, first 2 shown]
	v_cvt_f32_i32_e32 v32, v32
	v_cvt_f32_i32_e32 v88, v88
	v_bfe_i32 v84, v84, 0, 8
	v_bfe_i32 v85, v85, 0, 8
	;; [unrolled: 1-line block ×4, first 2 shown]
	v_cvt_f32_i32_e32 v31, v31
	v_cvt_f32_i32_e32 v79, v79
	v_lshrrev_b32_e32 v78, 8, v33
	v_lshrrev_b32_e32 v81, 8, v34
	;; [unrolled: 1-line block ×3, first 2 shown]
	v_bfe_i32 v84, v84, 0, 16
	v_bfe_i32 v85, v85, 0, 16
	v_cvt_f32_i32_e32 v30, v30
	v_cvt_f32_i32_e32 v82, v82
	v_bfe_i32 v78, v78, 0, 8
	v_bfe_i32 v81, v81, 0, 8
	;; [unrolled: 1-line block ×3, first 2 shown]
	v_cvt_f32_i32_e32 v84, v84
	v_cvt_f32_i32_e32 v85, v85
	v_lshrrev_b32_e32 v33, 24, v33
	v_lshrrev_b32_e32 v34, 24, v34
	;; [unrolled: 1-line block ×4, first 2 shown]
	v_bfe_i32 v78, v78, 0, 16
	v_bfe_i32 v81, v81, 0, 16
	;; [unrolled: 1-line block ×7, first 2 shown]
	v_cvt_f32_i32_e32 v78, v78
	v_cvt_f32_i32_e32 v81, v81
	;; [unrolled: 1-line block ×3, first 2 shown]
	v_bfe_i32 v33, v33, 0, 16
	v_bfe_i32 v34, v34, 0, 16
	;; [unrolled: 1-line block ×4, first 2 shown]
	v_cmp_ge_i64_e32 vcc_lo, v[11:12], v[5:6]
	v_cvt_f32_i32_e32 v33, v33
	v_cvt_f32_i32_e32 v34, v34
	v_cvt_f32_i32_e32 v35, v35
	v_cvt_f32_i32_e32 v36, v36
	s_or_b32 s11, vcc_lo, s11
	s_waitcnt vmcnt(3)
	v_bfe_i32 v90, v37, 0, 8
	v_lshrrev_b32_e32 v91, 8, v37
	v_lshrrev_b32_e32 v89, 16, v37
	;; [unrolled: 1-line block ×3, first 2 shown]
	s_waitcnt vmcnt(2)
	v_bfe_i32 v93, v17, 0, 8
	v_bfe_i32 v90, v90, 0, 16
	;; [unrolled: 1-line block ×5, first 2 shown]
	v_lshrrev_b32_e32 v94, 8, v17
	v_cvt_f32_i32_e32 v90, v90
	v_bfe_i32 v91, v91, 0, 16
	v_bfe_i32 v89, v89, 0, 16
	;; [unrolled: 1-line block ×4, first 2 shown]
	v_fmac_f32_e32 v23, v53, v90
	v_fmac_f32_e32 v22, v45, v90
	v_cvt_f32_i32_e32 v45, v91
	v_bfe_i32 v93, v93, 0, 16
	v_cvt_f32_i32_e32 v37, v37
	v_bfe_i32 v94, v94, 0, 16
	v_lshrrev_b32_e32 v92, 16, v17
	v_dual_fmac_f32 v23, v54, v45 :: v_dual_fmac_f32 v24, v49, v90
	v_cvt_f32_i32_e32 v49, v89
	v_cvt_f32_i32_e32 v93, v93
	v_fmac_f32_e32 v22, v46, v45
	v_lshrrev_b32_e32 v17, 24, v17
	s_waitcnt vmcnt(1)
	v_bfe_i32 v96, v18, 0, 8
	v_fmac_f32_e32 v23, v55, v49
	v_dual_fmac_f32 v21, v56, v90 :: v_dual_fmac_f32 v24, v50, v45
	v_bfe_i32 v92, v92, 0, 8
	v_bfe_i32 v17, v17, 0, 8
	s_delay_alu instid0(VALU_DEP_4)
	v_fmac_f32_e32 v23, v19, v37
	v_cvt_f32_i32_e32 v19, v94
	v_bfe_i32 v96, v96, 0, 16
	v_bfe_i32 v92, v92, 0, 16
	;; [unrolled: 1-line block ×3, first 2 shown]
	v_fmac_f32_e32 v23, v59, v93
	v_fmac_f32_e32 v22, v47, v49
	v_cvt_f32_i32_e32 v96, v96
	v_lshrrev_b32_e32 v95, 16, v18
	v_cvt_f32_i32_e32 v17, v17
	v_fmac_f32_e32 v23, v60, v19
	v_fmac_f32_e32 v22, v48, v37
	v_lshrrev_b32_e32 v97, 8, v18
	v_bfe_i32 v95, v95, 0, 8
	s_waitcnt vmcnt(0)
	v_bfe_i32 v99, v38, 0, 8
	v_lshrrev_b32_e32 v18, 24, v18
	v_fmac_f32_e32 v22, v39, v93
	v_fmac_f32_e32 v21, v57, v45
	v_bfe_i32 v97, v97, 0, 8
	v_bfe_i32 v95, v95, 0, 16
	;; [unrolled: 1-line block ×3, first 2 shown]
	s_delay_alu instid0(VALU_DEP_4) | instskip(NEXT) | instid1(VALU_DEP_4)
	v_dual_fmac_f32 v22, v40, v19 :: v_dual_fmac_f32 v21, v58, v49
	v_bfe_i32 v97, v97, 0, 16
	v_lshrrev_b32_e32 v98, 16, v38
	v_bfe_i32 v18, v18, 0, 8
	v_cvt_f32_i32_e32 v99, v99
	v_fmac_f32_e32 v21, v20, v37
	v_cvt_f32_i32_e32 v20, v92
	v_fmac_f32_e32 v24, v51, v49
	v_bfe_i32 v98, v98, 0, 8
	v_bfe_i32 v18, v18, 0, 16
	v_lshrrev_b32_e32 v100, 8, v38
	v_fmac_f32_e32 v23, v61, v20
	v_fmac_f32_e32 v22, v41, v20
	v_lshrrev_b32_e32 v38, 24, v38
	s_delay_alu instid0(VALU_DEP_4) | instskip(NEXT) | instid1(VALU_DEP_4)
	v_bfe_i32 v100, v100, 0, 8
	v_fmac_f32_e32 v23, v27, v17
	v_fmac_f32_e32 v24, v52, v37
	;; [unrolled: 1-line block ×3, first 2 shown]
	v_bfe_i32 v38, v38, 0, 8
	v_bfe_i32 v45, v100, 0, 16
	s_delay_alu instid0(VALU_DEP_4) | instskip(NEXT) | instid1(VALU_DEP_4)
	v_dual_fmac_f32 v23, v71, v96 :: v_dual_fmac_f32 v24, v42, v93
	v_fmac_f32_e32 v22, v65, v96
	s_delay_alu instid0(VALU_DEP_2) | instskip(NEXT) | instid1(VALU_DEP_1)
	v_fmac_f32_e32 v24, v43, v19
	v_fmac_f32_e32 v24, v44, v20
	s_delay_alu instid0(VALU_DEP_1) | instskip(NEXT) | instid1(VALU_DEP_1)
	v_fmac_f32_e32 v24, v26, v17
	v_dual_fmac_f32 v21, v62, v93 :: v_dual_fmac_f32 v24, v68, v96
	s_delay_alu instid0(VALU_DEP_1) | instskip(SKIP_1) | instid1(VALU_DEP_2)
	v_fmac_f32_e32 v21, v63, v19
	v_bfe_i32 v19, v98, 0, 16
	v_fmac_f32_e32 v21, v64, v20
	v_cvt_f32_i32_e32 v20, v95
	s_delay_alu instid0(VALU_DEP_3) | instskip(NEXT) | instid1(VALU_DEP_3)
	v_cvt_f32_i32_e32 v19, v19
	v_fmac_f32_e32 v21, v28, v17
	v_cvt_f32_i32_e32 v17, v97
	s_delay_alu instid0(VALU_DEP_1) | instskip(SKIP_1) | instid1(VALU_DEP_2)
	v_fmac_f32_e32 v22, v66, v17
	v_fmac_f32_e32 v24, v69, v17
	v_dual_fmac_f32 v23, v72, v17 :: v_dual_fmac_f32 v22, v67, v20
	v_fmac_f32_e32 v21, v74, v96
	s_delay_alu instid0(VALU_DEP_1) | instskip(SKIP_2) | instid1(VALU_DEP_2)
	v_fmac_f32_e32 v21, v75, v17
	v_cvt_f32_i32_e32 v17, v18
	v_bfe_i32 v18, v38, 0, 16
	v_dual_fmac_f32 v21, v76, v20 :: v_dual_fmac_f32 v22, v29, v17
	s_delay_alu instid0(VALU_DEP_1) | instskip(SKIP_1) | instid1(VALU_DEP_2)
	v_dual_fmac_f32 v21, v32, v17 :: v_dual_fmac_f32 v22, v77, v99
	v_fmac_f32_e32 v23, v73, v20
	v_fmac_f32_e32 v21, v86, v99
	s_delay_alu instid0(VALU_DEP_2) | instskip(NEXT) | instid1(VALU_DEP_1)
	v_dual_fmac_f32 v24, v70, v20 :: v_dual_fmac_f32 v23, v31, v17
	v_fmac_f32_e32 v24, v30, v17
	v_cvt_f32_i32_e32 v17, v45
	s_delay_alu instid0(VALU_DEP_1) | instskip(NEXT) | instid1(VALU_DEP_1)
	v_dual_fmac_f32 v23, v83, v99 :: v_dual_fmac_f32 v22, v78, v17
	v_fmac_f32_e32 v23, v84, v17
	v_fmac_f32_e32 v21, v87, v17
	s_delay_alu instid0(VALU_DEP_3) | instskip(NEXT) | instid1(VALU_DEP_3)
	v_fmac_f32_e32 v22, v79, v19
	v_fmac_f32_e32 v23, v85, v19
	;; [unrolled: 1-line block ×3, first 2 shown]
	s_delay_alu instid0(VALU_DEP_1) | instskip(SKIP_1) | instid1(VALU_DEP_2)
	v_dual_fmac_f32 v21, v88, v19 :: v_dual_fmac_f32 v24, v81, v17
	v_cvt_f32_i32_e32 v17, v18
	v_fmac_f32_e32 v24, v82, v19
	s_delay_alu instid0(VALU_DEP_2) | instskip(SKIP_2) | instid1(VALU_DEP_4)
	v_fmac_f32_e32 v22, v33, v17
	v_fmac_f32_e32 v23, v35, v17
	;; [unrolled: 1-line block ×4, first 2 shown]
	s_and_not1_b32 exec_lo, exec_lo, s11
	s_cbranch_execnz .LBB88_23
; %bb.24:
	s_or_b32 exec_lo, exec_lo, s11
.LBB88_25:
	s_delay_alu instid0(SALU_CYCLE_1)
	s_or_b32 exec_lo, exec_lo, s10
.LBB88_26:
	s_delay_alu instid0(SALU_CYCLE_1) | instskip(NEXT) | instid1(SALU_CYCLE_1)
	s_or_b32 exec_lo, exec_lo, s7
	s_and_not1_b32 vcc_lo, exec_lo, s6
	s_cbranch_vccz .LBB88_28
	s_branch .LBB88_39
.LBB88_27:
                                        ; implicit-def: $vgpr21
                                        ; implicit-def: $vgpr23
                                        ; implicit-def: $vgpr24
                                        ; implicit-def: $vgpr22
.LBB88_28:
	v_dual_mov_b32 v21, 0 :: v_dual_mov_b32 v24, 0
	v_dual_mov_b32 v23, 0 :: v_dual_mov_b32 v22, 0
	s_delay_alu instid0(VALU_DEP_3)
	s_and_saveexec_b32 s6, s2
	s_cbranch_execz .LBB88_38
; %bb.29:
	v_or_b32_e32 v11, 32, v2
	v_mov_b32_e32 v23, 0
	v_dual_mov_b32 v21, 0 :: v_dual_mov_b32 v22, 0
	v_mov_b32_e32 v24, 0
	s_delay_alu instid0(VALU_DEP_4) | instskip(NEXT) | instid1(VALU_DEP_1)
	v_sub_co_u32 v11, s2, v11, s20
	v_sub_co_ci_u32_e64 v12, null, 0, s3, s2
	v_sub_co_u32 v13, s2, s20, v2
	s_delay_alu instid0(VALU_DEP_3) | instskip(NEXT) | instid1(VALU_DEP_3)
	v_add_co_u32 v11, vcc_lo, v11, v9
	v_add_co_ci_u32_e32 v12, vcc_lo, v12, v10, vcc_lo
	v_not_b32_e32 v9, v9
	v_not_b32_e32 v10, v10
	v_sub_co_ci_u32_e64 v14, null, s3, 0, s2
	s_delay_alu instid0(VALU_DEP_4) | instskip(SKIP_4) | instid1(VALU_DEP_2)
	v_cmp_gt_i64_e32 vcc_lo, v[11:12], v[5:6]
	s_mov_b32 s2, exec_lo
	v_dual_cndmask_b32 v12, v6, v12 :: v_dual_cndmask_b32 v11, v5, v11
	v_add_co_u32 v9, vcc_lo, v13, v9
	v_add_co_ci_u32_e32 v10, vcc_lo, v14, v10, vcc_lo
	v_add_co_u32 v9, vcc_lo, v9, v11
	s_delay_alu instid0(VALU_DEP_2) | instskip(NEXT) | instid1(VALU_DEP_2)
	v_add_co_ci_u32_e32 v10, vcc_lo, v10, v12, vcc_lo
	v_lshrrev_b32_e32 v11, 5, v9
	s_delay_alu instid0(VALU_DEP_1) | instskip(NEXT) | instid1(VALU_DEP_1)
	v_add_nc_u32_e32 v11, 1, v11
	v_and_b32_e32 v11, 3, v11
	s_delay_alu instid0(VALU_DEP_1)
	v_cmpx_ne_u32_e32 0, v11
	s_cbranch_execz .LBB88_33
; %bb.30:
	v_lshlrev_b64 v[13:14], 3, v[0:1]
	v_dual_mov_b32 v12, 0 :: v_dual_lshlrev_b32 v11, 1, v11
	s_mov_b32 s7, 0
	s_delay_alu instid0(VALU_DEP_1) | instskip(NEXT) | instid1(VALU_DEP_3)
	v_mov_b32_e32 v21, v12
	v_add_co_u32 v13, vcc_lo, s8, v13
	s_delay_alu instid0(VALU_DEP_4)
	v_add_co_ci_u32_e32 v14, vcc_lo, s9, v14, vcc_lo
	v_mov_b32_e32 v23, v12
	v_mov_b32_e32 v24, v12
	;; [unrolled: 1-line block ×3, first 2 shown]
.LBB88_31:                              ; =>This Inner Loop Header: Depth=1
	global_load_b64 v[19:20], v[13:14], off
	global_load_b128 v[15:18], v[7:8], off
	s_waitcnt vmcnt(1)
	v_sub_co_u32 v19, vcc_lo, v19, s20
	v_subrev_co_ci_u32_e32 v20, vcc_lo, s3, v20, vcc_lo
	s_waitcnt vmcnt(0)
	v_lshrrev_b32_e32 v25, 8, v15
	v_lshrrev_b32_e32 v26, 16, v15
	v_bfe_i32 v27, v16, 0, 8
	v_lshlrev_b64 v[19:20], 2, v[19:20]
	v_lshrrev_b32_e32 v28, 8, v16
	v_lshrrev_b32_e32 v29, 16, v16
	;; [unrolled: 1-line block ×3, first 2 shown]
	v_bfe_i32 v30, v17, 0, 8
	v_lshrrev_b32_e32 v31, 8, v17
	v_add_co_u32 v19, vcc_lo, s4, v19
	v_add_co_ci_u32_e32 v20, vcc_lo, s5, v20, vcc_lo
	v_lshrrev_b32_e32 v32, 16, v17
	v_lshrrev_b32_e32 v17, 24, v17
	v_bfe_i32 v26, v26, 0, 8
	global_load_b32 v19, v[19:20], off
	v_bfe_i32 v20, v15, 0, 8
	v_lshrrev_b32_e32 v15, 24, v15
	v_bfe_i32 v25, v25, 0, 8
	v_bfe_i32 v29, v29, 0, 8
	;; [unrolled: 1-line block ×12, first 2 shown]
	v_cvt_f32_i32_e32 v20, v20
	v_bfe_i32 v25, v25, 0, 16
	v_bfe_i32 v29, v29, 0, 16
	;; [unrolled: 1-line block ×5, first 2 shown]
	v_cvt_f32_i32_e32 v26, v26
	v_cvt_f32_i32_e32 v15, v15
	v_bfe_i32 v33, v18, 0, 8
	v_lshrrev_b32_e32 v34, 8, v18
	v_lshrrev_b32_e32 v35, 16, v18
	;; [unrolled: 1-line block ×3, first 2 shown]
	v_bfe_i32 v27, v27, 0, 16
	v_bfe_i32 v28, v28, 0, 16
	v_cvt_f32_i32_e32 v30, v30
	v_bfe_i32 v32, v32, 0, 16
	v_cvt_f32_i32_e32 v25, v25
	v_cvt_f32_i32_e32 v29, v29
	;; [unrolled: 1-line block ×5, first 2 shown]
	v_add_co_u32 v7, vcc_lo, 0x200, v7
	v_add_co_ci_u32_e32 v8, vcc_lo, 0, v8, vcc_lo
	v_add_co_u32 v0, vcc_lo, v0, 32
	v_bfe_i32 v34, v34, 0, 8
	v_bfe_i32 v35, v35, 0, 8
	v_bfe_i32 v18, v18, 0, 8
	v_cvt_f32_i32_e32 v27, v27
	v_cvt_f32_i32_e32 v28, v28
	;; [unrolled: 1-line block ×3, first 2 shown]
	v_add_co_ci_u32_e32 v1, vcc_lo, 0, v1, vcc_lo
	v_add_co_u32 v13, vcc_lo, 0x100, v13
	v_add_co_ci_u32_e32 v14, vcc_lo, 0, v14, vcc_lo
	v_add_co_u32 v11, vcc_lo, v11, -2
	v_bfe_i32 v33, v33, 0, 16
	v_bfe_i32 v34, v34, 0, 16
	;; [unrolled: 1-line block ×4, first 2 shown]
	v_add_co_ci_u32_e32 v12, vcc_lo, -1, v12, vcc_lo
	v_cvt_f32_i32_e32 v33, v33
	v_cvt_f32_i32_e32 v34, v34
	;; [unrolled: 1-line block ×4, first 2 shown]
	v_cmp_eq_u64_e32 vcc_lo, 0, v[11:12]
	s_or_b32 s7, vcc_lo, s7
	s_waitcnt vmcnt(0)
	v_bfe_i32 v36, v19, 0, 8
	v_lshrrev_b32_e32 v37, 8, v19
	v_lshrrev_b32_e32 v38, 16, v19
	;; [unrolled: 1-line block ×3, first 2 shown]
	s_delay_alu instid0(VALU_DEP_4) | instskip(NEXT) | instid1(VALU_DEP_4)
	v_bfe_i32 v36, v36, 0, 16
	v_bfe_i32 v37, v37, 0, 8
	s_delay_alu instid0(VALU_DEP_4) | instskip(NEXT) | instid1(VALU_DEP_4)
	v_bfe_i32 v38, v38, 0, 8
	v_bfe_i32 v19, v19, 0, 8
	s_delay_alu instid0(VALU_DEP_4) | instskip(NEXT) | instid1(VALU_DEP_4)
	v_cvt_f32_i32_e32 v36, v36
	v_bfe_i32 v37, v37, 0, 16
	s_delay_alu instid0(VALU_DEP_4) | instskip(NEXT) | instid1(VALU_DEP_4)
	v_bfe_i32 v38, v38, 0, 16
	v_bfe_i32 v19, v19, 0, 16
	s_delay_alu instid0(VALU_DEP_4) | instskip(NEXT) | instid1(VALU_DEP_3)
	v_fmac_f32_e32 v21, v15, v36
	v_cvt_f32_i32_e32 v15, v38
	v_fmac_f32_e32 v22, v20, v36
	v_cvt_f32_i32_e32 v20, v37
	v_fmac_f32_e32 v23, v26, v36
	s_delay_alu instid0(VALU_DEP_2) | instskip(NEXT) | instid1(VALU_DEP_2)
	v_fmac_f32_e32 v21, v16, v20
	v_fmac_f32_e32 v23, v29, v20
	v_fmac_f32_e32 v24, v25, v36
	v_cvt_f32_i32_e32 v16, v19
	s_delay_alu instid0(VALU_DEP_4) | instskip(NEXT) | instid1(VALU_DEP_4)
	v_fmac_f32_e32 v21, v17, v15
	v_dual_fmac_f32 v23, v32, v15 :: v_dual_fmac_f32 v22, v27, v20
	s_delay_alu instid0(VALU_DEP_4) | instskip(NEXT) | instid1(VALU_DEP_3)
	v_fmac_f32_e32 v24, v28, v20
	v_fmac_f32_e32 v21, v18, v16
	s_delay_alu instid0(VALU_DEP_3) | instskip(NEXT) | instid1(VALU_DEP_3)
	v_dual_fmac_f32 v23, v35, v16 :: v_dual_fmac_f32 v22, v30, v15
	v_fmac_f32_e32 v24, v31, v15
	s_delay_alu instid0(VALU_DEP_2) | instskip(NEXT) | instid1(VALU_DEP_2)
	v_fmac_f32_e32 v22, v33, v16
	v_fmac_f32_e32 v24, v34, v16
	s_and_not1_b32 exec_lo, exec_lo, s7
	s_cbranch_execnz .LBB88_31
; %bb.32:
	s_or_b32 exec_lo, exec_lo, s7
.LBB88_33:
	s_delay_alu instid0(SALU_CYCLE_1) | instskip(NEXT) | instid1(SALU_CYCLE_1)
	s_or_b32 exec_lo, exec_lo, s2
	s_mov_b32 s2, exec_lo
	v_cmpx_lt_u64_e32 0x5f, v[9:10]
	s_cbranch_execz .LBB88_37
; %bb.34:
	v_lshlrev_b64 v[9:10], 3, v[0:1]
	s_mov_b32 s7, 0
	s_delay_alu instid0(VALU_DEP_1) | instskip(NEXT) | instid1(VALU_DEP_2)
	v_add_co_u32 v9, vcc_lo, v9, s8
	v_add_co_ci_u32_e32 v10, vcc_lo, s9, v10, vcc_lo
	s_delay_alu instid0(VALU_DEP_2) | instskip(NEXT) | instid1(VALU_DEP_2)
	v_add_co_u32 v9, vcc_lo, 0x200, v9
	v_add_co_ci_u32_e32 v10, vcc_lo, 0, v10, vcc_lo
.LBB88_35:                              ; =>This Inner Loop Header: Depth=1
	s_clause 0x3
	global_load_b64 v[19:20], v[9:10], off offset:-512
	global_load_b64 v[33:34], v[9:10], off offset:-256
	global_load_b64 v[35:36], v[9:10], off
	global_load_b64 v[37:38], v[9:10], off offset:256
	s_clause 0x3
	global_load_b128 v[11:14], v[7:8], off
	global_load_b128 v[15:18], v[7:8], off offset:512
	global_load_b128 v[25:28], v[7:8], off offset:1024
	;; [unrolled: 1-line block ×3, first 2 shown]
	v_add_co_u32 v7, vcc_lo, 0x800, v7
	v_add_co_ci_u32_e32 v8, vcc_lo, 0, v8, vcc_lo
	v_add_co_u32 v0, vcc_lo, 0x80, v0
	v_add_co_ci_u32_e32 v1, vcc_lo, 0, v1, vcc_lo
	;; [unrolled: 2-line block ×3, first 2 shown]
	s_waitcnt vmcnt(7)
	v_sub_co_u32 v19, vcc_lo, v19, s20
	v_subrev_co_ci_u32_e32 v20, vcc_lo, s3, v20, vcc_lo
	s_waitcnt vmcnt(3)
	v_bfe_i32 v39, v11, 0, 8
	v_lshrrev_b32_e32 v40, 8, v11
	v_lshrrev_b32_e32 v41, 16, v11
	;; [unrolled: 1-line block ×3, first 2 shown]
	v_sub_co_u32 v11, vcc_lo, v33, s20
	v_bfe_i32 v43, v12, 0, 8
	v_lshrrev_b32_e32 v44, 8, v12
	v_lshrrev_b32_e32 v45, 16, v12
	v_lshrrev_b32_e32 v46, 24, v12
	v_subrev_co_ci_u32_e32 v12, vcc_lo, s3, v34, vcc_lo
	v_sub_co_u32 v33, vcc_lo, v35, s20
	v_lshlrev_b64 v[19:20], 2, v[19:20]
	v_subrev_co_ci_u32_e32 v34, vcc_lo, s3, v36, vcc_lo
	v_sub_co_u32 v35, vcc_lo, v37, s20
	v_lshlrev_b64 v[11:12], 2, v[11:12]
	v_subrev_co_ci_u32_e32 v36, vcc_lo, s3, v38, vcc_lo
	s_delay_alu instid0(VALU_DEP_4) | instskip(SKIP_2) | instid1(VALU_DEP_4)
	v_lshlrev_b64 v[33:34], 2, v[33:34]
	v_add_co_u32 v19, vcc_lo, s4, v19
	v_add_co_ci_u32_e32 v20, vcc_lo, s5, v20, vcc_lo
	v_lshlrev_b64 v[35:36], 2, v[35:36]
	v_add_co_u32 v11, vcc_lo, s4, v11
	v_add_co_ci_u32_e32 v12, vcc_lo, s5, v12, vcc_lo
	v_add_co_u32 v33, vcc_lo, s4, v33
	v_add_co_ci_u32_e32 v34, vcc_lo, s5, v34, vcc_lo
	;; [unrolled: 2-line block ×3, first 2 shown]
	s_clause 0x3
	global_load_b32 v19, v[19:20], off
	global_load_b32 v11, v[11:12], off
	;; [unrolled: 1-line block ×4, first 2 shown]
	v_bfe_i32 v41, v41, 0, 8
	v_lshrrev_b32_e32 v49, 16, v13
	v_bfe_i32 v40, v40, 0, 8
	v_bfe_i32 v42, v42, 0, 8
	;; [unrolled: 1-line block ×6, first 2 shown]
	v_lshrrev_b32_e32 v48, 8, v13
	v_lshrrev_b32_e32 v13, 24, v13
	;; [unrolled: 1-line block ×3, first 2 shown]
	v_bfe_i32 v44, v44, 0, 8
	v_bfe_i32 v46, v46, 0, 8
	;; [unrolled: 1-line block ×4, first 2 shown]
	v_cvt_f32_i32_e32 v39, v39
	v_bfe_i32 v40, v40, 0, 16
	v_bfe_i32 v42, v42, 0, 16
	;; [unrolled: 1-line block ×3, first 2 shown]
	v_cvt_f32_i32_e32 v41, v41
	v_bfe_i32 v50, v14, 0, 8
	v_lshrrev_b32_e32 v51, 8, v14
	v_lshrrev_b32_e32 v14, 24, v14
	s_waitcnt vmcnt(6)
	v_lshrrev_b32_e32 v35, 16, v15
	v_bfe_i32 v13, v13, 0, 8
	v_bfe_i32 v52, v52, 0, 8
	;; [unrolled: 1-line block ×3, first 2 shown]
	v_cvt_f32_i32_e32 v43, v43
	v_bfe_i32 v44, v44, 0, 16
	v_bfe_i32 v46, v46, 0, 16
	;; [unrolled: 1-line block ×3, first 2 shown]
	v_cvt_f32_i32_e32 v40, v40
	v_cvt_f32_i32_e32 v42, v42
	;; [unrolled: 1-line block ×3, first 2 shown]
	v_bfe_i32 v33, v15, 0, 8
	v_lshrrev_b32_e32 v34, 8, v15
	v_lshrrev_b32_e32 v15, 24, v15
	;; [unrolled: 1-line block ×3, first 2 shown]
	v_bfe_i32 v48, v48, 0, 8
	v_bfe_i32 v51, v51, 0, 8
	v_bfe_i32 v14, v14, 0, 8
	v_bfe_i32 v50, v50, 0, 16
	v_bfe_i32 v35, v35, 0, 8
	v_cvt_f32_i32_e32 v47, v47
	v_bfe_i32 v13, v13, 0, 16
	v_bfe_i32 v52, v52, 0, 16
	v_cvt_f32_i32_e32 v44, v44
	v_cvt_f32_i32_e32 v46, v46
	;; [unrolled: 1-line block ×3, first 2 shown]
	v_bfe_i32 v36, v16, 0, 8
	v_lshrrev_b32_e32 v37, 8, v16
	v_lshrrev_b32_e32 v16, 24, v16
	v_bfe_i32 v15, v15, 0, 8
	v_bfe_i32 v38, v38, 0, 8
	;; [unrolled: 1-line block ×4, first 2 shown]
	v_cvt_f32_i32_e32 v50, v50
	v_bfe_i32 v51, v51, 0, 16
	v_bfe_i32 v14, v14, 0, 16
	;; [unrolled: 1-line block ×3, first 2 shown]
	v_cvt_f32_i32_e32 v13, v13
	v_cvt_f32_i32_e32 v52, v52
	v_bfe_i32 v53, v17, 0, 8
	v_lshrrev_b32_e32 v54, 8, v17
	v_lshrrev_b32_e32 v55, 16, v17
	;; [unrolled: 1-line block ×3, first 2 shown]
	s_waitcnt vmcnt(4)
	v_lshrrev_b32_e32 v79, 16, v31
	v_bfe_i32 v34, v34, 0, 8
	v_bfe_i32 v37, v37, 0, 8
	;; [unrolled: 1-line block ×4, first 2 shown]
	v_cvt_f32_i32_e32 v33, v33
	v_bfe_i32 v15, v15, 0, 16
	v_bfe_i32 v38, v38, 0, 16
	v_cvt_f32_i32_e32 v48, v48
	v_cvt_f32_i32_e32 v51, v51
	;; [unrolled: 1-line block ×4, first 2 shown]
	v_bfe_i32 v56, v18, 0, 8
	v_lshrrev_b32_e32 v57, 8, v18
	v_lshrrev_b32_e32 v58, 16, v18
	;; [unrolled: 1-line block ×3, first 2 shown]
	v_bfe_i32 v59, v25, 0, 8
	v_lshrrev_b32_e32 v60, 8, v25
	v_lshrrev_b32_e32 v61, 16, v25
	;; [unrolled: 1-line block ×3, first 2 shown]
	v_bfe_i32 v55, v55, 0, 8
	v_bfe_i32 v17, v17, 0, 8
	;; [unrolled: 1-line block ×5, first 2 shown]
	v_cvt_f32_i32_e32 v36, v36
	v_bfe_i32 v37, v37, 0, 16
	v_bfe_i32 v16, v16, 0, 16
	v_cvt_f32_i32_e32 v15, v15
	v_cvt_f32_i32_e32 v38, v38
	v_lshrrev_b32_e32 v72, 8, v29
	v_bfe_i32 v54, v54, 0, 8
	v_bfe_i32 v58, v58, 0, 8
	;; [unrolled: 1-line block ×6, first 2 shown]
	v_cvt_f32_i32_e32 v53, v53
	v_bfe_i32 v55, v55, 0, 16
	v_bfe_i32 v17, v17, 0, 16
	v_bfe_i32 v79, v79, 0, 16
	v_cvt_f32_i32_e32 v34, v34
	v_cvt_f32_i32_e32 v37, v37
	;; [unrolled: 1-line block ×3, first 2 shown]
	v_bfe_i32 v62, v26, 0, 8
	v_lshrrev_b32_e32 v63, 8, v26
	v_lshrrev_b32_e32 v64, 16, v26
	v_lshrrev_b32_e32 v26, 24, v26
	v_bfe_i32 v71, v29, 0, 8
	v_bfe_i32 v77, v31, 0, 8
	v_lshrrev_b32_e32 v78, 8, v31
	v_lshrrev_b32_e32 v31, 24, v31
	v_bfe_i32 v57, v57, 0, 8
	v_bfe_i32 v61, v61, 0, 8
	;; [unrolled: 1-line block ×5, first 2 shown]
	v_cvt_f32_i32_e32 v56, v56
	v_bfe_i32 v58, v58, 0, 16
	v_bfe_i32 v18, v18, 0, 16
	;; [unrolled: 1-line block ×4, first 2 shown]
	v_cvt_f32_i32_e32 v55, v55
	v_cvt_f32_i32_e32 v17, v17
	;; [unrolled: 1-line block ×3, first 2 shown]
	v_bfe_i32 v65, v27, 0, 8
	v_lshrrev_b32_e32 v66, 8, v27
	v_lshrrev_b32_e32 v67, 16, v27
	;; [unrolled: 1-line block ×3, first 2 shown]
	v_bfe_i32 v64, v64, 0, 8
	v_bfe_i32 v26, v26, 0, 8
	;; [unrolled: 1-line block ×5, first 2 shown]
	v_cvt_f32_i32_e32 v59, v59
	v_bfe_i32 v61, v61, 0, 16
	v_bfe_i32 v72, v72, 0, 16
	v_cvt_f32_i32_e32 v54, v54
	v_cvt_f32_i32_e32 v58, v58
	;; [unrolled: 1-line block ×5, first 2 shown]
	v_bfe_i32 v68, v28, 0, 8
	v_lshrrev_b32_e32 v69, 8, v28
	v_lshrrev_b32_e32 v70, 16, v28
	;; [unrolled: 1-line block ×5, first 2 shown]
	v_bfe_i32 v63, v63, 0, 8
	v_bfe_i32 v67, v67, 0, 8
	;; [unrolled: 1-line block ×5, first 2 shown]
	v_cvt_f32_i32_e32 v71, v71
	v_bfe_i32 v31, v31, 0, 16
	v_cvt_f32_i32_e32 v57, v57
	v_cvt_f32_i32_e32 v61, v61
	;; [unrolled: 1-line block ×3, first 2 shown]
	v_bfe_i32 v70, v70, 0, 8
	v_bfe_i32 v28, v28, 0, 8
	;; [unrolled: 1-line block ×10, first 2 shown]
	v_cvt_f32_i32_e32 v64, v64
	v_cvt_f32_i32_e32 v26, v26
	;; [unrolled: 1-line block ×3, first 2 shown]
	v_bfe_i32 v66, v66, 0, 8
	v_cvt_f32_i32_e32 v62, v62
	v_bfe_i32 v70, v70, 0, 16
	v_bfe_i32 v28, v28, 0, 16
	;; [unrolled: 1-line block ×4, first 2 shown]
	v_cvt_f32_i32_e32 v77, v77
	v_bfe_i32 v78, v78, 0, 16
	v_cvt_f32_i32_e32 v63, v63
	v_cvt_f32_i32_e32 v67, v67
	;; [unrolled: 1-line block ×3, first 2 shown]
	v_bfe_i32 v69, v69, 0, 8
	v_bfe_i32 v65, v65, 0, 16
	;; [unrolled: 1-line block ×3, first 2 shown]
	v_cvt_f32_i32_e32 v70, v70
	v_cvt_f32_i32_e32 v28, v28
	;; [unrolled: 1-line block ×5, first 2 shown]
	v_bfe_i32 v74, v30, 0, 8
	v_lshrrev_b32_e32 v75, 8, v30
	v_lshrrev_b32_e32 v76, 16, v30
	;; [unrolled: 1-line block ×3, first 2 shown]
	v_bfe_i32 v68, v68, 0, 16
	v_cvt_f32_i32_e32 v65, v65
	v_bfe_i32 v69, v69, 0, 16
	v_cvt_f32_i32_e32 v66, v66
	v_bfe_i32 v75, v75, 0, 8
	v_bfe_i32 v76, v76, 0, 8
	;; [unrolled: 1-line block ×3, first 2 shown]
	v_cvt_f32_i32_e32 v68, v68
	v_cvt_f32_i32_e32 v69, v69
	v_bfe_i32 v80, v32, 0, 8
	v_lshrrev_b32_e32 v81, 8, v32
	v_lshrrev_b32_e32 v82, 16, v32
	;; [unrolled: 1-line block ×3, first 2 shown]
	v_bfe_i32 v74, v74, 0, 16
	v_bfe_i32 v75, v75, 0, 16
	;; [unrolled: 1-line block ×7, first 2 shown]
	v_cvt_f32_i32_e32 v74, v74
	v_cvt_f32_i32_e32 v75, v75
	;; [unrolled: 1-line block ×4, first 2 shown]
	v_bfe_i32 v80, v80, 0, 16
	v_bfe_i32 v81, v81, 0, 16
	;; [unrolled: 1-line block ×4, first 2 shown]
	v_cmp_ge_i64_e32 vcc_lo, v[0:1], v[5:6]
	v_cvt_f32_i32_e32 v80, v80
	v_cvt_f32_i32_e32 v81, v81
	;; [unrolled: 1-line block ×4, first 2 shown]
	s_or_b32 s7, vcc_lo, s7
	s_waitcnt vmcnt(3)
	v_bfe_i32 v84, v19, 0, 8
	v_lshrrev_b32_e32 v85, 8, v19
	v_lshrrev_b32_e32 v83, 16, v19
	;; [unrolled: 1-line block ×3, first 2 shown]
	s_waitcnt vmcnt(2)
	v_bfe_i32 v87, v11, 0, 8
	v_bfe_i32 v84, v84, 0, 16
	v_bfe_i32 v85, v85, 0, 8
	v_bfe_i32 v83, v83, 0, 8
	v_bfe_i32 v19, v19, 0, 8
	v_lshrrev_b32_e32 v88, 8, v11
	v_cvt_f32_i32_e32 v84, v84
	v_bfe_i32 v85, v85, 0, 16
	v_bfe_i32 v83, v83, 0, 16
	v_bfe_i32 v19, v19, 0, 16
	v_lshrrev_b32_e32 v86, 16, v11
	v_fmac_f32_e32 v23, v41, v84
	v_fmac_f32_e32 v22, v39, v84
	v_cvt_f32_i32_e32 v39, v85
	v_fmac_f32_e32 v21, v42, v84
	v_fmac_f32_e32 v24, v40, v84
	v_cvt_f32_i32_e32 v40, v83
	v_bfe_i32 v88, v88, 0, 8
	v_fmac_f32_e32 v23, v45, v39
	v_fmac_f32_e32 v21, v46, v39
	;; [unrolled: 1-line block ×3, first 2 shown]
	v_bfe_i32 v87, v87, 0, 16
	v_cvt_f32_i32_e32 v19, v19
	v_fmac_f32_e32 v23, v49, v40
	v_lshrrev_b32_e32 v11, 24, v11
	v_fmac_f32_e32 v22, v47, v40
	v_bfe_i32 v86, v86, 0, 8
	v_cvt_f32_i32_e32 v87, v87
	v_fmac_f32_e32 v23, v52, v19
	v_bfe_i32 v88, v88, 0, 16
	v_dual_fmac_f32 v24, v44, v39 :: v_dual_fmac_f32 v21, v13, v40
	v_fmac_f32_e32 v22, v50, v19
	v_bfe_i32 v11, v11, 0, 8
	v_bfe_i32 v86, v86, 0, 16
	s_delay_alu instid0(VALU_DEP_4)
	v_dual_fmac_f32 v24, v48, v40 :: v_dual_fmac_f32 v21, v14, v19
	v_cvt_f32_i32_e32 v14, v88
	v_fmac_f32_e32 v23, v35, v87
	v_fmac_f32_e32 v22, v33, v87
	s_waitcnt vmcnt(1)
	v_bfe_i32 v90, v12, 0, 8
	v_bfe_i32 v11, v11, 0, 16
	v_dual_fmac_f32 v24, v51, v19 :: v_dual_fmac_f32 v23, v38, v14
	v_fmac_f32_e32 v21, v15, v87
	v_cvt_f32_i32_e32 v15, v86
	v_fmac_f32_e32 v22, v36, v14
	v_lshrrev_b32_e32 v91, 8, v12
	s_waitcnt vmcnt(0)
	v_bfe_i32 v93, v20, 0, 8
	v_bfe_i32 v90, v90, 0, 16
	v_dual_fmac_f32 v24, v34, v87 :: v_dual_fmac_f32 v21, v16, v14
	v_cvt_f32_i32_e32 v11, v11
	v_fmac_f32_e32 v22, v53, v15
	v_lshrrev_b32_e32 v89, 16, v12
	v_bfe_i32 v91, v91, 0, 8
	v_bfe_i32 v93, v93, 0, 16
	v_cvt_f32_i32_e32 v90, v90
	v_dual_fmac_f32 v24, v37, v14 :: v_dual_fmac_f32 v23, v55, v15
	v_fmac_f32_e32 v22, v56, v11
	v_fmac_f32_e32 v21, v17, v15
	v_lshrrev_b32_e32 v12, 24, v12
	v_bfe_i32 v89, v89, 0, 8
	v_bfe_i32 v91, v91, 0, 16
	v_fmac_f32_e32 v22, v59, v90
	v_cvt_f32_i32_e32 v93, v93
	v_fmac_f32_e32 v23, v58, v11
	v_fmac_f32_e32 v24, v54, v15
	;; [unrolled: 1-line block ×3, first 2 shown]
	v_bfe_i32 v12, v12, 0, 8
	v_bfe_i32 v89, v89, 0, 16
	v_fmac_f32_e32 v23, v61, v90
	v_fmac_f32_e32 v24, v57, v11
	v_cvt_f32_i32_e32 v11, v91
	v_fmac_f32_e32 v21, v25, v90
	v_bfe_i32 v12, v12, 0, 16
	v_cvt_f32_i32_e32 v15, v89
	v_fmac_f32_e32 v24, v60, v90
	v_fmac_f32_e32 v23, v64, v11
	;; [unrolled: 1-line block ×4, first 2 shown]
	v_lshrrev_b32_e32 v94, 8, v20
	v_fmac_f32_e32 v24, v63, v11
	v_cvt_f32_i32_e32 v11, v12
	v_fmac_f32_e32 v23, v67, v15
	v_fmac_f32_e32 v21, v27, v15
	v_lshrrev_b32_e32 v92, 16, v20
	v_bfe_i32 v94, v94, 0, 8
	v_lshrrev_b32_e32 v20, 24, v20
	v_fmac_f32_e32 v23, v70, v11
	v_fmac_f32_e32 v21, v28, v11
	v_bfe_i32 v92, v92, 0, 8
	v_bfe_i32 v13, v94, 0, 16
	;; [unrolled: 1-line block ×3, first 2 shown]
	v_fmac_f32_e32 v23, v73, v93
	v_fmac_f32_e32 v22, v65, v15
	v_dual_fmac_f32 v21, v29, v93 :: v_dual_fmac_f32 v24, v66, v15
	v_bfe_i32 v14, v92, 0, 16
	v_bfe_i32 v12, v20, 0, 16
	s_delay_alu instid0(VALU_DEP_4) | instskip(NEXT) | instid1(VALU_DEP_4)
	v_fmac_f32_e32 v22, v68, v11
	v_fmac_f32_e32 v24, v69, v11
	v_cvt_f32_i32_e32 v11, v13
	v_cvt_f32_i32_e32 v13, v14
	s_delay_alu instid0(VALU_DEP_4) | instskip(NEXT) | instid1(VALU_DEP_4)
	v_fmac_f32_e32 v22, v71, v93
	v_fmac_f32_e32 v24, v72, v93
	s_delay_alu instid0(VALU_DEP_4) | instskip(SKIP_1) | instid1(VALU_DEP_4)
	v_fmac_f32_e32 v23, v76, v11
	v_fmac_f32_e32 v21, v30, v11
	;; [unrolled: 1-line block ×3, first 2 shown]
	s_delay_alu instid0(VALU_DEP_4) | instskip(SKIP_2) | instid1(VALU_DEP_4)
	v_fmac_f32_e32 v24, v75, v11
	v_cvt_f32_i32_e32 v11, v12
	v_fmac_f32_e32 v23, v79, v13
	v_fmac_f32_e32 v22, v77, v13
	;; [unrolled: 1-line block ×4, first 2 shown]
	s_delay_alu instid0(VALU_DEP_4) | instskip(NEXT) | instid1(VALU_DEP_4)
	v_fmac_f32_e32 v23, v82, v11
	v_fmac_f32_e32 v22, v80, v11
	s_delay_alu instid0(VALU_DEP_4) | instskip(NEXT) | instid1(VALU_DEP_4)
	v_fmac_f32_e32 v21, v32, v11
	v_fmac_f32_e32 v24, v81, v11
	s_and_not1_b32 exec_lo, exec_lo, s7
	s_cbranch_execnz .LBB88_35
; %bb.36:
	s_or_b32 exec_lo, exec_lo, s7
.LBB88_37:
	s_delay_alu instid0(SALU_CYCLE_1)
	s_or_b32 exec_lo, exec_lo, s2
.LBB88_38:
	s_delay_alu instid0(SALU_CYCLE_1)
	s_or_b32 exec_lo, exec_lo, s6
.LBB88_39:
	v_mbcnt_lo_u32_b32 v0, -1, 0
	s_mov_b32 s2, -1
	s_delay_alu instid0(VALU_DEP_1) | instskip(SKIP_2) | instid1(VALU_DEP_3)
	v_xor_b32_e32 v1, 16, v0
	v_xor_b32_e32 v8, 8, v0
	;; [unrolled: 1-line block ×3, first 2 shown]
	v_cmp_gt_i32_e32 vcc_lo, 32, v1
	v_cndmask_b32_e32 v1, v0, v1, vcc_lo
	s_delay_alu instid0(VALU_DEP_4) | instskip(SKIP_2) | instid1(VALU_DEP_2)
	v_cmp_gt_i32_e32 vcc_lo, 32, v8
	v_cndmask_b32_e32 v8, v0, v8, vcc_lo
	v_cmp_gt_i32_e32 vcc_lo, 32, v12
	v_lshlrev_b32_e32 v8, 2, v8
	v_dual_cndmask_b32 v12, v0, v12 :: v_dual_lshlrev_b32 v1, 2, v1
	ds_bpermute_b32 v6, v1, v24
	v_lshlrev_b32_e32 v12, 2, v12
	s_waitcnt lgkmcnt(0)
	v_add_f32_e32 v6, v24, v6
	ds_bpermute_b32 v5, v1, v22
	ds_bpermute_b32 v7, v1, v23
	;; [unrolled: 1-line block ×4, first 2 shown]
	s_waitcnt lgkmcnt(3)
	v_add_f32_e32 v5, v22, v5
	s_waitcnt lgkmcnt(2)
	v_add_f32_e32 v7, v23, v7
	s_waitcnt lgkmcnt(0)
	v_dual_add_f32 v1, v21, v1 :: v_dual_add_f32 v6, v6, v10
	ds_bpermute_b32 v9, v8, v5
	ds_bpermute_b32 v11, v8, v7
	ds_bpermute_b32 v8, v8, v1
	s_waitcnt lgkmcnt(2)
	v_add_f32_e32 v5, v5, v9
	s_waitcnt lgkmcnt(1)
	v_add_f32_e32 v7, v7, v11
	ds_bpermute_b32 v9, v12, v6
	s_waitcnt lgkmcnt(1)
	v_add_f32_e32 v1, v1, v8
	ds_bpermute_b32 v8, v12, v5
	ds_bpermute_b32 v10, v12, v7
	s_waitcnt lgkmcnt(2)
	v_add_f32_e32 v6, v6, v9
	ds_bpermute_b32 v11, v12, v1
	v_xor_b32_e32 v12, 2, v0
	s_waitcnt lgkmcnt(2)
	v_add_f32_e32 v5, v5, v8
	s_delay_alu instid0(VALU_DEP_2) | instskip(SKIP_2) | instid1(VALU_DEP_1)
	v_cmp_gt_i32_e32 vcc_lo, 32, v12
	s_waitcnt lgkmcnt(1)
	v_dual_cndmask_b32 v12, v0, v12 :: v_dual_add_f32 v7, v7, v10
	v_lshlrev_b32_e32 v12, 2, v12
	ds_bpermute_b32 v9, v12, v6
	s_waitcnt lgkmcnt(1)
	v_add_f32_e32 v8, v1, v11
	ds_bpermute_b32 v1, v12, v5
	ds_bpermute_b32 v10, v12, v7
	;; [unrolled: 1-line block ×3, first 2 shown]
	v_xor_b32_e32 v12, 1, v0
	s_delay_alu instid0(VALU_DEP_1) | instskip(SKIP_2) | instid1(VALU_DEP_2)
	v_cmp_gt_i32_e32 vcc_lo, 32, v12
	v_cndmask_b32_e32 v0, v0, v12, vcc_lo
	v_cmp_eq_u32_e32 vcc_lo, 31, v2
	v_lshlrev_b32_e32 v12, 2, v0
	s_waitcnt lgkmcnt(1)
	v_dual_add_f32 v0, v5, v1 :: v_dual_add_f32 v5, v7, v10
	s_waitcnt lgkmcnt(0)
	v_dual_add_f32 v1, v6, v9 :: v_dual_add_f32 v6, v8, v11
	ds_bpermute_b32 v7, v12, v0
	ds_bpermute_b32 v9, v12, v5
	;; [unrolled: 1-line block ×4, first 2 shown]
	s_and_b32 exec_lo, exec_lo, vcc_lo
	s_cbranch_execz .LBB88_10
; %bb.40:
	s_load_b64 s[0:1], s[0:1], 0x58
	s_waitcnt lgkmcnt(0)
	v_dual_add_f32 v0, v0, v7 :: v_dual_add_f32 v1, v1, v8
	v_add_f32_e32 v6, v6, v10
	v_cmp_eq_f32_e64 s3, s12, 0
	s_delay_alu instid0(VALU_DEP_3) | instskip(SKIP_4) | instid1(VALU_DEP_3)
	v_dual_mul_f32 v0, s16, v0 :: v_dual_mul_f32 v1, s16, v1
	v_add_f32_e32 v2, v5, v9
	v_lshlrev_b64 v[4:5], 4, v[3:4]
	v_mul_f32_e32 v3, s16, v6
	s_and_b32 vcc_lo, exec_lo, s3
	v_mul_f32_e32 v2, s16, v2
	s_cbranch_vccz .LBB88_42
; %bb.41:
	s_delay_alu instid0(VALU_DEP_3)
	v_add_co_u32 v6, vcc_lo, s0, v4
	v_add_co_ci_u32_e32 v7, vcc_lo, s1, v5, vcc_lo
	s_mov_b32 s2, 0
	global_store_b128 v[6:7], v[0:3], off
.LBB88_42:
	s_and_not1_b32 vcc_lo, exec_lo, s2
	s_cbranch_vccnz .LBB88_10
; %bb.43:
	v_add_co_u32 v8, vcc_lo, s0, v4
	v_add_co_ci_u32_e32 v9, vcc_lo, s1, v5, vcc_lo
	global_load_b128 v[4:7], v[8:9], off
	s_waitcnt vmcnt(0)
	v_dual_fmac_f32 v0, s12, v4 :: v_dual_fmac_f32 v1, s12, v5
	v_dual_fmac_f32 v2, s12, v6 :: v_dual_fmac_f32 v3, s12, v7
	global_store_b128 v[8:9], v[0:3], off
	s_nop 0
	s_sendmsg sendmsg(MSG_DEALLOC_VGPRS)
	s_endpgm
	.section	.rodata,"a",@progbits
	.p2align	6, 0x0
	.amdhsa_kernel _ZN9rocsparseL18bsrxmvn_4x4_kernelILj128ELj32EfllaafEEvT3_20rocsparse_direction_NS_24const_host_device_scalarIT1_EES1_PKS1_PKT2_SA_S7_PKT4_PKT5_S5_PT6_21rocsparse_index_base_b
		.amdhsa_group_segment_fixed_size 0
		.amdhsa_private_segment_fixed_size 0
		.amdhsa_kernarg_size 104
		.amdhsa_user_sgpr_count 15
		.amdhsa_user_sgpr_dispatch_ptr 0
		.amdhsa_user_sgpr_queue_ptr 0
		.amdhsa_user_sgpr_kernarg_segment_ptr 1
		.amdhsa_user_sgpr_dispatch_id 0
		.amdhsa_user_sgpr_private_segment_size 0
		.amdhsa_wavefront_size32 1
		.amdhsa_uses_dynamic_stack 0
		.amdhsa_enable_private_segment 0
		.amdhsa_system_sgpr_workgroup_id_x 1
		.amdhsa_system_sgpr_workgroup_id_y 0
		.amdhsa_system_sgpr_workgroup_id_z 0
		.amdhsa_system_sgpr_workgroup_info 0
		.amdhsa_system_vgpr_workitem_id 0
		.amdhsa_next_free_vgpr 101
		.amdhsa_next_free_sgpr 22
		.amdhsa_reserve_vcc 1
		.amdhsa_float_round_mode_32 0
		.amdhsa_float_round_mode_16_64 0
		.amdhsa_float_denorm_mode_32 3
		.amdhsa_float_denorm_mode_16_64 3
		.amdhsa_dx10_clamp 1
		.amdhsa_ieee_mode 1
		.amdhsa_fp16_overflow 0
		.amdhsa_workgroup_processor_mode 1
		.amdhsa_memory_ordered 1
		.amdhsa_forward_progress 0
		.amdhsa_shared_vgpr_count 0
		.amdhsa_exception_fp_ieee_invalid_op 0
		.amdhsa_exception_fp_denorm_src 0
		.amdhsa_exception_fp_ieee_div_zero 0
		.amdhsa_exception_fp_ieee_overflow 0
		.amdhsa_exception_fp_ieee_underflow 0
		.amdhsa_exception_fp_ieee_inexact 0
		.amdhsa_exception_int_div_zero 0
	.end_amdhsa_kernel
	.section	.text._ZN9rocsparseL18bsrxmvn_4x4_kernelILj128ELj32EfllaafEEvT3_20rocsparse_direction_NS_24const_host_device_scalarIT1_EES1_PKS1_PKT2_SA_S7_PKT4_PKT5_S5_PT6_21rocsparse_index_base_b,"axG",@progbits,_ZN9rocsparseL18bsrxmvn_4x4_kernelILj128ELj32EfllaafEEvT3_20rocsparse_direction_NS_24const_host_device_scalarIT1_EES1_PKS1_PKT2_SA_S7_PKT4_PKT5_S5_PT6_21rocsparse_index_base_b,comdat
.Lfunc_end88:
	.size	_ZN9rocsparseL18bsrxmvn_4x4_kernelILj128ELj32EfllaafEEvT3_20rocsparse_direction_NS_24const_host_device_scalarIT1_EES1_PKS1_PKT2_SA_S7_PKT4_PKT5_S5_PT6_21rocsparse_index_base_b, .Lfunc_end88-_ZN9rocsparseL18bsrxmvn_4x4_kernelILj128ELj32EfllaafEEvT3_20rocsparse_direction_NS_24const_host_device_scalarIT1_EES1_PKS1_PKT2_SA_S7_PKT4_PKT5_S5_PT6_21rocsparse_index_base_b
                                        ; -- End function
	.section	.AMDGPU.csdata,"",@progbits
; Kernel info:
; codeLenInByte = 8196
; NumSgprs: 24
; NumVgprs: 101
; ScratchSize: 0
; MemoryBound: 0
; FloatMode: 240
; IeeeMode: 1
; LDSByteSize: 0 bytes/workgroup (compile time only)
; SGPRBlocks: 2
; VGPRBlocks: 12
; NumSGPRsForWavesPerEU: 24
; NumVGPRsForWavesPerEU: 101
; Occupancy: 12
; WaveLimiterHint : 1
; COMPUTE_PGM_RSRC2:SCRATCH_EN: 0
; COMPUTE_PGM_RSRC2:USER_SGPR: 15
; COMPUTE_PGM_RSRC2:TRAP_HANDLER: 0
; COMPUTE_PGM_RSRC2:TGID_X_EN: 1
; COMPUTE_PGM_RSRC2:TGID_Y_EN: 0
; COMPUTE_PGM_RSRC2:TGID_Z_EN: 0
; COMPUTE_PGM_RSRC2:TIDIG_COMP_CNT: 0
	.section	.text._ZN9rocsparseL18bsrxmvn_4x4_kernelILj128ELj64EfllaafEEvT3_20rocsparse_direction_NS_24const_host_device_scalarIT1_EES1_PKS1_PKT2_SA_S7_PKT4_PKT5_S5_PT6_21rocsparse_index_base_b,"axG",@progbits,_ZN9rocsparseL18bsrxmvn_4x4_kernelILj128ELj64EfllaafEEvT3_20rocsparse_direction_NS_24const_host_device_scalarIT1_EES1_PKS1_PKT2_SA_S7_PKT4_PKT5_S5_PT6_21rocsparse_index_base_b,comdat
	.globl	_ZN9rocsparseL18bsrxmvn_4x4_kernelILj128ELj64EfllaafEEvT3_20rocsparse_direction_NS_24const_host_device_scalarIT1_EES1_PKS1_PKT2_SA_S7_PKT4_PKT5_S5_PT6_21rocsparse_index_base_b ; -- Begin function _ZN9rocsparseL18bsrxmvn_4x4_kernelILj128ELj64EfllaafEEvT3_20rocsparse_direction_NS_24const_host_device_scalarIT1_EES1_PKS1_PKT2_SA_S7_PKT4_PKT5_S5_PT6_21rocsparse_index_base_b
	.p2align	8
	.type	_ZN9rocsparseL18bsrxmvn_4x4_kernelILj128ELj64EfllaafEEvT3_20rocsparse_direction_NS_24const_host_device_scalarIT1_EES1_PKS1_PKT2_SA_S7_PKT4_PKT5_S5_PT6_21rocsparse_index_base_b,@function
_ZN9rocsparseL18bsrxmvn_4x4_kernelILj128ELj64EfllaafEEvT3_20rocsparse_direction_NS_24const_host_device_scalarIT1_EES1_PKS1_PKT2_SA_S7_PKT4_PKT5_S5_PT6_21rocsparse_index_base_b: ; @_ZN9rocsparseL18bsrxmvn_4x4_kernelILj128ELj64EfllaafEEvT3_20rocsparse_direction_NS_24const_host_device_scalarIT1_EES1_PKS1_PKT2_SA_S7_PKT4_PKT5_S5_PT6_21rocsparse_index_base_b
; %bb.0:
	s_clause 0x2
	s_load_b64 s[20:21], s[0:1], 0x60
	s_load_b128 s[16:19], s[0:1], 0x10
	s_load_b64 s[12:13], s[0:1], 0x50
	s_waitcnt lgkmcnt(0)
	s_bitcmp1_b32 s21, 0
	s_cselect_b32 s2, -1, 0
	s_delay_alu instid0(SALU_CYCLE_1)
	s_and_b32 vcc_lo, exec_lo, s2
	s_xor_b32 s2, s2, -1
	s_cbranch_vccnz .LBB89_2
; %bb.1:
	s_load_b32 s16, s[16:17], 0x0
.LBB89_2:
	s_and_not1_b32 vcc_lo, exec_lo, s2
	s_cbranch_vccnz .LBB89_4
; %bb.3:
	s_load_b32 s12, s[12:13], 0x0
.LBB89_4:
	s_waitcnt lgkmcnt(0)
	v_cmp_neq_f32_e64 s2, s16, 0
	v_cmp_neq_f32_e64 s3, s12, 1.0
	s_mov_b32 s6, 0
	s_delay_alu instid0(VALU_DEP_1) | instskip(NEXT) | instid1(SALU_CYCLE_1)
	s_or_b32 s2, s2, s3
	s_and_not1_b32 vcc_lo, exec_lo, s2
	s_cbranch_vccnz .LBB89_10
; %bb.5:
	s_load_b64 s[4:5], s[0:1], 0x20
	v_lshrrev_b32_e32 v1, 6, v0
	v_mov_b32_e32 v2, 0
	s_delay_alu instid0(VALU_DEP_2)
	v_lshl_or_b32 v1, s15, 1, v1
	s_waitcnt lgkmcnt(0)
	s_cmp_lg_u64 s[4:5], 0
	s_cbranch_scc0 .LBB89_11
; %bb.6:
	s_mov_b32 s7, 0
                                        ; implicit-def: $vgpr3_vgpr4
	s_mov_b32 s2, exec_lo
	v_cmpx_gt_i64_e64 s[18:19], v[1:2]
	s_xor_b32 s8, exec_lo, s2
                                        ; implicit-def: $sgpr2_sgpr3
	s_cbranch_execz .LBB89_8
; %bb.7:
	v_lshlrev_b64 v[3:4], 3, v[1:2]
	s_mov_b32 s6, exec_lo
	s_mov_b32 s3, 0
	s_delay_alu instid0(VALU_DEP_1) | instskip(NEXT) | instid1(VALU_DEP_2)
	v_add_co_u32 v3, vcc_lo, s4, v3
	v_add_co_ci_u32_e32 v4, vcc_lo, s5, v4, vcc_lo
	global_load_b64 v[3:4], v[3:4], off
	s_waitcnt vmcnt(0)
	v_sub_co_u32 v3, vcc_lo, v3, s20
	v_subrev_co_ci_u32_e32 v4, vcc_lo, 0, v4, vcc_lo
.LBB89_8:
	s_or_b32 exec_lo, exec_lo, s8
	s_delay_alu instid0(SALU_CYCLE_1)
	s_and_b32 vcc_lo, exec_lo, s7
	s_cbranch_vccnz .LBB89_12
.LBB89_9:
	s_and_saveexec_b32 s2, s6
	s_cbranch_execnz .LBB89_15
.LBB89_10:
	s_nop 0
	s_sendmsg sendmsg(MSG_DEALLOC_VGPRS)
	s_endpgm
.LBB89_11:
                                        ; implicit-def: $vgpr3_vgpr4
                                        ; implicit-def: $sgpr2_sgpr3
	s_cbranch_execz .LBB89_9
.LBB89_12:
	s_load_b64 s[2:3], s[0:1], 0x0
	s_mov_b32 s4, exec_lo
                                        ; implicit-def: $vgpr3_vgpr4
	s_waitcnt lgkmcnt(0)
	v_cmpx_gt_i64_e64 s[2:3], v[1:2]
                                        ; implicit-def: $sgpr2_sgpr3
; %bb.13:
	v_dual_mov_b32 v4, v2 :: v_dual_mov_b32 v3, v1
	s_mov_b32 s3, 0
	s_or_b32 s6, s6, exec_lo
; %bb.14:
	s_or_b32 exec_lo, exec_lo, s4
	s_and_saveexec_b32 s2, s6
	s_cbranch_execz .LBB89_10
.LBB89_15:
	s_load_b256 s[4:11], s[0:1], 0x28
	v_lshlrev_b64 v[1:2], 3, v[3:4]
	v_mov_b32_e32 v21, 0
	s_waitcnt lgkmcnt(0)
	s_delay_alu instid0(VALU_DEP_2) | instskip(NEXT) | instid1(VALU_DEP_3)
	v_add_co_u32 v5, vcc_lo, s4, v1
	v_add_co_ci_u32_e32 v6, vcc_lo, s5, v2, vcc_lo
	v_add_co_u32 v1, vcc_lo, s6, v1
	v_add_co_ci_u32_e32 v2, vcc_lo, s7, v2, vcc_lo
	s_delay_alu instid0(VALU_DEP_4)
	v_add_co_u32 v7, vcc_lo, v5, 8
	global_load_b64 v[9:10], v[5:6], off
	v_add_co_ci_u32_e32 v8, vcc_lo, 0, v6, vcc_lo
	s_cmp_eq_u64 s[6:7], 0
	s_clause 0x1
	s_load_b32 s6, s[0:1], 0x8
	s_load_b64 s[4:5], s[0:1], 0x48
	s_cselect_b32 vcc_lo, -1, 0
	v_dual_cndmask_b32 v2, v2, v8 :: v_dual_cndmask_b32 v1, v1, v7
	global_load_b64 v[5:6], v[1:2], off
	v_and_b32_e32 v2, 63, v0
	s_waitcnt lgkmcnt(0)
	s_cmp_eq_u32 s6, 1
	s_waitcnt vmcnt(1)
	v_sub_co_u32 v0, vcc_lo, v9, s20
	v_subrev_co_ci_u32_e32 v1, vcc_lo, s3, v10, vcc_lo
	s_delay_alu instid0(VALU_DEP_2) | instskip(NEXT) | instid1(VALU_DEP_2)
	v_add_co_u32 v0, vcc_lo, v0, v2
	v_add_co_ci_u32_e32 v1, vcc_lo, 0, v1, vcc_lo
	s_delay_alu instid0(VALU_DEP_1) | instskip(SKIP_3) | instid1(VALU_DEP_3)
	v_lshlrev_b64 v[7:8], 4, v[0:1]
	s_waitcnt vmcnt(0)
	v_sub_co_u32 v5, vcc_lo, v5, s20
	v_subrev_co_ci_u32_e32 v6, vcc_lo, s3, v6, vcc_lo
	v_add_co_u32 v7, vcc_lo, s10, v7
	s_delay_alu instid0(VALU_DEP_4) | instskip(NEXT) | instid1(VALU_DEP_3)
	v_add_co_ci_u32_e32 v8, vcc_lo, s11, v8, vcc_lo
	v_cmp_lt_i64_e64 s2, v[0:1], v[5:6]
	s_cbranch_scc1 .LBB89_27
; %bb.16:
	v_dual_mov_b32 v23, 0 :: v_dual_mov_b32 v24, 0
	v_mov_b32_e32 v22, 0
	s_mov_b32 s6, 0
	s_delay_alu instid0(VALU_DEP_3)
	s_and_saveexec_b32 s7, s2
	s_cbranch_execz .LBB89_26
; %bb.17:
	v_or_b32_e32 v11, 64, v2
	v_not_b32_e32 v14, v9
	v_not_b32_e32 v13, v10
	v_mov_b32_e32 v23, 0
	v_mov_b32_e32 v21, 0
	v_sub_co_u32 v11, s10, v11, s20
	s_delay_alu instid0(VALU_DEP_1) | instskip(SKIP_1) | instid1(VALU_DEP_3)
	v_sub_co_ci_u32_e64 v12, null, 0, s3, s10
	v_sub_co_u32 v15, s10, s20, v2
	v_add_co_u32 v11, vcc_lo, v11, v9
	s_delay_alu instid0(VALU_DEP_3) | instskip(SKIP_2) | instid1(VALU_DEP_2)
	v_add_co_ci_u32_e32 v12, vcc_lo, v12, v10, vcc_lo
	v_sub_co_ci_u32_e64 v16, null, s3, 0, s10
	s_mov_b32 s10, exec_lo
	v_cmp_gt_i64_e32 vcc_lo, v[11:12], v[5:6]
	v_mov_b32_e32 v22, 0
	v_mov_b32_e32 v24, 0
	v_dual_cndmask_b32 v12, v6, v12 :: v_dual_cndmask_b32 v11, v5, v11
	v_add_co_u32 v14, vcc_lo, v15, v14
	v_add_co_ci_u32_e32 v13, vcc_lo, v16, v13, vcc_lo
	s_delay_alu instid0(VALU_DEP_2) | instskip(NEXT) | instid1(VALU_DEP_2)
	v_add_co_u32 v15, vcc_lo, v14, v11
	v_add_co_ci_u32_e32 v16, vcc_lo, v13, v12, vcc_lo
	v_mov_b32_e32 v14, v8
	s_delay_alu instid0(VALU_DEP_3) | instskip(SKIP_1) | instid1(VALU_DEP_2)
	v_lshrrev_b32_e32 v11, 6, v15
	v_mov_b32_e32 v13, v7
	v_add_nc_u32_e32 v11, 1, v11
	s_delay_alu instid0(VALU_DEP_1) | instskip(SKIP_1) | instid1(VALU_DEP_2)
	v_dual_mov_b32 v12, v1 :: v_dual_and_b32 v17, 3, v11
	v_mov_b32_e32 v11, v0
	v_cmpx_ne_u32_e32 0, v17
	s_cbranch_execz .LBB89_21
; %bb.18:
	v_lshlrev_b64 v[11:12], 3, v[0:1]
	v_dual_mov_b32 v18, 0 :: v_dual_lshlrev_b32 v17, 1, v17
	v_dual_mov_b32 v14, v8 :: v_dual_mov_b32 v13, v7
	s_mov_b32 s11, 0
	s_delay_alu instid0(VALU_DEP_3) | instskip(NEXT) | instid1(VALU_DEP_4)
	v_add_co_u32 v19, vcc_lo, s8, v11
	v_add_co_ci_u32_e32 v20, vcc_lo, s9, v12, vcc_lo
	v_dual_mov_b32 v12, v1 :: v_dual_mov_b32 v11, v0
	v_mov_b32_e32 v21, v18
	v_mov_b32_e32 v23, v18
	;; [unrolled: 1-line block ×4, first 2 shown]
.LBB89_19:                              ; =>This Inner Loop Header: Depth=1
	global_load_b64 v[29:30], v[19:20], off
	global_load_b128 v[25:28], v[13:14], off
	s_waitcnt vmcnt(1)
	v_sub_co_u32 v29, vcc_lo, v29, s20
	v_subrev_co_ci_u32_e32 v30, vcc_lo, s3, v30, vcc_lo
	s_waitcnt vmcnt(0)
	v_lshrrev_b32_e32 v32, 16, v25
	v_bfe_i32 v33, v26, 0, 8
	v_lshrrev_b32_e32 v35, 16, v26
	v_lshlrev_b64 v[29:30], 2, v[29:30]
	v_bfe_i32 v36, v27, 0, 8
	v_lshrrev_b32_e32 v37, 8, v27
	v_lshrrev_b32_e32 v38, 16, v27
	v_bfe_i32 v39, v28, 0, 8
	v_lshrrev_b32_e32 v40, 8, v28
	v_add_co_u32 v29, vcc_lo, s4, v29
	v_add_co_ci_u32_e32 v30, vcc_lo, s5, v30, vcc_lo
	v_lshrrev_b32_e32 v41, 16, v28
	v_lshrrev_b32_e32 v31, 8, v25
	;; [unrolled: 1-line block ×3, first 2 shown]
	global_load_b32 v29, v[29:30], off
	v_bfe_i32 v30, v25, 0, 8
	v_lshrrev_b32_e32 v25, 24, v25
	v_lshrrev_b32_e32 v26, 24, v26
	v_bfe_i32 v32, v32, 0, 8
	v_bfe_i32 v35, v35, 0, 8
	;; [unrolled: 1-line block ×10, first 2 shown]
	v_lshrrev_b32_e32 v27, 24, v27
	v_lshrrev_b32_e32 v28, 24, v28
	v_bfe_i32 v31, v31, 0, 8
	v_bfe_i32 v25, v25, 0, 8
	v_bfe_i32 v34, v34, 0, 8
	v_bfe_i32 v26, v26, 0, 8
	v_cvt_f32_i32_e32 v30, v30
	v_bfe_i32 v32, v32, 0, 16
	v_cvt_f32_i32_e32 v33, v33
	v_bfe_i32 v35, v35, 0, 16
	;; [unrolled: 2-line block ×3, first 2 shown]
	v_bfe_i32 v38, v38, 0, 16
	v_cvt_f32_i32_e32 v39, v39
	v_bfe_i32 v40, v40, 0, 16
	v_bfe_i32 v41, v41, 0, 16
	;; [unrolled: 1-line block ×8, first 2 shown]
	v_cvt_f32_i32_e32 v32, v32
	v_cvt_f32_i32_e32 v35, v35
	;; [unrolled: 1-line block ×6, first 2 shown]
	v_add_co_u32 v13, vcc_lo, 0x400, v13
	v_add_co_ci_u32_e32 v14, vcc_lo, 0, v14, vcc_lo
	v_add_co_u32 v11, vcc_lo, v11, 64
	v_bfe_i32 v27, v27, 0, 16
	v_bfe_i32 v28, v28, 0, 16
	v_cvt_f32_i32_e32 v31, v31
	v_cvt_f32_i32_e32 v25, v25
	;; [unrolled: 1-line block ×4, first 2 shown]
	v_add_co_ci_u32_e32 v12, vcc_lo, 0, v12, vcc_lo
	v_add_co_u32 v19, vcc_lo, 0x200, v19
	v_add_co_ci_u32_e32 v20, vcc_lo, 0, v20, vcc_lo
	v_add_co_u32 v17, vcc_lo, v17, -2
	v_cvt_f32_i32_e32 v27, v27
	v_cvt_f32_i32_e32 v28, v28
	v_add_co_ci_u32_e32 v18, vcc_lo, -1, v18, vcc_lo
	s_delay_alu instid0(VALU_DEP_1)
	v_cmp_eq_u64_e32 vcc_lo, 0, v[17:18]
	s_or_b32 s11, vcc_lo, s11
	s_waitcnt vmcnt(0)
	v_bfe_i32 v42, v29, 0, 8
	v_lshrrev_b32_e32 v43, 8, v29
	v_lshrrev_b32_e32 v44, 16, v29
	;; [unrolled: 1-line block ×3, first 2 shown]
	s_delay_alu instid0(VALU_DEP_4) | instskip(NEXT) | instid1(VALU_DEP_4)
	v_bfe_i32 v42, v42, 0, 16
	v_bfe_i32 v43, v43, 0, 8
	s_delay_alu instid0(VALU_DEP_4) | instskip(NEXT) | instid1(VALU_DEP_4)
	v_bfe_i32 v44, v44, 0, 8
	v_bfe_i32 v29, v29, 0, 8
	s_delay_alu instid0(VALU_DEP_4) | instskip(NEXT) | instid1(VALU_DEP_4)
	v_cvt_f32_i32_e32 v42, v42
	v_bfe_i32 v43, v43, 0, 16
	s_delay_alu instid0(VALU_DEP_4) | instskip(NEXT) | instid1(VALU_DEP_4)
	v_bfe_i32 v44, v44, 0, 16
	v_bfe_i32 v29, v29, 0, 16
	s_delay_alu instid0(VALU_DEP_4) | instskip(NEXT) | instid1(VALU_DEP_3)
	v_fmac_f32_e32 v24, v33, v42
	v_cvt_f32_i32_e32 v33, v44
	v_fmac_f32_e32 v22, v30, v42
	v_cvt_f32_i32_e32 v30, v43
	v_fmac_f32_e32 v23, v36, v42
	v_fmac_f32_e32 v21, v39, v42
	v_cvt_f32_i32_e32 v29, v29
	s_delay_alu instid0(VALU_DEP_3) | instskip(NEXT) | instid1(VALU_DEP_3)
	v_fmac_f32_e32 v23, v37, v30
	v_fmac_f32_e32 v21, v40, v30
	s_delay_alu instid0(VALU_DEP_2) | instskip(NEXT) | instid1(VALU_DEP_2)
	v_fmac_f32_e32 v23, v38, v33
	v_dual_fmac_f32 v24, v34, v30 :: v_dual_fmac_f32 v21, v41, v33
	v_fmac_f32_e32 v22, v31, v30
	s_delay_alu instid0(VALU_DEP_3) | instskip(NEXT) | instid1(VALU_DEP_3)
	v_fmac_f32_e32 v23, v27, v29
	v_fmac_f32_e32 v24, v35, v33
	s_delay_alu instid0(VALU_DEP_4) | instskip(NEXT) | instid1(VALU_DEP_4)
	v_fmac_f32_e32 v21, v28, v29
	v_fmac_f32_e32 v22, v32, v33
	s_delay_alu instid0(VALU_DEP_3) | instskip(NEXT) | instid1(VALU_DEP_2)
	v_fmac_f32_e32 v24, v26, v29
	v_fmac_f32_e32 v22, v25, v29
	s_and_not1_b32 exec_lo, exec_lo, s11
	s_cbranch_execnz .LBB89_19
; %bb.20:
	s_or_b32 exec_lo, exec_lo, s11
.LBB89_21:
	s_delay_alu instid0(SALU_CYCLE_1) | instskip(NEXT) | instid1(SALU_CYCLE_1)
	s_or_b32 exec_lo, exec_lo, s10
	s_mov_b32 s10, exec_lo
	v_cmpx_lt_u64_e32 0xbf, v[15:16]
	s_cbranch_execz .LBB89_25
; %bb.22:
	v_lshlrev_b64 v[15:16], 3, v[11:12]
	s_mov_b32 s11, 0
	s_delay_alu instid0(VALU_DEP_1) | instskip(NEXT) | instid1(VALU_DEP_2)
	v_add_co_u32 v15, vcc_lo, v15, s8
	v_add_co_ci_u32_e32 v16, vcc_lo, s9, v16, vcc_lo
	s_delay_alu instid0(VALU_DEP_2) | instskip(NEXT) | instid1(VALU_DEP_2)
	v_add_co_u32 v15, vcc_lo, 0x400, v15
	v_add_co_ci_u32_e32 v16, vcc_lo, 0, v16, vcc_lo
.LBB89_23:                              ; =>This Inner Loop Header: Depth=1
	s_clause 0x3
	global_load_b64 v[37:38], v[15:16], off offset:-1024
	global_load_b64 v[39:40], v[15:16], off offset:-512
	global_load_b64 v[41:42], v[15:16], off
	global_load_b64 v[43:44], v[15:16], off offset:512
	s_clause 0x3
	global_load_b128 v[17:20], v[13:14], off
	global_load_b128 v[25:28], v[13:14], off offset:1024
	global_load_b128 v[29:32], v[13:14], off offset:2048
	;; [unrolled: 1-line block ×3, first 2 shown]
	v_add_co_u32 v13, vcc_lo, 0x1000, v13
	v_add_co_ci_u32_e32 v14, vcc_lo, 0, v14, vcc_lo
	v_add_co_u32 v11, vcc_lo, 0x100, v11
	v_add_co_ci_u32_e32 v12, vcc_lo, 0, v12, vcc_lo
	v_add_co_u32 v15, vcc_lo, 0x800, v15
	v_add_co_ci_u32_e32 v16, vcc_lo, 0, v16, vcc_lo
	s_waitcnt vmcnt(7)
	v_sub_co_u32 v37, vcc_lo, v37, s20
	v_subrev_co_ci_u32_e32 v38, vcc_lo, s3, v38, vcc_lo
	s_waitcnt vmcnt(3)
	v_bfe_i32 v45, v17, 0, 8
	v_lshrrev_b32_e32 v46, 8, v17
	v_lshrrev_b32_e32 v47, 16, v17
	;; [unrolled: 1-line block ×3, first 2 shown]
	v_sub_co_u32 v17, vcc_lo, v39, s20
	v_bfe_i32 v49, v18, 0, 8
	v_lshrrev_b32_e32 v50, 8, v18
	v_lshrrev_b32_e32 v51, 16, v18
	;; [unrolled: 1-line block ×3, first 2 shown]
	v_subrev_co_ci_u32_e32 v18, vcc_lo, s3, v40, vcc_lo
	v_sub_co_u32 v39, vcc_lo, v41, s20
	v_lshlrev_b64 v[37:38], 2, v[37:38]
	v_subrev_co_ci_u32_e32 v40, vcc_lo, s3, v42, vcc_lo
	v_sub_co_u32 v41, vcc_lo, v43, s20
	v_lshlrev_b64 v[17:18], 2, v[17:18]
	v_subrev_co_ci_u32_e32 v42, vcc_lo, s3, v44, vcc_lo
	s_delay_alu instid0(VALU_DEP_4) | instskip(SKIP_2) | instid1(VALU_DEP_4)
	v_lshlrev_b64 v[39:40], 2, v[39:40]
	v_add_co_u32 v37, vcc_lo, s4, v37
	v_add_co_ci_u32_e32 v38, vcc_lo, s5, v38, vcc_lo
	v_lshlrev_b64 v[41:42], 2, v[41:42]
	v_add_co_u32 v17, vcc_lo, s4, v17
	v_add_co_ci_u32_e32 v18, vcc_lo, s5, v18, vcc_lo
	v_add_co_u32 v39, vcc_lo, s4, v39
	v_add_co_ci_u32_e32 v40, vcc_lo, s5, v40, vcc_lo
	;; [unrolled: 2-line block ×3, first 2 shown]
	s_clause 0x3
	global_load_b32 v37, v[37:38], off
	global_load_b32 v17, v[17:18], off
	;; [unrolled: 1-line block ×4, first 2 shown]
	v_bfe_i32 v53, v19, 0, 8
	v_lshrrev_b32_e32 v54, 8, v19
	v_lshrrev_b32_e32 v55, 16, v19
	v_bfe_i32 v46, v46, 0, 8
	v_bfe_i32 v45, v45, 0, 16
	;; [unrolled: 1-line block ×4, first 2 shown]
	v_lshrrev_b32_e32 v19, 24, v19
	v_bfe_i32 v55, v55, 0, 8
	v_bfe_i32 v49, v49, 0, 16
	v_cvt_f32_i32_e32 v45, v45
	v_bfe_i32 v46, v46, 0, 16
	v_cvt_f32_i32_e32 v53, v53
	v_bfe_i32 v54, v54, 0, 16
	s_waitcnt vmcnt(6)
	v_lshrrev_b32_e32 v41, 16, v25
	v_bfe_i32 v19, v19, 0, 8
	v_cvt_f32_i32_e32 v49, v49
	v_bfe_i32 v55, v55, 0, 16
	v_cvt_f32_i32_e32 v46, v46
	v_cvt_f32_i32_e32 v54, v54
	v_lshrrev_b32_e32 v44, 16, v26
	v_bfe_i32 v59, v27, 0, 8
	v_lshrrev_b32_e32 v60, 8, v27
	v_bfe_i32 v47, v47, 0, 8
	v_bfe_i32 v41, v41, 0, 8
	;; [unrolled: 1-line block ×3, first 2 shown]
	v_cvt_f32_i32_e32 v55, v55
	v_bfe_i32 v56, v20, 0, 8
	v_lshrrev_b32_e32 v57, 8, v20
	v_lshrrev_b32_e32 v63, 8, v28
	v_bfe_i32 v48, v48, 0, 8
	v_bfe_i32 v44, v44, 0, 8
	;; [unrolled: 1-line block ×6, first 2 shown]
	v_cvt_f32_i32_e32 v19, v19
	v_lshrrev_b32_e32 v58, 16, v20
	v_bfe_i32 v39, v25, 0, 8
	v_lshrrev_b32_e32 v40, 8, v25
	v_lshrrev_b32_e32 v64, 16, v28
	v_bfe_i32 v50, v50, 0, 8
	v_bfe_i32 v57, v57, 0, 8
	;; [unrolled: 1-line block ×6, first 2 shown]
	v_cvt_f32_i32_e32 v59, v59
	v_bfe_i32 v60, v60, 0, 16
	v_cvt_f32_i32_e32 v47, v47
	v_cvt_f32_i32_e32 v41, v41
	v_lshrrev_b32_e32 v20, 24, v20
	v_lshrrev_b32_e32 v43, 8, v26
	v_bfe_i32 v58, v58, 0, 8
	v_bfe_i32 v40, v40, 0, 8
	;; [unrolled: 1-line block ×5, first 2 shown]
	v_cvt_f32_i32_e32 v56, v56
	v_bfe_i32 v57, v57, 0, 16
	v_bfe_i32 v63, v63, 0, 16
	v_cvt_f32_i32_e32 v48, v48
	v_cvt_f32_i32_e32 v44, v44
	;; [unrolled: 1-line block ×3, first 2 shown]
	v_lshrrev_b32_e32 v61, 16, v27
	v_bfe_i32 v20, v20, 0, 8
	v_bfe_i32 v43, v43, 0, 8
	v_bfe_i32 v58, v58, 0, 16
	v_cvt_f32_i32_e32 v39, v39
	v_bfe_i32 v40, v40, 0, 16
	v_bfe_i32 v64, v64, 0, 16
	v_cvt_f32_i32_e32 v50, v50
	v_cvt_f32_i32_e32 v57, v57
	;; [unrolled: 1-line block ×3, first 2 shown]
	v_lshrrev_b32_e32 v27, 24, v27
	s_waitcnt vmcnt(5)
	v_bfe_i32 v65, v29, 0, 8
	v_bfe_i32 v51, v51, 0, 8
	;; [unrolled: 1-line block ×5, first 2 shown]
	v_cvt_f32_i32_e32 v58, v58
	v_cvt_f32_i32_e32 v40, v40
	;; [unrolled: 1-line block ×3, first 2 shown]
	v_lshrrev_b32_e32 v70, 16, v30
	v_bfe_i32 v52, v52, 0, 8
	v_bfe_i32 v27, v27, 0, 8
	;; [unrolled: 1-line block ×5, first 2 shown]
	v_cvt_f32_i32_e32 v20, v20
	v_cvt_f32_i32_e32 v43, v43
	v_bfe_i32 v42, v26, 0, 8
	v_bfe_i32 v71, v31, 0, 8
	v_lshrrev_b32_e32 v73, 16, v31
	v_bfe_i32 v70, v70, 0, 8
	v_bfe_i32 v52, v52, 0, 16
	;; [unrolled: 1-line block ×3, first 2 shown]
	v_cvt_f32_i32_e32 v65, v65
	v_cvt_f32_i32_e32 v51, v51
	;; [unrolled: 1-line block ×3, first 2 shown]
	v_lshrrev_b32_e32 v25, 24, v25
	v_bfe_i32 v42, v42, 0, 16
	v_bfe_i32 v73, v73, 0, 8
	;; [unrolled: 1-line block ×4, first 2 shown]
	v_cvt_f32_i32_e32 v52, v52
	v_cvt_f32_i32_e32 v27, v27
	v_lshrrev_b32_e32 v26, 24, v26
	v_bfe_i32 v25, v25, 0, 8
	v_cvt_f32_i32_e32 v42, v42
	v_cvt_f32_i32_e32 v71, v71
	v_bfe_i32 v73, v73, 0, 16
	v_cvt_f32_i32_e32 v70, v70
	v_bfe_i32 v62, v28, 0, 8
	v_bfe_i32 v74, v32, 0, 8
	v_lshrrev_b32_e32 v76, 16, v32
	v_bfe_i32 v26, v26, 0, 8
	v_bfe_i32 v25, v25, 0, 16
	v_cvt_f32_i32_e32 v73, v73
	v_bfe_i32 v68, v30, 0, 8
	v_bfe_i32 v62, v62, 0, 16
	;; [unrolled: 1-line block ×5, first 2 shown]
	v_cvt_f32_i32_e32 v25, v25
	v_lshrrev_b32_e32 v28, 24, v28
	v_bfe_i32 v68, v68, 0, 16
	v_cvt_f32_i32_e32 v62, v62
	v_cvt_f32_i32_e32 v74, v74
	v_bfe_i32 v76, v76, 0, 16
	v_cvt_f32_i32_e32 v26, v26
	v_lshrrev_b32_e32 v66, 8, v29
	v_lshrrev_b32_e32 v67, 16, v29
	v_bfe_i32 v28, v28, 0, 8
	v_cvt_f32_i32_e32 v68, v68
	v_cvt_f32_i32_e32 v76, v76
	v_bfe_i32 v66, v66, 0, 8
	v_bfe_i32 v67, v67, 0, 8
	;; [unrolled: 1-line block ×3, first 2 shown]
	v_lshrrev_b32_e32 v69, 8, v30
	v_lshrrev_b32_e32 v72, 8, v31
	v_lshrrev_b32_e32 v75, 8, v32
	s_waitcnt vmcnt(4)
	v_bfe_i32 v83, v35, 0, 8
	v_bfe_i32 v66, v66, 0, 16
	;; [unrolled: 1-line block ×3, first 2 shown]
	v_cvt_f32_i32_e32 v28, v28
	v_lshrrev_b32_e32 v29, 24, v29
	v_bfe_i32 v69, v69, 0, 8
	v_bfe_i32 v72, v72, 0, 8
	;; [unrolled: 1-line block ×4, first 2 shown]
	v_cvt_f32_i32_e32 v66, v66
	v_cvt_f32_i32_e32 v67, v67
	v_lshrrev_b32_e32 v32, 24, v32
	v_bfe_i32 v77, v33, 0, 8
	v_bfe_i32 v80, v34, 0, 8
	;; [unrolled: 1-line block ×3, first 2 shown]
	v_lshrrev_b32_e32 v88, 16, v36
	v_bfe_i32 v29, v29, 0, 8
	v_bfe_i32 v69, v69, 0, 16
	v_bfe_i32 v72, v72, 0, 16
	v_bfe_i32 v75, v75, 0, 16
	v_cvt_f32_i32_e32 v83, v83
	v_lshrrev_b32_e32 v31, 24, v31
	v_lshrrev_b32_e32 v79, 16, v33
	v_bfe_i32 v32, v32, 0, 8
	v_bfe_i32 v88, v88, 0, 8
	;; [unrolled: 1-line block ×6, first 2 shown]
	v_cvt_f32_i32_e32 v69, v69
	v_cvt_f32_i32_e32 v72, v72
	v_cvt_f32_i32_e32 v75, v75
	v_lshrrev_b32_e32 v30, 24, v30
	v_lshrrev_b32_e32 v82, 16, v34
	v_bfe_i32 v31, v31, 0, 8
	v_bfe_i32 v79, v79, 0, 8
	;; [unrolled: 1-line block ×3, first 2 shown]
	v_cvt_f32_i32_e32 v77, v77
	v_cvt_f32_i32_e32 v80, v80
	;; [unrolled: 1-line block ×3, first 2 shown]
	v_bfe_i32 v88, v88, 0, 16
	v_cvt_f32_i32_e32 v29, v29
	v_lshrrev_b32_e32 v84, 8, v35
	v_lshrrev_b32_e32 v85, 16, v35
	v_bfe_i32 v30, v30, 0, 8
	v_bfe_i32 v82, v82, 0, 8
	;; [unrolled: 1-line block ×4, first 2 shown]
	v_cvt_f32_i32_e32 v32, v32
	v_cvt_f32_i32_e32 v88, v88
	v_bfe_i32 v84, v84, 0, 8
	v_bfe_i32 v85, v85, 0, 8
	;; [unrolled: 1-line block ×4, first 2 shown]
	v_cvt_f32_i32_e32 v31, v31
	v_cvt_f32_i32_e32 v79, v79
	v_lshrrev_b32_e32 v78, 8, v33
	v_lshrrev_b32_e32 v81, 8, v34
	;; [unrolled: 1-line block ×3, first 2 shown]
	v_bfe_i32 v84, v84, 0, 16
	v_bfe_i32 v85, v85, 0, 16
	v_cvt_f32_i32_e32 v30, v30
	v_cvt_f32_i32_e32 v82, v82
	v_bfe_i32 v78, v78, 0, 8
	v_bfe_i32 v81, v81, 0, 8
	;; [unrolled: 1-line block ×3, first 2 shown]
	v_cvt_f32_i32_e32 v84, v84
	v_cvt_f32_i32_e32 v85, v85
	v_lshrrev_b32_e32 v33, 24, v33
	v_lshrrev_b32_e32 v34, 24, v34
	;; [unrolled: 1-line block ×4, first 2 shown]
	v_bfe_i32 v78, v78, 0, 16
	v_bfe_i32 v81, v81, 0, 16
	v_bfe_i32 v87, v87, 0, 16
	v_bfe_i32 v33, v33, 0, 8
	v_bfe_i32 v34, v34, 0, 8
	v_bfe_i32 v35, v35, 0, 8
	v_bfe_i32 v36, v36, 0, 8
	v_cvt_f32_i32_e32 v78, v78
	v_cvt_f32_i32_e32 v81, v81
	;; [unrolled: 1-line block ×3, first 2 shown]
	v_bfe_i32 v33, v33, 0, 16
	v_bfe_i32 v34, v34, 0, 16
	;; [unrolled: 1-line block ×4, first 2 shown]
	v_cmp_ge_i64_e32 vcc_lo, v[11:12], v[5:6]
	v_cvt_f32_i32_e32 v33, v33
	v_cvt_f32_i32_e32 v34, v34
	;; [unrolled: 1-line block ×4, first 2 shown]
	s_or_b32 s11, vcc_lo, s11
	s_waitcnt vmcnt(3)
	v_bfe_i32 v90, v37, 0, 8
	v_lshrrev_b32_e32 v91, 8, v37
	v_lshrrev_b32_e32 v89, 16, v37
	;; [unrolled: 1-line block ×3, first 2 shown]
	s_waitcnt vmcnt(2)
	v_bfe_i32 v93, v17, 0, 8
	v_bfe_i32 v90, v90, 0, 16
	;; [unrolled: 1-line block ×5, first 2 shown]
	v_lshrrev_b32_e32 v94, 8, v17
	v_cvt_f32_i32_e32 v90, v90
	v_bfe_i32 v91, v91, 0, 16
	v_bfe_i32 v89, v89, 0, 16
	;; [unrolled: 1-line block ×4, first 2 shown]
	v_fmac_f32_e32 v23, v53, v90
	v_fmac_f32_e32 v22, v45, v90
	v_cvt_f32_i32_e32 v45, v91
	v_bfe_i32 v93, v93, 0, 16
	v_cvt_f32_i32_e32 v37, v37
	v_bfe_i32 v94, v94, 0, 16
	v_lshrrev_b32_e32 v92, 16, v17
	v_dual_fmac_f32 v23, v54, v45 :: v_dual_fmac_f32 v24, v49, v90
	v_cvt_f32_i32_e32 v49, v89
	v_cvt_f32_i32_e32 v93, v93
	v_fmac_f32_e32 v22, v46, v45
	v_lshrrev_b32_e32 v17, 24, v17
	s_waitcnt vmcnt(1)
	v_bfe_i32 v96, v18, 0, 8
	v_fmac_f32_e32 v23, v55, v49
	v_dual_fmac_f32 v21, v56, v90 :: v_dual_fmac_f32 v24, v50, v45
	v_bfe_i32 v92, v92, 0, 8
	v_bfe_i32 v17, v17, 0, 8
	s_delay_alu instid0(VALU_DEP_4)
	v_fmac_f32_e32 v23, v19, v37
	v_cvt_f32_i32_e32 v19, v94
	v_bfe_i32 v96, v96, 0, 16
	v_bfe_i32 v92, v92, 0, 16
	;; [unrolled: 1-line block ×3, first 2 shown]
	v_fmac_f32_e32 v23, v59, v93
	v_fmac_f32_e32 v22, v47, v49
	v_cvt_f32_i32_e32 v96, v96
	v_lshrrev_b32_e32 v95, 16, v18
	v_cvt_f32_i32_e32 v17, v17
	v_fmac_f32_e32 v23, v60, v19
	v_fmac_f32_e32 v22, v48, v37
	v_lshrrev_b32_e32 v97, 8, v18
	v_bfe_i32 v95, v95, 0, 8
	s_waitcnt vmcnt(0)
	v_bfe_i32 v99, v38, 0, 8
	v_lshrrev_b32_e32 v18, 24, v18
	v_fmac_f32_e32 v22, v39, v93
	v_fmac_f32_e32 v21, v57, v45
	v_bfe_i32 v97, v97, 0, 8
	v_bfe_i32 v95, v95, 0, 16
	;; [unrolled: 1-line block ×3, first 2 shown]
	s_delay_alu instid0(VALU_DEP_4) | instskip(NEXT) | instid1(VALU_DEP_4)
	v_dual_fmac_f32 v22, v40, v19 :: v_dual_fmac_f32 v21, v58, v49
	v_bfe_i32 v97, v97, 0, 16
	v_lshrrev_b32_e32 v98, 16, v38
	v_bfe_i32 v18, v18, 0, 8
	v_cvt_f32_i32_e32 v99, v99
	v_fmac_f32_e32 v21, v20, v37
	v_cvt_f32_i32_e32 v20, v92
	v_fmac_f32_e32 v24, v51, v49
	v_bfe_i32 v98, v98, 0, 8
	v_bfe_i32 v18, v18, 0, 16
	v_lshrrev_b32_e32 v100, 8, v38
	v_fmac_f32_e32 v23, v61, v20
	v_fmac_f32_e32 v22, v41, v20
	v_lshrrev_b32_e32 v38, 24, v38
	s_delay_alu instid0(VALU_DEP_4) | instskip(NEXT) | instid1(VALU_DEP_4)
	v_bfe_i32 v100, v100, 0, 8
	v_fmac_f32_e32 v23, v27, v17
	v_fmac_f32_e32 v24, v52, v37
	;; [unrolled: 1-line block ×3, first 2 shown]
	v_bfe_i32 v38, v38, 0, 8
	v_bfe_i32 v45, v100, 0, 16
	s_delay_alu instid0(VALU_DEP_4) | instskip(NEXT) | instid1(VALU_DEP_4)
	v_dual_fmac_f32 v23, v71, v96 :: v_dual_fmac_f32 v24, v42, v93
	v_fmac_f32_e32 v22, v65, v96
	s_delay_alu instid0(VALU_DEP_2) | instskip(NEXT) | instid1(VALU_DEP_1)
	v_fmac_f32_e32 v24, v43, v19
	v_fmac_f32_e32 v24, v44, v20
	s_delay_alu instid0(VALU_DEP_1) | instskip(NEXT) | instid1(VALU_DEP_1)
	v_fmac_f32_e32 v24, v26, v17
	v_dual_fmac_f32 v21, v62, v93 :: v_dual_fmac_f32 v24, v68, v96
	s_delay_alu instid0(VALU_DEP_1) | instskip(SKIP_1) | instid1(VALU_DEP_2)
	v_fmac_f32_e32 v21, v63, v19
	v_bfe_i32 v19, v98, 0, 16
	v_fmac_f32_e32 v21, v64, v20
	v_cvt_f32_i32_e32 v20, v95
	s_delay_alu instid0(VALU_DEP_3) | instskip(NEXT) | instid1(VALU_DEP_3)
	v_cvt_f32_i32_e32 v19, v19
	v_fmac_f32_e32 v21, v28, v17
	v_cvt_f32_i32_e32 v17, v97
	s_delay_alu instid0(VALU_DEP_1) | instskip(SKIP_1) | instid1(VALU_DEP_2)
	v_fmac_f32_e32 v22, v66, v17
	v_fmac_f32_e32 v24, v69, v17
	v_dual_fmac_f32 v23, v72, v17 :: v_dual_fmac_f32 v22, v67, v20
	v_fmac_f32_e32 v21, v74, v96
	s_delay_alu instid0(VALU_DEP_1) | instskip(SKIP_2) | instid1(VALU_DEP_2)
	v_fmac_f32_e32 v21, v75, v17
	v_cvt_f32_i32_e32 v17, v18
	v_bfe_i32 v18, v38, 0, 16
	v_dual_fmac_f32 v21, v76, v20 :: v_dual_fmac_f32 v22, v29, v17
	s_delay_alu instid0(VALU_DEP_1) | instskip(SKIP_1) | instid1(VALU_DEP_2)
	v_dual_fmac_f32 v21, v32, v17 :: v_dual_fmac_f32 v22, v77, v99
	v_fmac_f32_e32 v23, v73, v20
	v_fmac_f32_e32 v21, v86, v99
	s_delay_alu instid0(VALU_DEP_2) | instskip(NEXT) | instid1(VALU_DEP_1)
	v_dual_fmac_f32 v24, v70, v20 :: v_dual_fmac_f32 v23, v31, v17
	v_fmac_f32_e32 v24, v30, v17
	v_cvt_f32_i32_e32 v17, v45
	s_delay_alu instid0(VALU_DEP_1) | instskip(NEXT) | instid1(VALU_DEP_1)
	v_dual_fmac_f32 v23, v83, v99 :: v_dual_fmac_f32 v22, v78, v17
	v_fmac_f32_e32 v23, v84, v17
	v_fmac_f32_e32 v21, v87, v17
	s_delay_alu instid0(VALU_DEP_3) | instskip(NEXT) | instid1(VALU_DEP_3)
	v_fmac_f32_e32 v22, v79, v19
	v_fmac_f32_e32 v23, v85, v19
	;; [unrolled: 1-line block ×3, first 2 shown]
	s_delay_alu instid0(VALU_DEP_1) | instskip(SKIP_1) | instid1(VALU_DEP_2)
	v_dual_fmac_f32 v21, v88, v19 :: v_dual_fmac_f32 v24, v81, v17
	v_cvt_f32_i32_e32 v17, v18
	v_fmac_f32_e32 v24, v82, v19
	s_delay_alu instid0(VALU_DEP_2) | instskip(SKIP_2) | instid1(VALU_DEP_4)
	v_fmac_f32_e32 v22, v33, v17
	v_fmac_f32_e32 v23, v35, v17
	v_fmac_f32_e32 v21, v36, v17
	v_fmac_f32_e32 v24, v34, v17
	s_and_not1_b32 exec_lo, exec_lo, s11
	s_cbranch_execnz .LBB89_23
; %bb.24:
	s_or_b32 exec_lo, exec_lo, s11
.LBB89_25:
	s_delay_alu instid0(SALU_CYCLE_1)
	s_or_b32 exec_lo, exec_lo, s10
.LBB89_26:
	s_delay_alu instid0(SALU_CYCLE_1) | instskip(NEXT) | instid1(SALU_CYCLE_1)
	s_or_b32 exec_lo, exec_lo, s7
	s_and_not1_b32 vcc_lo, exec_lo, s6
	s_cbranch_vccz .LBB89_28
	s_branch .LBB89_39
.LBB89_27:
                                        ; implicit-def: $vgpr21
                                        ; implicit-def: $vgpr23
                                        ; implicit-def: $vgpr24
                                        ; implicit-def: $vgpr22
.LBB89_28:
	v_dual_mov_b32 v21, 0 :: v_dual_mov_b32 v24, 0
	v_dual_mov_b32 v23, 0 :: v_dual_mov_b32 v22, 0
	s_delay_alu instid0(VALU_DEP_3)
	s_and_saveexec_b32 s6, s2
	s_cbranch_execz .LBB89_38
; %bb.29:
	v_or_b32_e32 v11, 64, v2
	v_mov_b32_e32 v23, 0
	v_dual_mov_b32 v21, 0 :: v_dual_mov_b32 v22, 0
	v_mov_b32_e32 v24, 0
	s_delay_alu instid0(VALU_DEP_4) | instskip(NEXT) | instid1(VALU_DEP_1)
	v_sub_co_u32 v11, s2, v11, s20
	v_sub_co_ci_u32_e64 v12, null, 0, s3, s2
	v_sub_co_u32 v13, s2, s20, v2
	s_delay_alu instid0(VALU_DEP_3) | instskip(NEXT) | instid1(VALU_DEP_3)
	v_add_co_u32 v11, vcc_lo, v11, v9
	v_add_co_ci_u32_e32 v12, vcc_lo, v12, v10, vcc_lo
	v_not_b32_e32 v9, v9
	v_not_b32_e32 v10, v10
	v_sub_co_ci_u32_e64 v14, null, s3, 0, s2
	s_delay_alu instid0(VALU_DEP_4) | instskip(SKIP_4) | instid1(VALU_DEP_2)
	v_cmp_gt_i64_e32 vcc_lo, v[11:12], v[5:6]
	s_mov_b32 s2, exec_lo
	v_dual_cndmask_b32 v12, v6, v12 :: v_dual_cndmask_b32 v11, v5, v11
	v_add_co_u32 v9, vcc_lo, v13, v9
	v_add_co_ci_u32_e32 v10, vcc_lo, v14, v10, vcc_lo
	v_add_co_u32 v9, vcc_lo, v9, v11
	s_delay_alu instid0(VALU_DEP_2) | instskip(NEXT) | instid1(VALU_DEP_2)
	v_add_co_ci_u32_e32 v10, vcc_lo, v10, v12, vcc_lo
	v_lshrrev_b32_e32 v11, 6, v9
	s_delay_alu instid0(VALU_DEP_1) | instskip(NEXT) | instid1(VALU_DEP_1)
	v_add_nc_u32_e32 v11, 1, v11
	v_and_b32_e32 v11, 3, v11
	s_delay_alu instid0(VALU_DEP_1)
	v_cmpx_ne_u32_e32 0, v11
	s_cbranch_execz .LBB89_33
; %bb.30:
	v_lshlrev_b64 v[13:14], 3, v[0:1]
	v_dual_mov_b32 v12, 0 :: v_dual_lshlrev_b32 v11, 1, v11
	s_mov_b32 s7, 0
	s_delay_alu instid0(VALU_DEP_1) | instskip(NEXT) | instid1(VALU_DEP_3)
	v_mov_b32_e32 v21, v12
	v_add_co_u32 v13, vcc_lo, s8, v13
	s_delay_alu instid0(VALU_DEP_4)
	v_add_co_ci_u32_e32 v14, vcc_lo, s9, v14, vcc_lo
	v_mov_b32_e32 v23, v12
	v_mov_b32_e32 v24, v12
	;; [unrolled: 1-line block ×3, first 2 shown]
.LBB89_31:                              ; =>This Inner Loop Header: Depth=1
	global_load_b64 v[19:20], v[13:14], off
	global_load_b128 v[15:18], v[7:8], off
	s_waitcnt vmcnt(1)
	v_sub_co_u32 v19, vcc_lo, v19, s20
	v_subrev_co_ci_u32_e32 v20, vcc_lo, s3, v20, vcc_lo
	s_waitcnt vmcnt(0)
	v_lshrrev_b32_e32 v25, 8, v15
	v_lshrrev_b32_e32 v26, 16, v15
	v_bfe_i32 v27, v16, 0, 8
	v_lshlrev_b64 v[19:20], 2, v[19:20]
	v_lshrrev_b32_e32 v28, 8, v16
	v_lshrrev_b32_e32 v29, 16, v16
	;; [unrolled: 1-line block ×3, first 2 shown]
	v_bfe_i32 v30, v17, 0, 8
	v_lshrrev_b32_e32 v31, 8, v17
	v_add_co_u32 v19, vcc_lo, s4, v19
	v_add_co_ci_u32_e32 v20, vcc_lo, s5, v20, vcc_lo
	v_lshrrev_b32_e32 v32, 16, v17
	v_lshrrev_b32_e32 v17, 24, v17
	v_bfe_i32 v26, v26, 0, 8
	global_load_b32 v19, v[19:20], off
	v_bfe_i32 v20, v15, 0, 8
	v_lshrrev_b32_e32 v15, 24, v15
	v_bfe_i32 v25, v25, 0, 8
	v_bfe_i32 v29, v29, 0, 8
	;; [unrolled: 1-line block ×12, first 2 shown]
	v_cvt_f32_i32_e32 v20, v20
	v_bfe_i32 v25, v25, 0, 16
	v_bfe_i32 v29, v29, 0, 16
	;; [unrolled: 1-line block ×5, first 2 shown]
	v_cvt_f32_i32_e32 v26, v26
	v_cvt_f32_i32_e32 v15, v15
	v_bfe_i32 v33, v18, 0, 8
	v_lshrrev_b32_e32 v34, 8, v18
	v_lshrrev_b32_e32 v35, 16, v18
	;; [unrolled: 1-line block ×3, first 2 shown]
	v_bfe_i32 v27, v27, 0, 16
	v_bfe_i32 v28, v28, 0, 16
	v_cvt_f32_i32_e32 v30, v30
	v_bfe_i32 v32, v32, 0, 16
	v_cvt_f32_i32_e32 v25, v25
	v_cvt_f32_i32_e32 v29, v29
	;; [unrolled: 1-line block ×5, first 2 shown]
	v_add_co_u32 v7, vcc_lo, 0x400, v7
	v_add_co_ci_u32_e32 v8, vcc_lo, 0, v8, vcc_lo
	v_add_co_u32 v0, vcc_lo, v0, 64
	v_bfe_i32 v34, v34, 0, 8
	v_bfe_i32 v35, v35, 0, 8
	;; [unrolled: 1-line block ×3, first 2 shown]
	v_cvt_f32_i32_e32 v27, v27
	v_cvt_f32_i32_e32 v28, v28
	;; [unrolled: 1-line block ×3, first 2 shown]
	v_add_co_ci_u32_e32 v1, vcc_lo, 0, v1, vcc_lo
	v_add_co_u32 v13, vcc_lo, 0x200, v13
	v_add_co_ci_u32_e32 v14, vcc_lo, 0, v14, vcc_lo
	v_add_co_u32 v11, vcc_lo, v11, -2
	v_bfe_i32 v33, v33, 0, 16
	v_bfe_i32 v34, v34, 0, 16
	;; [unrolled: 1-line block ×4, first 2 shown]
	v_add_co_ci_u32_e32 v12, vcc_lo, -1, v12, vcc_lo
	v_cvt_f32_i32_e32 v33, v33
	v_cvt_f32_i32_e32 v34, v34
	v_cvt_f32_i32_e32 v35, v35
	v_cvt_f32_i32_e32 v18, v18
	v_cmp_eq_u64_e32 vcc_lo, 0, v[11:12]
	s_or_b32 s7, vcc_lo, s7
	s_waitcnt vmcnt(0)
	v_bfe_i32 v36, v19, 0, 8
	v_lshrrev_b32_e32 v37, 8, v19
	v_lshrrev_b32_e32 v38, 16, v19
	;; [unrolled: 1-line block ×3, first 2 shown]
	s_delay_alu instid0(VALU_DEP_4) | instskip(NEXT) | instid1(VALU_DEP_4)
	v_bfe_i32 v36, v36, 0, 16
	v_bfe_i32 v37, v37, 0, 8
	s_delay_alu instid0(VALU_DEP_4) | instskip(NEXT) | instid1(VALU_DEP_4)
	v_bfe_i32 v38, v38, 0, 8
	v_bfe_i32 v19, v19, 0, 8
	s_delay_alu instid0(VALU_DEP_4) | instskip(NEXT) | instid1(VALU_DEP_4)
	v_cvt_f32_i32_e32 v36, v36
	v_bfe_i32 v37, v37, 0, 16
	s_delay_alu instid0(VALU_DEP_4) | instskip(NEXT) | instid1(VALU_DEP_4)
	v_bfe_i32 v38, v38, 0, 16
	v_bfe_i32 v19, v19, 0, 16
	s_delay_alu instid0(VALU_DEP_4) | instskip(NEXT) | instid1(VALU_DEP_3)
	v_fmac_f32_e32 v21, v15, v36
	v_cvt_f32_i32_e32 v15, v38
	v_fmac_f32_e32 v22, v20, v36
	v_cvt_f32_i32_e32 v20, v37
	v_fmac_f32_e32 v23, v26, v36
	s_delay_alu instid0(VALU_DEP_2) | instskip(NEXT) | instid1(VALU_DEP_2)
	v_fmac_f32_e32 v21, v16, v20
	v_fmac_f32_e32 v23, v29, v20
	v_fmac_f32_e32 v24, v25, v36
	v_cvt_f32_i32_e32 v16, v19
	s_delay_alu instid0(VALU_DEP_4) | instskip(NEXT) | instid1(VALU_DEP_4)
	v_fmac_f32_e32 v21, v17, v15
	v_dual_fmac_f32 v23, v32, v15 :: v_dual_fmac_f32 v22, v27, v20
	s_delay_alu instid0(VALU_DEP_4) | instskip(NEXT) | instid1(VALU_DEP_3)
	v_fmac_f32_e32 v24, v28, v20
	v_fmac_f32_e32 v21, v18, v16
	s_delay_alu instid0(VALU_DEP_3) | instskip(NEXT) | instid1(VALU_DEP_3)
	v_dual_fmac_f32 v23, v35, v16 :: v_dual_fmac_f32 v22, v30, v15
	v_fmac_f32_e32 v24, v31, v15
	s_delay_alu instid0(VALU_DEP_2) | instskip(NEXT) | instid1(VALU_DEP_2)
	v_fmac_f32_e32 v22, v33, v16
	v_fmac_f32_e32 v24, v34, v16
	s_and_not1_b32 exec_lo, exec_lo, s7
	s_cbranch_execnz .LBB89_31
; %bb.32:
	s_or_b32 exec_lo, exec_lo, s7
.LBB89_33:
	s_delay_alu instid0(SALU_CYCLE_1) | instskip(NEXT) | instid1(SALU_CYCLE_1)
	s_or_b32 exec_lo, exec_lo, s2
	s_mov_b32 s2, exec_lo
	v_cmpx_lt_u64_e32 0xbf, v[9:10]
	s_cbranch_execz .LBB89_37
; %bb.34:
	v_lshlrev_b64 v[9:10], 3, v[0:1]
	s_mov_b32 s7, 0
	s_delay_alu instid0(VALU_DEP_1) | instskip(NEXT) | instid1(VALU_DEP_2)
	v_add_co_u32 v9, vcc_lo, v9, s8
	v_add_co_ci_u32_e32 v10, vcc_lo, s9, v10, vcc_lo
	s_delay_alu instid0(VALU_DEP_2) | instskip(NEXT) | instid1(VALU_DEP_2)
	v_add_co_u32 v9, vcc_lo, 0x400, v9
	v_add_co_ci_u32_e32 v10, vcc_lo, 0, v10, vcc_lo
.LBB89_35:                              ; =>This Inner Loop Header: Depth=1
	s_clause 0x3
	global_load_b64 v[19:20], v[9:10], off offset:-1024
	global_load_b64 v[33:34], v[9:10], off offset:-512
	global_load_b64 v[35:36], v[9:10], off
	global_load_b64 v[37:38], v[9:10], off offset:512
	s_clause 0x3
	global_load_b128 v[11:14], v[7:8], off
	global_load_b128 v[15:18], v[7:8], off offset:1024
	global_load_b128 v[25:28], v[7:8], off offset:2048
	;; [unrolled: 1-line block ×3, first 2 shown]
	v_add_co_u32 v7, vcc_lo, 0x1000, v7
	v_add_co_ci_u32_e32 v8, vcc_lo, 0, v8, vcc_lo
	v_add_co_u32 v0, vcc_lo, 0x100, v0
	v_add_co_ci_u32_e32 v1, vcc_lo, 0, v1, vcc_lo
	;; [unrolled: 2-line block ×3, first 2 shown]
	s_waitcnt vmcnt(7)
	v_sub_co_u32 v19, vcc_lo, v19, s20
	v_subrev_co_ci_u32_e32 v20, vcc_lo, s3, v20, vcc_lo
	s_waitcnt vmcnt(3)
	v_bfe_i32 v39, v11, 0, 8
	v_lshrrev_b32_e32 v40, 8, v11
	v_lshrrev_b32_e32 v41, 16, v11
	;; [unrolled: 1-line block ×3, first 2 shown]
	v_sub_co_u32 v11, vcc_lo, v33, s20
	v_bfe_i32 v43, v12, 0, 8
	v_lshrrev_b32_e32 v44, 8, v12
	v_lshrrev_b32_e32 v45, 16, v12
	;; [unrolled: 1-line block ×3, first 2 shown]
	v_subrev_co_ci_u32_e32 v12, vcc_lo, s3, v34, vcc_lo
	v_sub_co_u32 v33, vcc_lo, v35, s20
	v_lshlrev_b64 v[19:20], 2, v[19:20]
	v_subrev_co_ci_u32_e32 v34, vcc_lo, s3, v36, vcc_lo
	v_sub_co_u32 v35, vcc_lo, v37, s20
	v_lshlrev_b64 v[11:12], 2, v[11:12]
	v_subrev_co_ci_u32_e32 v36, vcc_lo, s3, v38, vcc_lo
	s_delay_alu instid0(VALU_DEP_4) | instskip(SKIP_2) | instid1(VALU_DEP_4)
	v_lshlrev_b64 v[33:34], 2, v[33:34]
	v_add_co_u32 v19, vcc_lo, s4, v19
	v_add_co_ci_u32_e32 v20, vcc_lo, s5, v20, vcc_lo
	v_lshlrev_b64 v[35:36], 2, v[35:36]
	v_add_co_u32 v11, vcc_lo, s4, v11
	v_add_co_ci_u32_e32 v12, vcc_lo, s5, v12, vcc_lo
	v_add_co_u32 v33, vcc_lo, s4, v33
	v_add_co_ci_u32_e32 v34, vcc_lo, s5, v34, vcc_lo
	;; [unrolled: 2-line block ×3, first 2 shown]
	s_clause 0x3
	global_load_b32 v19, v[19:20], off
	global_load_b32 v11, v[11:12], off
	;; [unrolled: 1-line block ×4, first 2 shown]
	v_bfe_i32 v41, v41, 0, 8
	v_lshrrev_b32_e32 v49, 16, v13
	v_bfe_i32 v40, v40, 0, 8
	v_bfe_i32 v42, v42, 0, 8
	;; [unrolled: 1-line block ×6, first 2 shown]
	v_lshrrev_b32_e32 v48, 8, v13
	v_lshrrev_b32_e32 v13, 24, v13
	v_lshrrev_b32_e32 v52, 16, v14
	v_bfe_i32 v44, v44, 0, 8
	v_bfe_i32 v46, v46, 0, 8
	;; [unrolled: 1-line block ×4, first 2 shown]
	v_cvt_f32_i32_e32 v39, v39
	v_bfe_i32 v40, v40, 0, 16
	v_bfe_i32 v42, v42, 0, 16
	;; [unrolled: 1-line block ×3, first 2 shown]
	v_cvt_f32_i32_e32 v41, v41
	v_bfe_i32 v50, v14, 0, 8
	v_lshrrev_b32_e32 v51, 8, v14
	v_lshrrev_b32_e32 v14, 24, v14
	s_waitcnt vmcnt(6)
	v_lshrrev_b32_e32 v35, 16, v15
	v_bfe_i32 v13, v13, 0, 8
	v_bfe_i32 v52, v52, 0, 8
	;; [unrolled: 1-line block ×3, first 2 shown]
	v_cvt_f32_i32_e32 v43, v43
	v_bfe_i32 v44, v44, 0, 16
	v_bfe_i32 v46, v46, 0, 16
	;; [unrolled: 1-line block ×3, first 2 shown]
	v_cvt_f32_i32_e32 v40, v40
	v_cvt_f32_i32_e32 v42, v42
	;; [unrolled: 1-line block ×3, first 2 shown]
	v_bfe_i32 v33, v15, 0, 8
	v_lshrrev_b32_e32 v34, 8, v15
	v_lshrrev_b32_e32 v15, 24, v15
	;; [unrolled: 1-line block ×3, first 2 shown]
	v_bfe_i32 v48, v48, 0, 8
	v_bfe_i32 v51, v51, 0, 8
	;; [unrolled: 1-line block ×5, first 2 shown]
	v_cvt_f32_i32_e32 v47, v47
	v_bfe_i32 v13, v13, 0, 16
	v_bfe_i32 v52, v52, 0, 16
	v_cvt_f32_i32_e32 v44, v44
	v_cvt_f32_i32_e32 v46, v46
	v_cvt_f32_i32_e32 v49, v49
	v_bfe_i32 v36, v16, 0, 8
	v_lshrrev_b32_e32 v37, 8, v16
	v_lshrrev_b32_e32 v16, 24, v16
	v_bfe_i32 v15, v15, 0, 8
	v_bfe_i32 v38, v38, 0, 8
	;; [unrolled: 1-line block ×4, first 2 shown]
	v_cvt_f32_i32_e32 v50, v50
	v_bfe_i32 v51, v51, 0, 16
	v_bfe_i32 v14, v14, 0, 16
	;; [unrolled: 1-line block ×3, first 2 shown]
	v_cvt_f32_i32_e32 v13, v13
	v_cvt_f32_i32_e32 v52, v52
	v_bfe_i32 v53, v17, 0, 8
	v_lshrrev_b32_e32 v54, 8, v17
	v_lshrrev_b32_e32 v55, 16, v17
	;; [unrolled: 1-line block ×3, first 2 shown]
	s_waitcnt vmcnt(4)
	v_lshrrev_b32_e32 v79, 16, v31
	v_bfe_i32 v34, v34, 0, 8
	v_bfe_i32 v37, v37, 0, 8
	;; [unrolled: 1-line block ×4, first 2 shown]
	v_cvt_f32_i32_e32 v33, v33
	v_bfe_i32 v15, v15, 0, 16
	v_bfe_i32 v38, v38, 0, 16
	v_cvt_f32_i32_e32 v48, v48
	v_cvt_f32_i32_e32 v51, v51
	v_cvt_f32_i32_e32 v14, v14
	v_cvt_f32_i32_e32 v35, v35
	v_bfe_i32 v56, v18, 0, 8
	v_lshrrev_b32_e32 v57, 8, v18
	v_lshrrev_b32_e32 v58, 16, v18
	v_lshrrev_b32_e32 v18, 24, v18
	v_bfe_i32 v59, v25, 0, 8
	v_lshrrev_b32_e32 v60, 8, v25
	v_lshrrev_b32_e32 v61, 16, v25
	;; [unrolled: 1-line block ×3, first 2 shown]
	v_bfe_i32 v55, v55, 0, 8
	v_bfe_i32 v17, v17, 0, 8
	;; [unrolled: 1-line block ×5, first 2 shown]
	v_cvt_f32_i32_e32 v36, v36
	v_bfe_i32 v37, v37, 0, 16
	v_bfe_i32 v16, v16, 0, 16
	v_cvt_f32_i32_e32 v15, v15
	v_cvt_f32_i32_e32 v38, v38
	v_lshrrev_b32_e32 v72, 8, v29
	v_bfe_i32 v54, v54, 0, 8
	v_bfe_i32 v58, v58, 0, 8
	;; [unrolled: 1-line block ×6, first 2 shown]
	v_cvt_f32_i32_e32 v53, v53
	v_bfe_i32 v55, v55, 0, 16
	v_bfe_i32 v17, v17, 0, 16
	;; [unrolled: 1-line block ×3, first 2 shown]
	v_cvt_f32_i32_e32 v34, v34
	v_cvt_f32_i32_e32 v37, v37
	v_cvt_f32_i32_e32 v16, v16
	v_bfe_i32 v62, v26, 0, 8
	v_lshrrev_b32_e32 v63, 8, v26
	v_lshrrev_b32_e32 v64, 16, v26
	;; [unrolled: 1-line block ×3, first 2 shown]
	v_bfe_i32 v71, v29, 0, 8
	v_bfe_i32 v77, v31, 0, 8
	v_lshrrev_b32_e32 v78, 8, v31
	v_lshrrev_b32_e32 v31, 24, v31
	v_bfe_i32 v57, v57, 0, 8
	v_bfe_i32 v61, v61, 0, 8
	v_bfe_i32 v59, v59, 0, 16
	v_bfe_i32 v72, v72, 0, 8
	v_bfe_i32 v54, v54, 0, 16
	v_cvt_f32_i32_e32 v56, v56
	v_bfe_i32 v58, v58, 0, 16
	v_bfe_i32 v18, v18, 0, 16
	;; [unrolled: 1-line block ×4, first 2 shown]
	v_cvt_f32_i32_e32 v55, v55
	v_cvt_f32_i32_e32 v17, v17
	;; [unrolled: 1-line block ×3, first 2 shown]
	v_bfe_i32 v65, v27, 0, 8
	v_lshrrev_b32_e32 v66, 8, v27
	v_lshrrev_b32_e32 v67, 16, v27
	;; [unrolled: 1-line block ×3, first 2 shown]
	v_bfe_i32 v64, v64, 0, 8
	v_bfe_i32 v26, v26, 0, 8
	;; [unrolled: 1-line block ×5, first 2 shown]
	v_cvt_f32_i32_e32 v59, v59
	v_bfe_i32 v61, v61, 0, 16
	v_bfe_i32 v72, v72, 0, 16
	v_cvt_f32_i32_e32 v54, v54
	v_cvt_f32_i32_e32 v58, v58
	;; [unrolled: 1-line block ×5, first 2 shown]
	v_bfe_i32 v68, v28, 0, 8
	v_lshrrev_b32_e32 v69, 8, v28
	v_lshrrev_b32_e32 v70, 16, v28
	;; [unrolled: 1-line block ×5, first 2 shown]
	v_bfe_i32 v63, v63, 0, 8
	v_bfe_i32 v67, v67, 0, 8
	;; [unrolled: 1-line block ×5, first 2 shown]
	v_cvt_f32_i32_e32 v71, v71
	v_bfe_i32 v31, v31, 0, 16
	v_cvt_f32_i32_e32 v57, v57
	v_cvt_f32_i32_e32 v61, v61
	;; [unrolled: 1-line block ×3, first 2 shown]
	v_bfe_i32 v70, v70, 0, 8
	v_bfe_i32 v28, v28, 0, 8
	v_bfe_i32 v62, v62, 0, 16
	v_bfe_i32 v73, v73, 0, 8
	v_bfe_i32 v29, v29, 0, 8
	v_bfe_i32 v78, v78, 0, 8
	v_bfe_i32 v77, v77, 0, 16
	v_bfe_i32 v63, v63, 0, 16
	v_bfe_i32 v67, v67, 0, 16
	v_bfe_i32 v27, v27, 0, 16
	v_cvt_f32_i32_e32 v64, v64
	v_cvt_f32_i32_e32 v26, v26
	;; [unrolled: 1-line block ×3, first 2 shown]
	v_bfe_i32 v66, v66, 0, 8
	v_cvt_f32_i32_e32 v62, v62
	v_bfe_i32 v70, v70, 0, 16
	v_bfe_i32 v28, v28, 0, 16
	;; [unrolled: 1-line block ×4, first 2 shown]
	v_cvt_f32_i32_e32 v77, v77
	v_bfe_i32 v78, v78, 0, 16
	v_cvt_f32_i32_e32 v63, v63
	v_cvt_f32_i32_e32 v67, v67
	;; [unrolled: 1-line block ×3, first 2 shown]
	v_bfe_i32 v69, v69, 0, 8
	v_bfe_i32 v65, v65, 0, 16
	;; [unrolled: 1-line block ×3, first 2 shown]
	v_cvt_f32_i32_e32 v70, v70
	v_cvt_f32_i32_e32 v28, v28
	;; [unrolled: 1-line block ×5, first 2 shown]
	v_bfe_i32 v74, v30, 0, 8
	v_lshrrev_b32_e32 v75, 8, v30
	v_lshrrev_b32_e32 v76, 16, v30
	;; [unrolled: 1-line block ×3, first 2 shown]
	v_bfe_i32 v68, v68, 0, 16
	v_cvt_f32_i32_e32 v65, v65
	v_bfe_i32 v69, v69, 0, 16
	v_cvt_f32_i32_e32 v66, v66
	v_bfe_i32 v75, v75, 0, 8
	v_bfe_i32 v76, v76, 0, 8
	;; [unrolled: 1-line block ×3, first 2 shown]
	v_cvt_f32_i32_e32 v68, v68
	v_cvt_f32_i32_e32 v69, v69
	v_bfe_i32 v80, v32, 0, 8
	v_lshrrev_b32_e32 v81, 8, v32
	v_lshrrev_b32_e32 v82, 16, v32
	;; [unrolled: 1-line block ×3, first 2 shown]
	v_bfe_i32 v74, v74, 0, 16
	v_bfe_i32 v75, v75, 0, 16
	;; [unrolled: 1-line block ×7, first 2 shown]
	v_cvt_f32_i32_e32 v74, v74
	v_cvt_f32_i32_e32 v75, v75
	;; [unrolled: 1-line block ×4, first 2 shown]
	v_bfe_i32 v80, v80, 0, 16
	v_bfe_i32 v81, v81, 0, 16
	;; [unrolled: 1-line block ×4, first 2 shown]
	v_cmp_ge_i64_e32 vcc_lo, v[0:1], v[5:6]
	v_cvt_f32_i32_e32 v80, v80
	v_cvt_f32_i32_e32 v81, v81
	;; [unrolled: 1-line block ×4, first 2 shown]
	s_or_b32 s7, vcc_lo, s7
	s_waitcnt vmcnt(3)
	v_bfe_i32 v84, v19, 0, 8
	v_lshrrev_b32_e32 v85, 8, v19
	v_lshrrev_b32_e32 v83, 16, v19
	;; [unrolled: 1-line block ×3, first 2 shown]
	s_waitcnt vmcnt(2)
	v_bfe_i32 v87, v11, 0, 8
	v_bfe_i32 v84, v84, 0, 16
	;; [unrolled: 1-line block ×5, first 2 shown]
	v_lshrrev_b32_e32 v88, 8, v11
	v_cvt_f32_i32_e32 v84, v84
	v_bfe_i32 v85, v85, 0, 16
	v_bfe_i32 v83, v83, 0, 16
	;; [unrolled: 1-line block ×3, first 2 shown]
	v_lshrrev_b32_e32 v86, 16, v11
	v_fmac_f32_e32 v23, v41, v84
	v_fmac_f32_e32 v22, v39, v84
	v_cvt_f32_i32_e32 v39, v85
	v_fmac_f32_e32 v21, v42, v84
	v_fmac_f32_e32 v24, v40, v84
	v_cvt_f32_i32_e32 v40, v83
	v_bfe_i32 v88, v88, 0, 8
	v_fmac_f32_e32 v23, v45, v39
	v_fmac_f32_e32 v21, v46, v39
	;; [unrolled: 1-line block ×3, first 2 shown]
	v_bfe_i32 v87, v87, 0, 16
	v_cvt_f32_i32_e32 v19, v19
	v_fmac_f32_e32 v23, v49, v40
	v_lshrrev_b32_e32 v11, 24, v11
	v_fmac_f32_e32 v22, v47, v40
	v_bfe_i32 v86, v86, 0, 8
	v_cvt_f32_i32_e32 v87, v87
	v_fmac_f32_e32 v23, v52, v19
	v_bfe_i32 v88, v88, 0, 16
	v_dual_fmac_f32 v24, v44, v39 :: v_dual_fmac_f32 v21, v13, v40
	v_fmac_f32_e32 v22, v50, v19
	v_bfe_i32 v11, v11, 0, 8
	v_bfe_i32 v86, v86, 0, 16
	s_delay_alu instid0(VALU_DEP_4)
	v_dual_fmac_f32 v24, v48, v40 :: v_dual_fmac_f32 v21, v14, v19
	v_cvt_f32_i32_e32 v14, v88
	v_fmac_f32_e32 v23, v35, v87
	v_fmac_f32_e32 v22, v33, v87
	s_waitcnt vmcnt(1)
	v_bfe_i32 v90, v12, 0, 8
	v_bfe_i32 v11, v11, 0, 16
	v_dual_fmac_f32 v24, v51, v19 :: v_dual_fmac_f32 v23, v38, v14
	v_fmac_f32_e32 v21, v15, v87
	v_cvt_f32_i32_e32 v15, v86
	v_fmac_f32_e32 v22, v36, v14
	v_lshrrev_b32_e32 v91, 8, v12
	s_waitcnt vmcnt(0)
	v_bfe_i32 v93, v20, 0, 8
	v_bfe_i32 v90, v90, 0, 16
	v_dual_fmac_f32 v24, v34, v87 :: v_dual_fmac_f32 v21, v16, v14
	v_cvt_f32_i32_e32 v11, v11
	v_fmac_f32_e32 v22, v53, v15
	v_lshrrev_b32_e32 v89, 16, v12
	v_bfe_i32 v91, v91, 0, 8
	v_bfe_i32 v93, v93, 0, 16
	v_cvt_f32_i32_e32 v90, v90
	v_dual_fmac_f32 v24, v37, v14 :: v_dual_fmac_f32 v23, v55, v15
	v_fmac_f32_e32 v22, v56, v11
	v_fmac_f32_e32 v21, v17, v15
	v_lshrrev_b32_e32 v12, 24, v12
	v_bfe_i32 v89, v89, 0, 8
	v_bfe_i32 v91, v91, 0, 16
	v_fmac_f32_e32 v22, v59, v90
	v_cvt_f32_i32_e32 v93, v93
	v_fmac_f32_e32 v23, v58, v11
	v_fmac_f32_e32 v24, v54, v15
	v_fmac_f32_e32 v21, v18, v11
	v_bfe_i32 v12, v12, 0, 8
	v_bfe_i32 v89, v89, 0, 16
	v_fmac_f32_e32 v23, v61, v90
	v_fmac_f32_e32 v24, v57, v11
	v_cvt_f32_i32_e32 v11, v91
	v_fmac_f32_e32 v21, v25, v90
	v_bfe_i32 v12, v12, 0, 16
	v_cvt_f32_i32_e32 v15, v89
	v_fmac_f32_e32 v24, v60, v90
	v_fmac_f32_e32 v23, v64, v11
	;; [unrolled: 1-line block ×4, first 2 shown]
	v_lshrrev_b32_e32 v94, 8, v20
	v_fmac_f32_e32 v24, v63, v11
	v_cvt_f32_i32_e32 v11, v12
	v_fmac_f32_e32 v23, v67, v15
	v_fmac_f32_e32 v21, v27, v15
	v_lshrrev_b32_e32 v92, 16, v20
	v_bfe_i32 v94, v94, 0, 8
	v_lshrrev_b32_e32 v20, 24, v20
	v_fmac_f32_e32 v23, v70, v11
	v_fmac_f32_e32 v21, v28, v11
	v_bfe_i32 v92, v92, 0, 8
	v_bfe_i32 v13, v94, 0, 16
	;; [unrolled: 1-line block ×3, first 2 shown]
	v_fmac_f32_e32 v23, v73, v93
	v_fmac_f32_e32 v22, v65, v15
	v_dual_fmac_f32 v21, v29, v93 :: v_dual_fmac_f32 v24, v66, v15
	v_bfe_i32 v14, v92, 0, 16
	v_bfe_i32 v12, v20, 0, 16
	s_delay_alu instid0(VALU_DEP_4) | instskip(NEXT) | instid1(VALU_DEP_4)
	v_fmac_f32_e32 v22, v68, v11
	v_fmac_f32_e32 v24, v69, v11
	v_cvt_f32_i32_e32 v11, v13
	v_cvt_f32_i32_e32 v13, v14
	s_delay_alu instid0(VALU_DEP_4) | instskip(NEXT) | instid1(VALU_DEP_4)
	v_fmac_f32_e32 v22, v71, v93
	v_fmac_f32_e32 v24, v72, v93
	s_delay_alu instid0(VALU_DEP_4) | instskip(SKIP_1) | instid1(VALU_DEP_4)
	v_fmac_f32_e32 v23, v76, v11
	v_fmac_f32_e32 v21, v30, v11
	;; [unrolled: 1-line block ×3, first 2 shown]
	s_delay_alu instid0(VALU_DEP_4) | instskip(SKIP_2) | instid1(VALU_DEP_4)
	v_fmac_f32_e32 v24, v75, v11
	v_cvt_f32_i32_e32 v11, v12
	v_fmac_f32_e32 v23, v79, v13
	v_fmac_f32_e32 v22, v77, v13
	;; [unrolled: 1-line block ×4, first 2 shown]
	s_delay_alu instid0(VALU_DEP_4) | instskip(NEXT) | instid1(VALU_DEP_4)
	v_fmac_f32_e32 v23, v82, v11
	v_fmac_f32_e32 v22, v80, v11
	s_delay_alu instid0(VALU_DEP_4) | instskip(NEXT) | instid1(VALU_DEP_4)
	v_fmac_f32_e32 v21, v32, v11
	v_fmac_f32_e32 v24, v81, v11
	s_and_not1_b32 exec_lo, exec_lo, s7
	s_cbranch_execnz .LBB89_35
; %bb.36:
	s_or_b32 exec_lo, exec_lo, s7
.LBB89_37:
	s_delay_alu instid0(SALU_CYCLE_1)
	s_or_b32 exec_lo, exec_lo, s2
.LBB89_38:
	s_delay_alu instid0(SALU_CYCLE_1)
	s_or_b32 exec_lo, exec_lo, s6
.LBB89_39:
	v_mbcnt_lo_u32_b32 v0, -1, 0
	s_mov_b32 s2, -1
	s_delay_alu instid0(VALU_DEP_1) | instskip(SKIP_2) | instid1(VALU_DEP_3)
	v_or_b32_e32 v1, 32, v0
	v_xor_b32_e32 v8, 16, v0
	v_xor_b32_e32 v12, 8, v0
	v_cmp_gt_i32_e32 vcc_lo, 32, v1
	v_cndmask_b32_e32 v1, v0, v1, vcc_lo
	s_delay_alu instid0(VALU_DEP_4) | instskip(SKIP_2) | instid1(VALU_DEP_2)
	v_cmp_gt_i32_e32 vcc_lo, 32, v8
	v_cndmask_b32_e32 v8, v0, v8, vcc_lo
	v_cmp_gt_i32_e32 vcc_lo, 32, v12
	v_lshlrev_b32_e32 v8, 2, v8
	v_dual_cndmask_b32 v12, v0, v12 :: v_dual_lshlrev_b32 v1, 2, v1
	ds_bpermute_b32 v6, v1, v24
	v_lshlrev_b32_e32 v12, 2, v12
	s_waitcnt lgkmcnt(0)
	v_add_f32_e32 v6, v24, v6
	ds_bpermute_b32 v5, v1, v22
	ds_bpermute_b32 v7, v1, v23
	ds_bpermute_b32 v1, v1, v21
	ds_bpermute_b32 v10, v8, v6
	s_waitcnt lgkmcnt(3)
	v_add_f32_e32 v5, v22, v5
	s_waitcnt lgkmcnt(2)
	v_add_f32_e32 v7, v23, v7
	s_waitcnt lgkmcnt(0)
	v_dual_add_f32 v1, v21, v1 :: v_dual_add_f32 v6, v6, v10
	ds_bpermute_b32 v9, v8, v5
	ds_bpermute_b32 v11, v8, v7
	;; [unrolled: 1-line block ×3, first 2 shown]
	s_waitcnt lgkmcnt(2)
	v_add_f32_e32 v5, v5, v9
	s_waitcnt lgkmcnt(1)
	v_add_f32_e32 v7, v7, v11
	ds_bpermute_b32 v9, v12, v6
	s_waitcnt lgkmcnt(1)
	v_add_f32_e32 v1, v1, v8
	ds_bpermute_b32 v8, v12, v5
	ds_bpermute_b32 v10, v12, v7
	s_waitcnt lgkmcnt(2)
	v_add_f32_e32 v6, v6, v9
	ds_bpermute_b32 v11, v12, v1
	v_xor_b32_e32 v12, 4, v0
	s_delay_alu instid0(VALU_DEP_1) | instskip(SKIP_3) | instid1(VALU_DEP_1)
	v_cmp_gt_i32_e32 vcc_lo, 32, v12
	s_waitcnt lgkmcnt(1)
	v_dual_cndmask_b32 v12, v0, v12 :: v_dual_add_f32 v7, v7, v10
	s_waitcnt lgkmcnt(0)
	v_dual_add_f32 v1, v1, v11 :: v_dual_lshlrev_b32 v12, 2, v12
	ds_bpermute_b32 v9, v12, v6
	v_add_f32_e32 v5, v5, v8
	ds_bpermute_b32 v10, v12, v7
	ds_bpermute_b32 v11, v12, v1
	s_waitcnt lgkmcnt(2)
	v_add_f32_e32 v6, v6, v9
	ds_bpermute_b32 v8, v12, v5
	v_xor_b32_e32 v12, 2, v0
	s_waitcnt lgkmcnt(2)
	v_add_f32_e32 v7, v7, v10
	s_delay_alu instid0(VALU_DEP_2) | instskip(SKIP_1) | instid1(VALU_DEP_1)
	v_cmp_gt_i32_e32 vcc_lo, 32, v12
	v_cndmask_b32_e32 v12, v0, v12, vcc_lo
	v_lshlrev_b32_e32 v12, 2, v12
	s_waitcnt lgkmcnt(0)
	v_add_f32_e32 v5, v5, v8
	ds_bpermute_b32 v9, v12, v6
	v_add_f32_e32 v8, v1, v11
	ds_bpermute_b32 v10, v12, v7
	ds_bpermute_b32 v1, v12, v5
	;; [unrolled: 1-line block ×3, first 2 shown]
	v_xor_b32_e32 v12, 1, v0
	s_delay_alu instid0(VALU_DEP_1) | instskip(SKIP_2) | instid1(VALU_DEP_2)
	v_cmp_gt_i32_e32 vcc_lo, 32, v12
	v_cndmask_b32_e32 v0, v0, v12, vcc_lo
	v_cmp_eq_u32_e32 vcc_lo, 63, v2
	v_lshlrev_b32_e32 v12, 2, v0
	s_waitcnt lgkmcnt(1)
	v_dual_add_f32 v0, v5, v1 :: v_dual_add_f32 v5, v7, v10
	s_waitcnt lgkmcnt(0)
	v_dual_add_f32 v1, v6, v9 :: v_dual_add_f32 v6, v8, v11
	ds_bpermute_b32 v7, v12, v0
	ds_bpermute_b32 v9, v12, v5
	;; [unrolled: 1-line block ×4, first 2 shown]
	s_and_b32 exec_lo, exec_lo, vcc_lo
	s_cbranch_execz .LBB89_10
; %bb.40:
	s_load_b64 s[0:1], s[0:1], 0x58
	s_waitcnt lgkmcnt(0)
	v_dual_add_f32 v0, v0, v7 :: v_dual_add_f32 v1, v1, v8
	v_add_f32_e32 v6, v6, v10
	v_cmp_eq_f32_e64 s3, s12, 0
	s_delay_alu instid0(VALU_DEP_3) | instskip(SKIP_4) | instid1(VALU_DEP_3)
	v_dual_mul_f32 v0, s16, v0 :: v_dual_mul_f32 v1, s16, v1
	v_add_f32_e32 v2, v5, v9
	v_lshlrev_b64 v[4:5], 4, v[3:4]
	v_mul_f32_e32 v3, s16, v6
	s_and_b32 vcc_lo, exec_lo, s3
	v_mul_f32_e32 v2, s16, v2
	s_cbranch_vccz .LBB89_42
; %bb.41:
	s_delay_alu instid0(VALU_DEP_3)
	v_add_co_u32 v6, vcc_lo, s0, v4
	v_add_co_ci_u32_e32 v7, vcc_lo, s1, v5, vcc_lo
	s_mov_b32 s2, 0
	global_store_b128 v[6:7], v[0:3], off
.LBB89_42:
	s_and_not1_b32 vcc_lo, exec_lo, s2
	s_cbranch_vccnz .LBB89_10
; %bb.43:
	v_add_co_u32 v8, vcc_lo, s0, v4
	v_add_co_ci_u32_e32 v9, vcc_lo, s1, v5, vcc_lo
	global_load_b128 v[4:7], v[8:9], off
	s_waitcnt vmcnt(0)
	v_dual_fmac_f32 v0, s12, v4 :: v_dual_fmac_f32 v1, s12, v5
	v_dual_fmac_f32 v2, s12, v6 :: v_dual_fmac_f32 v3, s12, v7
	global_store_b128 v[8:9], v[0:3], off
	s_nop 0
	s_sendmsg sendmsg(MSG_DEALLOC_VGPRS)
	s_endpgm
	.section	.rodata,"a",@progbits
	.p2align	6, 0x0
	.amdhsa_kernel _ZN9rocsparseL18bsrxmvn_4x4_kernelILj128ELj64EfllaafEEvT3_20rocsparse_direction_NS_24const_host_device_scalarIT1_EES1_PKS1_PKT2_SA_S7_PKT4_PKT5_S5_PT6_21rocsparse_index_base_b
		.amdhsa_group_segment_fixed_size 0
		.amdhsa_private_segment_fixed_size 0
		.amdhsa_kernarg_size 104
		.amdhsa_user_sgpr_count 15
		.amdhsa_user_sgpr_dispatch_ptr 0
		.amdhsa_user_sgpr_queue_ptr 0
		.amdhsa_user_sgpr_kernarg_segment_ptr 1
		.amdhsa_user_sgpr_dispatch_id 0
		.amdhsa_user_sgpr_private_segment_size 0
		.amdhsa_wavefront_size32 1
		.amdhsa_uses_dynamic_stack 0
		.amdhsa_enable_private_segment 0
		.amdhsa_system_sgpr_workgroup_id_x 1
		.amdhsa_system_sgpr_workgroup_id_y 0
		.amdhsa_system_sgpr_workgroup_id_z 0
		.amdhsa_system_sgpr_workgroup_info 0
		.amdhsa_system_vgpr_workitem_id 0
		.amdhsa_next_free_vgpr 101
		.amdhsa_next_free_sgpr 22
		.amdhsa_reserve_vcc 1
		.amdhsa_float_round_mode_32 0
		.amdhsa_float_round_mode_16_64 0
		.amdhsa_float_denorm_mode_32 3
		.amdhsa_float_denorm_mode_16_64 3
		.amdhsa_dx10_clamp 1
		.amdhsa_ieee_mode 1
		.amdhsa_fp16_overflow 0
		.amdhsa_workgroup_processor_mode 1
		.amdhsa_memory_ordered 1
		.amdhsa_forward_progress 0
		.amdhsa_shared_vgpr_count 0
		.amdhsa_exception_fp_ieee_invalid_op 0
		.amdhsa_exception_fp_denorm_src 0
		.amdhsa_exception_fp_ieee_div_zero 0
		.amdhsa_exception_fp_ieee_overflow 0
		.amdhsa_exception_fp_ieee_underflow 0
		.amdhsa_exception_fp_ieee_inexact 0
		.amdhsa_exception_int_div_zero 0
	.end_amdhsa_kernel
	.section	.text._ZN9rocsparseL18bsrxmvn_4x4_kernelILj128ELj64EfllaafEEvT3_20rocsparse_direction_NS_24const_host_device_scalarIT1_EES1_PKS1_PKT2_SA_S7_PKT4_PKT5_S5_PT6_21rocsparse_index_base_b,"axG",@progbits,_ZN9rocsparseL18bsrxmvn_4x4_kernelILj128ELj64EfllaafEEvT3_20rocsparse_direction_NS_24const_host_device_scalarIT1_EES1_PKS1_PKT2_SA_S7_PKT4_PKT5_S5_PT6_21rocsparse_index_base_b,comdat
.Lfunc_end89:
	.size	_ZN9rocsparseL18bsrxmvn_4x4_kernelILj128ELj64EfllaafEEvT3_20rocsparse_direction_NS_24const_host_device_scalarIT1_EES1_PKS1_PKT2_SA_S7_PKT4_PKT5_S5_PT6_21rocsparse_index_base_b, .Lfunc_end89-_ZN9rocsparseL18bsrxmvn_4x4_kernelILj128ELj64EfllaafEEvT3_20rocsparse_direction_NS_24const_host_device_scalarIT1_EES1_PKS1_PKT2_SA_S7_PKT4_PKT5_S5_PT6_21rocsparse_index_base_b
                                        ; -- End function
	.section	.AMDGPU.csdata,"",@progbits
; Kernel info:
; codeLenInByte = 8272
; NumSgprs: 24
; NumVgprs: 101
; ScratchSize: 0
; MemoryBound: 0
; FloatMode: 240
; IeeeMode: 1
; LDSByteSize: 0 bytes/workgroup (compile time only)
; SGPRBlocks: 2
; VGPRBlocks: 12
; NumSGPRsForWavesPerEU: 24
; NumVGPRsForWavesPerEU: 101
; Occupancy: 12
; WaveLimiterHint : 1
; COMPUTE_PGM_RSRC2:SCRATCH_EN: 0
; COMPUTE_PGM_RSRC2:USER_SGPR: 15
; COMPUTE_PGM_RSRC2:TRAP_HANDLER: 0
; COMPUTE_PGM_RSRC2:TGID_X_EN: 1
; COMPUTE_PGM_RSRC2:TGID_Y_EN: 0
; COMPUTE_PGM_RSRC2:TGID_Z_EN: 0
; COMPUTE_PGM_RSRC2:TIDIG_COMP_CNT: 0
	.section	.text._ZN9rocsparseL18bsrxmvn_4x4_kernelILj128ELj4EfiiDF16_DF16_fEEvT3_20rocsparse_direction_NS_24const_host_device_scalarIT1_EES1_PKS1_PKT2_SA_S7_PKT4_PKT5_S5_PT6_21rocsparse_index_base_b,"axG",@progbits,_ZN9rocsparseL18bsrxmvn_4x4_kernelILj128ELj4EfiiDF16_DF16_fEEvT3_20rocsparse_direction_NS_24const_host_device_scalarIT1_EES1_PKS1_PKT2_SA_S7_PKT4_PKT5_S5_PT6_21rocsparse_index_base_b,comdat
	.globl	_ZN9rocsparseL18bsrxmvn_4x4_kernelILj128ELj4EfiiDF16_DF16_fEEvT3_20rocsparse_direction_NS_24const_host_device_scalarIT1_EES1_PKS1_PKT2_SA_S7_PKT4_PKT5_S5_PT6_21rocsparse_index_base_b ; -- Begin function _ZN9rocsparseL18bsrxmvn_4x4_kernelILj128ELj4EfiiDF16_DF16_fEEvT3_20rocsparse_direction_NS_24const_host_device_scalarIT1_EES1_PKS1_PKT2_SA_S7_PKT4_PKT5_S5_PT6_21rocsparse_index_base_b
	.p2align	8
	.type	_ZN9rocsparseL18bsrxmvn_4x4_kernelILj128ELj4EfiiDF16_DF16_fEEvT3_20rocsparse_direction_NS_24const_host_device_scalarIT1_EES1_PKS1_PKT2_SA_S7_PKT4_PKT5_S5_PT6_21rocsparse_index_base_b,@function
_ZN9rocsparseL18bsrxmvn_4x4_kernelILj128ELj4EfiiDF16_DF16_fEEvT3_20rocsparse_direction_NS_24const_host_device_scalarIT1_EES1_PKS1_PKT2_SA_S7_PKT4_PKT5_S5_PT6_21rocsparse_index_base_b: ; @_ZN9rocsparseL18bsrxmvn_4x4_kernelILj128ELj4EfiiDF16_DF16_fEEvT3_20rocsparse_direction_NS_24const_host_device_scalarIT1_EES1_PKS1_PKT2_SA_S7_PKT4_PKT5_S5_PT6_21rocsparse_index_base_b
; %bb.0:
	s_clause 0x2
	s_load_b64 s[18:19], s[0:1], 0x58
	s_load_b64 s[16:17], s[0:1], 0x8
	s_load_b64 s[12:13], s[0:1], 0x48
	s_waitcnt lgkmcnt(0)
	s_bitcmp1_b32 s19, 0
	s_cselect_b32 s2, -1, 0
	s_delay_alu instid0(SALU_CYCLE_1)
	s_and_b32 vcc_lo, exec_lo, s2
	s_xor_b32 s2, s2, -1
	s_cbranch_vccnz .LBB90_2
; %bb.1:
	s_load_b32 s16, s[16:17], 0x0
.LBB90_2:
	s_and_not1_b32 vcc_lo, exec_lo, s2
	s_cbranch_vccnz .LBB90_4
; %bb.3:
	s_load_b32 s12, s[12:13], 0x0
.LBB90_4:
	s_waitcnt lgkmcnt(0)
	v_cmp_neq_f32_e64 s2, s16, 0
	v_cmp_neq_f32_e64 s3, s12, 1.0
	s_mov_b32 s6, 0
	s_delay_alu instid0(VALU_DEP_1) | instskip(NEXT) | instid1(SALU_CYCLE_1)
	s_or_b32 s2, s2, s3
	s_and_not1_b32 vcc_lo, exec_lo, s2
	s_cbranch_vccnz .LBB90_10
; %bb.5:
	s_clause 0x1
	s_load_b64 s[4:5], s[0:1], 0x18
	s_load_b64 s[2:3], s[0:1], 0x0
	v_lshrrev_b32_e32 v1, 2, v0
	s_delay_alu instid0(VALU_DEP_1)
	v_lshl_or_b32 v4, s15, 5, v1
	s_waitcnt lgkmcnt(0)
	s_cmp_lg_u64 s[4:5], 0
	s_cbranch_scc0 .LBB90_11
; %bb.6:
	s_load_b32 s6, s[0:1], 0x10
	s_mov_b32 s7, 0
                                        ; implicit-def: $vgpr1
	s_waitcnt lgkmcnt(0)
	v_cmp_gt_i32_e32 vcc_lo, s6, v4
	s_mov_b32 s6, 0
	s_and_saveexec_b32 s8, vcc_lo
	s_delay_alu instid0(SALU_CYCLE_1)
	s_xor_b32 s8, exec_lo, s8
	s_cbranch_execz .LBB90_8
; %bb.7:
	v_ashrrev_i32_e32 v5, 31, v4
	s_mov_b32 s6, exec_lo
	s_delay_alu instid0(VALU_DEP_1) | instskip(NEXT) | instid1(VALU_DEP_1)
	v_lshlrev_b64 v[1:2], 2, v[4:5]
	v_add_co_u32 v1, vcc_lo, s4, v1
	s_delay_alu instid0(VALU_DEP_2)
	v_add_co_ci_u32_e32 v2, vcc_lo, s5, v2, vcc_lo
	global_load_b32 v1, v[1:2], off
	s_waitcnt vmcnt(0)
	v_subrev_nc_u32_e32 v1, s18, v1
.LBB90_8:
	s_or_b32 exec_lo, exec_lo, s8
	s_delay_alu instid0(SALU_CYCLE_1)
	s_and_b32 vcc_lo, exec_lo, s7
	s_cbranch_vccz .LBB90_12
.LBB90_9:
	v_cmp_gt_i32_e32 vcc_lo, s2, v4
	s_and_not1_b32 s2, s6, exec_lo
	s_and_b32 s4, vcc_lo, exec_lo
	s_delay_alu instid0(SALU_CYCLE_1) | instskip(NEXT) | instid1(SALU_CYCLE_1)
	s_or_b32 s6, s2, s4
	s_and_saveexec_b32 s2, s6
	s_cbranch_execnz .LBB90_13
.LBB90_10:
	s_nop 0
	s_sendmsg sendmsg(MSG_DEALLOC_VGPRS)
	s_endpgm
.LBB90_11:
                                        ; implicit-def: $vgpr1
	s_cbranch_execnz .LBB90_9
.LBB90_12:
	s_delay_alu instid0(VALU_DEP_1)
	v_mov_b32_e32 v4, v1
	s_and_saveexec_b32 s2, s6
	s_cbranch_execz .LBB90_10
.LBB90_13:
	s_load_b256 s[4:11], s[0:1], 0x20
	s_delay_alu instid0(VALU_DEP_1) | instskip(SKIP_1) | instid1(VALU_DEP_2)
	v_ashrrev_i32_e32 v5, 31, v4
	v_and_b32_e32 v9, 3, v0
	v_lshlrev_b64 v[1:2], 2, v[4:5]
	s_waitcnt lgkmcnt(0)
	s_delay_alu instid0(VALU_DEP_1) | instskip(NEXT) | instid1(VALU_DEP_2)
	v_add_co_u32 v5, vcc_lo, s4, v1
	v_add_co_ci_u32_e32 v6, vcc_lo, s5, v2, vcc_lo
	v_add_co_u32 v1, vcc_lo, s6, v1
	v_add_co_ci_u32_e32 v2, vcc_lo, s7, v2, vcc_lo
	global_load_b32 v15, v[5:6], off
	v_add_co_u32 v3, vcc_lo, v5, 4
	v_add_co_ci_u32_e32 v5, vcc_lo, 0, v6, vcc_lo
	s_cmp_eq_u64 s[6:7], 0
	s_load_b64 s[4:5], s[0:1], 0x40
	s_cselect_b32 vcc_lo, -1, 0
	s_cmp_eq_u32 s3, 1
	v_dual_cndmask_b32 v2, v2, v5 :: v_dual_cndmask_b32 v1, v1, v3
	global_load_b32 v5, v[1:2], off
	s_waitcnt vmcnt(1)
	v_subrev_nc_u32_e32 v0, s18, v15
	s_delay_alu instid0(VALU_DEP_1) | instskip(NEXT) | instid1(VALU_DEP_1)
	v_add_nc_u32_e32 v0, v0, v9
	v_ashrrev_i32_e32 v1, 31, v0
	s_waitcnt vmcnt(0)
	v_subrev_nc_u32_e32 v10, s18, v5
	s_delay_alu instid0(VALU_DEP_2) | instskip(NEXT) | instid1(VALU_DEP_2)
	v_lshlrev_b64 v[2:3], 5, v[0:1]
	v_cmp_lt_i32_e64 s2, v0, v10
	s_delay_alu instid0(VALU_DEP_2) | instskip(NEXT) | instid1(VALU_DEP_3)
	v_add_co_u32 v2, vcc_lo, s10, v2
	v_add_co_ci_u32_e32 v3, vcc_lo, s11, v3, vcc_lo
	s_cbranch_scc1 .LBB90_25
; %bb.14:
	v_dual_mov_b32 v11, 0 :: v_dual_mov_b32 v14, 0
	v_dual_mov_b32 v13, 0 :: v_dual_mov_b32 v12, 0
	s_mov_b32 s3, 0
	s_and_saveexec_b32 s6, s2
	s_cbranch_execz .LBB90_24
; %bb.15:
	v_dual_mov_b32 v12, 0 :: v_dual_add_nc_u32 v1, v15, v9
	v_not_b32_e32 v5, v15
	v_mov_b32_e32 v11, 0
	s_mov_b32 s10, 0
	s_delay_alu instid0(VALU_DEP_3) | instskip(SKIP_3) | instid1(VALU_DEP_3)
	v_subrev_nc_u32_e32 v1, s18, v1
	s_mov_b32 s7, exec_lo
	v_mov_b32_e32 v14, 0
	v_dual_mov_b32 v8, v3 :: v_dual_mov_b32 v7, v2
	v_add_nc_u32_e32 v1, 4, v1
	v_mov_b32_e32 v13, 0
	s_delay_alu instid0(VALU_DEP_2) | instskip(NEXT) | instid1(VALU_DEP_1)
	v_max_i32_e32 v1, v1, v10
	v_add3_u32 v1, v1, s18, v5
	s_delay_alu instid0(VALU_DEP_1) | instskip(NEXT) | instid1(VALU_DEP_1)
	v_sub_nc_u32_e32 v1, v1, v9
	v_lshrrev_b32_e32 v5, 2, v1
	s_delay_alu instid0(VALU_DEP_1) | instskip(NEXT) | instid1(VALU_DEP_1)
	v_add_nc_u32_e32 v5, 1, v5
	v_dual_mov_b32 v5, v0 :: v_dual_and_b32 v6, 3, v5
	s_delay_alu instid0(VALU_DEP_1)
	v_cmpx_ne_u32_e32 0, v6
	s_cbranch_execz .LBB90_19
; %bb.16:
	v_dual_mov_b32 v11, 0 :: v_dual_lshlrev_b32 v16, 5, v6
	v_dual_mov_b32 v8, v3 :: v_dual_mov_b32 v7, v2
	v_dual_mov_b32 v5, v0 :: v_dual_mov_b32 v14, 0
	;; [unrolled: 1-line block ×3, first 2 shown]
.LBB90_17:                              ; =>This Inner Loop Header: Depth=1
	s_delay_alu instid0(VALU_DEP_2) | instskip(SKIP_1) | instid1(VALU_DEP_2)
	v_ashrrev_i32_e32 v6, 31, v5
	v_subrev_nc_u32_e32 v16, 32, v16
	v_lshlrev_b64 v[17:18], 2, v[5:6]
	v_add_nc_u32_e32 v5, 4, v5
	s_delay_alu instid0(VALU_DEP_2) | instskip(NEXT) | instid1(VALU_DEP_3)
	v_add_co_u32 v17, vcc_lo, s8, v17
	v_add_co_ci_u32_e32 v18, vcc_lo, s9, v18, vcc_lo
	global_load_b32 v6, v[17:18], off
	global_load_b128 v[17:20], v[7:8], off
	s_waitcnt vmcnt(1)
	v_subrev_nc_u32_e32 v6, s18, v6
	s_delay_alu instid0(VALU_DEP_1) | instskip(NEXT) | instid1(VALU_DEP_1)
	v_lshlrev_b32_e32 v21, 2, v6
	v_ashrrev_i32_e32 v22, 31, v21
	s_delay_alu instid0(VALU_DEP_1) | instskip(SKIP_1) | instid1(VALU_DEP_1)
	v_lshlrev_b64 v[21:22], 1, v[21:22]
	s_waitcnt lgkmcnt(0)
	v_add_co_u32 v25, vcc_lo, s4, v21
	s_delay_alu instid0(VALU_DEP_2)
	v_add_co_ci_u32_e32 v26, vcc_lo, s5, v22, vcc_lo
	global_load_b128 v[21:24], v[7:8], off offset:16
	global_load_b64 v[25:26], v[25:26], off
	v_add_co_u32 v7, vcc_lo, 0x80, v7
	v_add_co_ci_u32_e32 v8, vcc_lo, 0, v8, vcc_lo
	v_cmp_eq_u32_e32 vcc_lo, 0, v16
	s_or_b32 s10, vcc_lo, s10
	s_waitcnt vmcnt(0)
	v_fma_mix_f32 v6, v17, v25, v12 op_sel_hi:[1,1,0]
	v_fma_mix_f32 v12, v19, v25, v14 op_sel_hi:[1,1,0]
	v_fma_mix_f32 v13, v21, v25, v13 op_sel_hi:[1,1,0]
	v_fma_mix_f32 v11, v23, v25, v11 op_sel_hi:[1,1,0]
	s_delay_alu instid0(VALU_DEP_4) | instskip(NEXT) | instid1(VALU_DEP_4)
	v_fma_mix_f32 v6, v17, v25, v6 op_sel:[1,1,0] op_sel_hi:[1,1,0]
	v_fma_mix_f32 v12, v19, v25, v12 op_sel:[1,1,0] op_sel_hi:[1,1,0]
	s_delay_alu instid0(VALU_DEP_4) | instskip(NEXT) | instid1(VALU_DEP_4)
	v_fma_mix_f32 v13, v21, v25, v13 op_sel:[1,1,0] op_sel_hi:[1,1,0]
	v_fma_mix_f32 v11, v23, v25, v11 op_sel:[1,1,0] op_sel_hi:[1,1,0]
	s_delay_alu instid0(VALU_DEP_4) | instskip(NEXT) | instid1(VALU_DEP_4)
	v_fma_mix_f32 v6, v18, v26, v6 op_sel_hi:[1,1,0]
	v_fma_mix_f32 v14, v20, v26, v12 op_sel_hi:[1,1,0]
	s_delay_alu instid0(VALU_DEP_4) | instskip(NEXT) | instid1(VALU_DEP_4)
	v_fma_mix_f32 v13, v22, v26, v13 op_sel_hi:[1,1,0]
	v_fma_mix_f32 v11, v24, v26, v11 op_sel_hi:[1,1,0]
	s_delay_alu instid0(VALU_DEP_4) | instskip(NEXT) | instid1(VALU_DEP_4)
	v_fma_mix_f32 v12, v18, v26, v6 op_sel:[1,1,0] op_sel_hi:[1,1,0]
	v_fma_mix_f32 v14, v20, v26, v14 op_sel:[1,1,0] op_sel_hi:[1,1,0]
	s_delay_alu instid0(VALU_DEP_4) | instskip(NEXT) | instid1(VALU_DEP_4)
	v_fma_mix_f32 v13, v22, v26, v13 op_sel:[1,1,0] op_sel_hi:[1,1,0]
	v_fma_mix_f32 v11, v24, v26, v11 op_sel:[1,1,0] op_sel_hi:[1,1,0]
	s_and_not1_b32 exec_lo, exec_lo, s10
	s_cbranch_execnz .LBB90_17
; %bb.18:
	s_or_b32 exec_lo, exec_lo, s10
.LBB90_19:
	s_delay_alu instid0(SALU_CYCLE_1) | instskip(NEXT) | instid1(SALU_CYCLE_1)
	s_or_b32 exec_lo, exec_lo, s7
	s_mov_b32 s7, exec_lo
	v_cmpx_lt_u32_e32 11, v1
	s_cbranch_execz .LBB90_23
; %bb.20:
	s_mov_b32 s10, 0
.LBB90_21:                              ; =>This Inner Loop Header: Depth=1
	v_ashrrev_i32_e32 v6, 31, v5
	s_delay_alu instid0(VALU_DEP_1) | instskip(SKIP_1) | instid1(VALU_DEP_2)
	v_lshlrev_b64 v[16:17], 2, v[5:6]
	v_add_nc_u32_e32 v5, 16, v5
	v_add_co_u32 v16, vcc_lo, s8, v16
	s_delay_alu instid0(VALU_DEP_3)
	v_add_co_ci_u32_e32 v17, vcc_lo, s9, v17, vcc_lo
	s_clause 0x3
	global_load_b32 v1, v[16:17], off
	global_load_b32 v6, v[16:17], off offset:16
	global_load_b32 v48, v[16:17], off offset:32
	;; [unrolled: 1-line block ×3, first 2 shown]
	s_clause 0x7
	global_load_b128 v[16:19], v[7:8], off
	global_load_b128 v[20:23], v[7:8], off offset:16
	global_load_b128 v[24:27], v[7:8], off offset:128
	;; [unrolled: 1-line block ×7, first 2 shown]
	s_waitcnt vmcnt(11)
	v_subrev_nc_u32_e32 v1, s18, v1
	s_waitcnt vmcnt(10)
	v_subrev_nc_u32_e32 v6, s18, v6
	;; [unrolled: 2-line block ×4, first 2 shown]
	v_lshlrev_b32_e32 v48, 2, v1
	v_lshlrev_b32_e32 v50, 2, v6
	;; [unrolled: 1-line block ×3, first 2 shown]
	s_delay_alu instid0(VALU_DEP_4) | instskip(NEXT) | instid1(VALU_DEP_4)
	v_lshlrev_b32_e32 v54, 2, v49
	v_ashrrev_i32_e32 v49, 31, v48
	s_delay_alu instid0(VALU_DEP_4) | instskip(NEXT) | instid1(VALU_DEP_4)
	v_ashrrev_i32_e32 v51, 31, v50
	v_ashrrev_i32_e32 v53, 31, v52
	s_delay_alu instid0(VALU_DEP_4) | instskip(NEXT) | instid1(VALU_DEP_4)
	v_ashrrev_i32_e32 v55, 31, v54
	v_lshlrev_b64 v[48:49], 1, v[48:49]
	s_delay_alu instid0(VALU_DEP_4) | instskip(NEXT) | instid1(VALU_DEP_4)
	v_lshlrev_b64 v[50:51], 1, v[50:51]
	v_lshlrev_b64 v[52:53], 1, v[52:53]
	s_delay_alu instid0(VALU_DEP_4) | instskip(SKIP_1) | instid1(VALU_DEP_4)
	v_lshlrev_b64 v[54:55], 1, v[54:55]
	s_waitcnt lgkmcnt(0)
	v_add_co_u32 v48, vcc_lo, s4, v48
	v_add_co_ci_u32_e32 v49, vcc_lo, s5, v49, vcc_lo
	v_add_co_u32 v50, vcc_lo, s4, v50
	v_add_co_ci_u32_e32 v51, vcc_lo, s5, v51, vcc_lo
	global_load_b64 v[48:49], v[48:49], off
	v_add_co_u32 v52, vcc_lo, s4, v52
	global_load_b64 v[50:51], v[50:51], off
	v_add_co_ci_u32_e32 v53, vcc_lo, s5, v53, vcc_lo
	v_add_co_u32 v54, vcc_lo, s4, v54
	v_add_co_ci_u32_e32 v55, vcc_lo, s5, v55, vcc_lo
	global_load_b64 v[52:53], v[52:53], off
	v_add_co_u32 v7, vcc_lo, 0x200, v7
	global_load_b64 v[54:55], v[54:55], off
	v_add_co_ci_u32_e32 v8, vcc_lo, 0, v8, vcc_lo
	v_cmp_ge_i32_e32 vcc_lo, v5, v10
	s_or_b32 s10, vcc_lo, s10
	s_waitcnt vmcnt(3)
	v_fma_mix_f32 v1, v16, v48, v12 op_sel_hi:[1,1,0]
	v_fma_mix_f32 v6, v18, v48, v14 op_sel_hi:[1,1,0]
	v_fma_mix_f32 v12, v20, v48, v13 op_sel_hi:[1,1,0]
	v_fma_mix_f32 v11, v22, v48, v11 op_sel_hi:[1,1,0]
	s_delay_alu instid0(VALU_DEP_4) | instskip(NEXT) | instid1(VALU_DEP_4)
	v_fma_mix_f32 v1, v16, v48, v1 op_sel:[1,1,0] op_sel_hi:[1,1,0]
	v_fma_mix_f32 v6, v18, v48, v6 op_sel:[1,1,0] op_sel_hi:[1,1,0]
	s_delay_alu instid0(VALU_DEP_4) | instskip(NEXT) | instid1(VALU_DEP_4)
	v_fma_mix_f32 v12, v20, v48, v12 op_sel:[1,1,0] op_sel_hi:[1,1,0]
	v_fma_mix_f32 v11, v22, v48, v11 op_sel:[1,1,0] op_sel_hi:[1,1,0]
	s_delay_alu instid0(VALU_DEP_4) | instskip(NEXT) | instid1(VALU_DEP_4)
	v_fma_mix_f32 v1, v17, v49, v1 op_sel_hi:[1,1,0]
	v_fma_mix_f32 v6, v19, v49, v6 op_sel_hi:[1,1,0]
	s_delay_alu instid0(VALU_DEP_4) | instskip(NEXT) | instid1(VALU_DEP_4)
	v_fma_mix_f32 v12, v21, v49, v12 op_sel_hi:[1,1,0]
	v_fma_mix_f32 v11, v23, v49, v11 op_sel_hi:[1,1,0]
	s_delay_alu instid0(VALU_DEP_4) | instskip(NEXT) | instid1(VALU_DEP_4)
	v_fma_mix_f32 v1, v17, v49, v1 op_sel:[1,1,0] op_sel_hi:[1,1,0]
	v_fma_mix_f32 v6, v19, v49, v6 op_sel:[1,1,0] op_sel_hi:[1,1,0]
	s_delay_alu instid0(VALU_DEP_4) | instskip(NEXT) | instid1(VALU_DEP_4)
	v_fma_mix_f32 v12, v21, v49, v12 op_sel:[1,1,0] op_sel_hi:[1,1,0]
	v_fma_mix_f32 v11, v23, v49, v11 op_sel:[1,1,0] op_sel_hi:[1,1,0]
	s_waitcnt vmcnt(2)
	v_fma_mix_f32 v1, v24, v50, v1 op_sel_hi:[1,1,0]
	v_fma_mix_f32 v6, v26, v50, v6 op_sel_hi:[1,1,0]
	v_fma_mix_f32 v12, v28, v50, v12 op_sel_hi:[1,1,0]
	v_fma_mix_f32 v11, v30, v50, v11 op_sel_hi:[1,1,0]
	s_delay_alu instid0(VALU_DEP_4) | instskip(NEXT) | instid1(VALU_DEP_4)
	v_fma_mix_f32 v1, v24, v50, v1 op_sel:[1,1,0] op_sel_hi:[1,1,0]
	v_fma_mix_f32 v6, v26, v50, v6 op_sel:[1,1,0] op_sel_hi:[1,1,0]
	s_delay_alu instid0(VALU_DEP_4) | instskip(NEXT) | instid1(VALU_DEP_4)
	v_fma_mix_f32 v12, v28, v50, v12 op_sel:[1,1,0] op_sel_hi:[1,1,0]
	v_fma_mix_f32 v11, v30, v50, v11 op_sel:[1,1,0] op_sel_hi:[1,1,0]
	s_delay_alu instid0(VALU_DEP_4) | instskip(NEXT) | instid1(VALU_DEP_4)
	v_fma_mix_f32 v1, v25, v51, v1 op_sel_hi:[1,1,0]
	v_fma_mix_f32 v6, v27, v51, v6 op_sel_hi:[1,1,0]
	s_delay_alu instid0(VALU_DEP_4) | instskip(NEXT) | instid1(VALU_DEP_4)
	v_fma_mix_f32 v12, v29, v51, v12 op_sel_hi:[1,1,0]
	v_fma_mix_f32 v11, v31, v51, v11 op_sel_hi:[1,1,0]
	s_delay_alu instid0(VALU_DEP_4) | instskip(NEXT) | instid1(VALU_DEP_4)
	v_fma_mix_f32 v1, v25, v51, v1 op_sel:[1,1,0] op_sel_hi:[1,1,0]
	v_fma_mix_f32 v6, v27, v51, v6 op_sel:[1,1,0] op_sel_hi:[1,1,0]
	s_delay_alu instid0(VALU_DEP_4) | instskip(NEXT) | instid1(VALU_DEP_4)
	v_fma_mix_f32 v12, v29, v51, v12 op_sel:[1,1,0] op_sel_hi:[1,1,0]
	v_fma_mix_f32 v11, v31, v51, v11 op_sel:[1,1,0] op_sel_hi:[1,1,0]
	;; [unrolled: 23-line block ×4, first 2 shown]
	s_and_not1_b32 exec_lo, exec_lo, s10
	s_cbranch_execnz .LBB90_21
; %bb.22:
	s_or_b32 exec_lo, exec_lo, s10
.LBB90_23:
	s_delay_alu instid0(SALU_CYCLE_1)
	s_or_b32 exec_lo, exec_lo, s7
.LBB90_24:
	s_delay_alu instid0(SALU_CYCLE_1) | instskip(NEXT) | instid1(SALU_CYCLE_1)
	s_or_b32 exec_lo, exec_lo, s6
	s_and_not1_b32 vcc_lo, exec_lo, s3
	s_cbranch_vccz .LBB90_26
	s_branch .LBB90_37
.LBB90_25:
                                        ; implicit-def: $vgpr11
                                        ; implicit-def: $vgpr13
                                        ; implicit-def: $vgpr14
                                        ; implicit-def: $vgpr12
.LBB90_26:
	v_dual_mov_b32 v11, 0 :: v_dual_mov_b32 v14, 0
	v_dual_mov_b32 v13, 0 :: v_dual_mov_b32 v12, 0
	s_and_saveexec_b32 s3, s2
	s_cbranch_execz .LBB90_36
; %bb.27:
	v_dual_mov_b32 v12, 0 :: v_dual_add_nc_u32 v1, v15, v9
	v_not_b32_e32 v5, v15
	v_mov_b32_e32 v13, 0
	v_mov_b32_e32 v11, 0
	s_delay_alu instid0(VALU_DEP_4) | instskip(SKIP_2) | instid1(VALU_DEP_1)
	v_subrev_nc_u32_e32 v1, s18, v1
	s_mov_b32 s6, 0
	s_mov_b32 s2, exec_lo
	v_dual_mov_b32 v14, 0 :: v_dual_add_nc_u32 v1, 4, v1
	s_delay_alu instid0(VALU_DEP_1) | instskip(NEXT) | instid1(VALU_DEP_1)
	v_max_i32_e32 v1, v1, v10
	v_add3_u32 v1, v1, s18, v5
	s_delay_alu instid0(VALU_DEP_1) | instskip(NEXT) | instid1(VALU_DEP_1)
	v_sub_nc_u32_e32 v5, v1, v9
	v_lshrrev_b32_e32 v1, 2, v5
	s_delay_alu instid0(VALU_DEP_1) | instskip(NEXT) | instid1(VALU_DEP_1)
	v_add_nc_u32_e32 v1, 1, v1
	v_and_b32_e32 v1, 3, v1
	s_delay_alu instid0(VALU_DEP_1)
	v_cmpx_ne_u32_e32 0, v1
	s_cbranch_execz .LBB90_31
; %bb.28:
	v_dual_mov_b32 v11, 0 :: v_dual_lshlrev_b32 v6, 5, v1
	v_dual_mov_b32 v13, 0 :: v_dual_mov_b32 v14, 0
	v_mov_b32_e32 v12, 0
.LBB90_29:                              ; =>This Inner Loop Header: Depth=1
	v_ashrrev_i32_e32 v1, 31, v0
	s_delay_alu instid0(VALU_DEP_4) | instskip(NEXT) | instid1(VALU_DEP_2)
	v_subrev_nc_u32_e32 v6, 32, v6
	v_lshlrev_b64 v[7:8], 2, v[0:1]
	v_add_nc_u32_e32 v0, 4, v0
	s_delay_alu instid0(VALU_DEP_2) | instskip(NEXT) | instid1(VALU_DEP_3)
	v_add_co_u32 v7, vcc_lo, s8, v7
	v_add_co_ci_u32_e32 v8, vcc_lo, s9, v8, vcc_lo
	global_load_b32 v1, v[7:8], off
	s_waitcnt vmcnt(0)
	v_subrev_nc_u32_e32 v1, s18, v1
	s_delay_alu instid0(VALU_DEP_1) | instskip(NEXT) | instid1(VALU_DEP_1)
	v_lshlrev_b32_e32 v7, 2, v1
	v_ashrrev_i32_e32 v8, 31, v7
	s_delay_alu instid0(VALU_DEP_1) | instskip(SKIP_1) | instid1(VALU_DEP_1)
	v_lshlrev_b64 v[7:8], 1, v[7:8]
	s_waitcnt lgkmcnt(0)
	v_add_co_u32 v7, vcc_lo, s4, v7
	s_delay_alu instid0(VALU_DEP_2)
	v_add_co_ci_u32_e32 v8, vcc_lo, s5, v8, vcc_lo
	global_load_b128 v[15:18], v[2:3], off
	global_load_b64 v[7:8], v[7:8], off
	global_load_b128 v[19:22], v[2:3], off offset:16
	v_add_co_u32 v2, vcc_lo, 0x80, v2
	v_add_co_ci_u32_e32 v3, vcc_lo, 0, v3, vcc_lo
	v_cmp_eq_u32_e32 vcc_lo, 0, v6
	s_or_b32 s6, vcc_lo, s6
	s_waitcnt vmcnt(1)
	v_fma_mix_f32 v1, v15, v7, v12 op_sel_hi:[1,1,0]
	v_fma_mix_f32 v12, v15, v7, v14 op_sel:[1,0,0] op_sel_hi:[1,1,0]
	v_fma_mix_f32 v13, v16, v7, v13 op_sel_hi:[1,1,0]
	v_fma_mix_f32 v11, v16, v7, v11 op_sel:[1,0,0] op_sel_hi:[1,1,0]
	s_delay_alu instid0(VALU_DEP_4) | instskip(NEXT) | instid1(VALU_DEP_4)
	v_fma_mix_f32 v1, v17, v7, v1 op_sel:[0,1,0] op_sel_hi:[1,1,0]
	v_fma_mix_f32 v12, v17, v7, v12 op_sel:[1,1,0] op_sel_hi:[1,1,0]
	s_delay_alu instid0(VALU_DEP_4) | instskip(NEXT) | instid1(VALU_DEP_4)
	v_fma_mix_f32 v13, v18, v7, v13 op_sel:[0,1,0] op_sel_hi:[1,1,0]
	v_fma_mix_f32 v7, v18, v7, v11 op_sel:[1,1,0] op_sel_hi:[1,1,0]
	s_waitcnt vmcnt(0)
	v_fma_mix_f32 v1, v19, v8, v1 op_sel_hi:[1,1,0]
	v_fma_mix_f32 v11, v19, v8, v12 op_sel:[1,0,0] op_sel_hi:[1,1,0]
	v_fma_mix_f32 v13, v20, v8, v13 op_sel_hi:[1,1,0]
	v_fma_mix_f32 v7, v20, v8, v7 op_sel:[1,0,0] op_sel_hi:[1,1,0]
	s_delay_alu instid0(VALU_DEP_4) | instskip(NEXT) | instid1(VALU_DEP_4)
	v_fma_mix_f32 v12, v21, v8, v1 op_sel:[0,1,0] op_sel_hi:[1,1,0]
	v_fma_mix_f32 v14, v21, v8, v11 op_sel:[1,1,0] op_sel_hi:[1,1,0]
	s_delay_alu instid0(VALU_DEP_4) | instskip(NEXT) | instid1(VALU_DEP_4)
	v_fma_mix_f32 v13, v22, v8, v13 op_sel:[0,1,0] op_sel_hi:[1,1,0]
	v_fma_mix_f32 v11, v22, v8, v7 op_sel:[1,1,0] op_sel_hi:[1,1,0]
	s_and_not1_b32 exec_lo, exec_lo, s6
	s_cbranch_execnz .LBB90_29
; %bb.30:
	s_or_b32 exec_lo, exec_lo, s6
.LBB90_31:
	s_delay_alu instid0(SALU_CYCLE_1) | instskip(NEXT) | instid1(SALU_CYCLE_1)
	s_or_b32 exec_lo, exec_lo, s2
	s_mov_b32 s2, exec_lo
	v_cmpx_lt_u32_e32 11, v5
	s_cbranch_execz .LBB90_35
; %bb.32:
	s_mov_b32 s6, 0
.LBB90_33:                              ; =>This Inner Loop Header: Depth=1
	v_ashrrev_i32_e32 v1, 31, v0
	s_delay_alu instid0(VALU_DEP_1) | instskip(SKIP_1) | instid1(VALU_DEP_2)
	v_lshlrev_b64 v[5:6], 2, v[0:1]
	v_add_nc_u32_e32 v0, 16, v0
	v_add_co_u32 v5, vcc_lo, s8, v5
	s_delay_alu instid0(VALU_DEP_3)
	v_add_co_ci_u32_e32 v6, vcc_lo, s9, v6, vcc_lo
	s_clause 0x3
	global_load_b32 v1, v[5:6], off
	global_load_b32 v39, v[5:6], off offset:16
	global_load_b32 v40, v[5:6], off offset:32
	;; [unrolled: 1-line block ×3, first 2 shown]
	s_clause 0x6
	global_load_b128 v[5:8], v[2:3], off
	global_load_b128 v[15:18], v[2:3], off offset:16
	global_load_b128 v[19:22], v[2:3], off offset:128
	;; [unrolled: 1-line block ×6, first 2 shown]
	s_waitcnt vmcnt(10)
	v_subrev_nc_u32_e32 v1, s18, v1
	s_waitcnt vmcnt(9)
	v_subrev_nc_u32_e32 v42, s18, v39
	;; [unrolled: 2-line block ×4, first 2 shown]
	v_lshlrev_b32_e32 v39, 2, v1
	v_lshlrev_b32_e32 v41, 2, v42
	;; [unrolled: 1-line block ×3, first 2 shown]
	s_delay_alu instid0(VALU_DEP_4) | instskip(NEXT) | instid1(VALU_DEP_4)
	v_lshlrev_b32_e32 v45, 2, v44
	v_ashrrev_i32_e32 v40, 31, v39
	s_delay_alu instid0(VALU_DEP_4) | instskip(NEXT) | instid1(VALU_DEP_4)
	v_ashrrev_i32_e32 v42, 31, v41
	v_ashrrev_i32_e32 v44, 31, v43
	s_delay_alu instid0(VALU_DEP_4) | instskip(NEXT) | instid1(VALU_DEP_4)
	v_ashrrev_i32_e32 v46, 31, v45
	v_lshlrev_b64 v[39:40], 1, v[39:40]
	s_waitcnt lgkmcnt(0)
	s_delay_alu instid0(VALU_DEP_1) | instskip(NEXT) | instid1(VALU_DEP_2)
	v_add_co_u32 v39, vcc_lo, s4, v39
	v_add_co_ci_u32_e32 v40, vcc_lo, s5, v40, vcc_lo
	global_load_b64 v[47:48], v[39:40], off
	v_lshlrev_b64 v[39:40], 1, v[41:42]
	s_delay_alu instid0(VALU_DEP_1) | instskip(NEXT) | instid1(VALU_DEP_2)
	v_add_co_u32 v39, vcc_lo, s4, v39
	v_add_co_ci_u32_e32 v40, vcc_lo, s5, v40, vcc_lo
	global_load_b64 v[49:50], v[39:40], off
	v_lshlrev_b64 v[39:40], 1, v[43:44]
	;; [unrolled: 5-line block ×3, first 2 shown]
	s_delay_alu instid0(VALU_DEP_1) | instskip(NEXT) | instid1(VALU_DEP_2)
	v_add_co_u32 v39, vcc_lo, s4, v39
	v_add_co_ci_u32_e32 v40, vcc_lo, s5, v40, vcc_lo
	global_load_b64 v[45:46], v[39:40], off
	global_load_b128 v[39:42], v[2:3], off offset:400
	v_add_co_u32 v2, vcc_lo, 0x200, v2
	v_add_co_ci_u32_e32 v3, vcc_lo, 0, v3, vcc_lo
	v_cmp_ge_i32_e32 vcc_lo, v0, v10
	s_or_b32 s6, vcc_lo, s6
	s_waitcnt vmcnt(4)
	v_fma_mix_f32 v1, v5, v47, v12 op_sel_hi:[1,1,0]
	v_fma_mix_f32 v5, v5, v47, v14 op_sel:[1,0,0] op_sel_hi:[1,1,0]
	v_fma_mix_f32 v12, v6, v47, v13 op_sel_hi:[1,1,0]
	v_fma_mix_f32 v6, v6, v47, v11 op_sel:[1,0,0] op_sel_hi:[1,1,0]
	s_delay_alu instid0(VALU_DEP_4) | instskip(NEXT) | instid1(VALU_DEP_4)
	v_fma_mix_f32 v1, v7, v47, v1 op_sel:[0,1,0] op_sel_hi:[1,1,0]
	v_fma_mix_f32 v5, v7, v47, v5 op_sel:[1,1,0] op_sel_hi:[1,1,0]
	s_delay_alu instid0(VALU_DEP_4) | instskip(NEXT) | instid1(VALU_DEP_4)
	v_fma_mix_f32 v7, v8, v47, v12 op_sel:[0,1,0] op_sel_hi:[1,1,0]
	v_fma_mix_f32 v6, v8, v47, v6 op_sel:[1,1,0] op_sel_hi:[1,1,0]
	s_delay_alu instid0(VALU_DEP_4) | instskip(NEXT) | instid1(VALU_DEP_4)
	v_fma_mix_f32 v1, v15, v48, v1 op_sel_hi:[1,1,0]
	v_fma_mix_f32 v5, v15, v48, v5 op_sel:[1,0,0] op_sel_hi:[1,1,0]
	s_delay_alu instid0(VALU_DEP_4) | instskip(NEXT) | instid1(VALU_DEP_4)
	v_fma_mix_f32 v7, v16, v48, v7 op_sel_hi:[1,1,0]
	v_fma_mix_f32 v6, v16, v48, v6 op_sel:[1,0,0] op_sel_hi:[1,1,0]
	s_delay_alu instid0(VALU_DEP_4) | instskip(NEXT) | instid1(VALU_DEP_4)
	v_fma_mix_f32 v1, v17, v48, v1 op_sel:[0,1,0] op_sel_hi:[1,1,0]
	v_fma_mix_f32 v5, v17, v48, v5 op_sel:[1,1,0] op_sel_hi:[1,1,0]
	s_delay_alu instid0(VALU_DEP_4) | instskip(NEXT) | instid1(VALU_DEP_4)
	v_fma_mix_f32 v7, v18, v48, v7 op_sel:[0,1,0] op_sel_hi:[1,1,0]
	v_fma_mix_f32 v6, v18, v48, v6 op_sel:[1,1,0] op_sel_hi:[1,1,0]
	s_waitcnt vmcnt(3)
	v_fma_mix_f32 v1, v19, v49, v1 op_sel_hi:[1,1,0]
	v_fma_mix_f32 v5, v19, v49, v5 op_sel:[1,0,0] op_sel_hi:[1,1,0]
	v_fma_mix_f32 v7, v20, v49, v7 op_sel_hi:[1,1,0]
	v_fma_mix_f32 v6, v20, v49, v6 op_sel:[1,0,0] op_sel_hi:[1,1,0]
	s_delay_alu instid0(VALU_DEP_4) | instskip(NEXT) | instid1(VALU_DEP_4)
	v_fma_mix_f32 v1, v21, v49, v1 op_sel:[0,1,0] op_sel_hi:[1,1,0]
	v_fma_mix_f32 v5, v21, v49, v5 op_sel:[1,1,0] op_sel_hi:[1,1,0]
	s_delay_alu instid0(VALU_DEP_4) | instskip(NEXT) | instid1(VALU_DEP_4)
	v_fma_mix_f32 v7, v22, v49, v7 op_sel:[0,1,0] op_sel_hi:[1,1,0]
	v_fma_mix_f32 v6, v22, v49, v6 op_sel:[1,1,0] op_sel_hi:[1,1,0]
	s_delay_alu instid0(VALU_DEP_4) | instskip(NEXT) | instid1(VALU_DEP_4)
	v_fma_mix_f32 v1, v23, v50, v1 op_sel_hi:[1,1,0]
	v_fma_mix_f32 v5, v23, v50, v5 op_sel:[1,0,0] op_sel_hi:[1,1,0]
	s_delay_alu instid0(VALU_DEP_4) | instskip(NEXT) | instid1(VALU_DEP_4)
	v_fma_mix_f32 v7, v24, v50, v7 op_sel_hi:[1,1,0]
	v_fma_mix_f32 v6, v24, v50, v6 op_sel:[1,0,0] op_sel_hi:[1,1,0]
	s_delay_alu instid0(VALU_DEP_4) | instskip(NEXT) | instid1(VALU_DEP_4)
	v_fma_mix_f32 v1, v25, v50, v1 op_sel:[0,1,0] op_sel_hi:[1,1,0]
	v_fma_mix_f32 v5, v25, v50, v5 op_sel:[1,1,0] op_sel_hi:[1,1,0]
	s_delay_alu instid0(VALU_DEP_4) | instskip(NEXT) | instid1(VALU_DEP_4)
	v_fma_mix_f32 v7, v26, v50, v7 op_sel:[0,1,0] op_sel_hi:[1,1,0]
	v_fma_mix_f32 v6, v26, v50, v6 op_sel:[1,1,0] op_sel_hi:[1,1,0]
	;; [unrolled: 23-line block ×3, first 2 shown]
	s_waitcnt vmcnt(1)
	v_fma_mix_f32 v1, v35, v45, v1 op_sel_hi:[1,1,0]
	v_fma_mix_f32 v5, v35, v45, v5 op_sel:[1,0,0] op_sel_hi:[1,1,0]
	v_fma_mix_f32 v7, v36, v45, v7 op_sel_hi:[1,1,0]
	v_fma_mix_f32 v6, v36, v45, v6 op_sel:[1,0,0] op_sel_hi:[1,1,0]
	s_delay_alu instid0(VALU_DEP_4) | instskip(NEXT) | instid1(VALU_DEP_4)
	v_fma_mix_f32 v1, v37, v45, v1 op_sel:[0,1,0] op_sel_hi:[1,1,0]
	v_fma_mix_f32 v5, v37, v45, v5 op_sel:[1,1,0] op_sel_hi:[1,1,0]
	s_delay_alu instid0(VALU_DEP_4) | instskip(NEXT) | instid1(VALU_DEP_4)
	v_fma_mix_f32 v7, v38, v45, v7 op_sel:[0,1,0] op_sel_hi:[1,1,0]
	v_fma_mix_f32 v6, v38, v45, v6 op_sel:[1,1,0] op_sel_hi:[1,1,0]
	s_waitcnt vmcnt(0)
	v_fma_mix_f32 v1, v39, v46, v1 op_sel_hi:[1,1,0]
	v_fma_mix_f32 v5, v39, v46, v5 op_sel:[1,0,0] op_sel_hi:[1,1,0]
	v_fma_mix_f32 v7, v40, v46, v7 op_sel_hi:[1,1,0]
	v_fma_mix_f32 v6, v40, v46, v6 op_sel:[1,0,0] op_sel_hi:[1,1,0]
	s_delay_alu instid0(VALU_DEP_4) | instskip(NEXT) | instid1(VALU_DEP_4)
	v_fma_mix_f32 v12, v41, v46, v1 op_sel:[0,1,0] op_sel_hi:[1,1,0]
	v_fma_mix_f32 v14, v41, v46, v5 op_sel:[1,1,0] op_sel_hi:[1,1,0]
	s_delay_alu instid0(VALU_DEP_4) | instskip(NEXT) | instid1(VALU_DEP_4)
	v_fma_mix_f32 v13, v42, v46, v7 op_sel:[0,1,0] op_sel_hi:[1,1,0]
	v_fma_mix_f32 v11, v42, v46, v6 op_sel:[1,1,0] op_sel_hi:[1,1,0]
	s_and_not1_b32 exec_lo, exec_lo, s6
	s_cbranch_execnz .LBB90_33
; %bb.34:
	s_or_b32 exec_lo, exec_lo, s6
.LBB90_35:
	s_delay_alu instid0(SALU_CYCLE_1)
	s_or_b32 exec_lo, exec_lo, s2
.LBB90_36:
	s_delay_alu instid0(SALU_CYCLE_1)
	s_or_b32 exec_lo, exec_lo, s3
.LBB90_37:
	v_mbcnt_lo_u32_b32 v0, -1, 0
	s_mov_b32 s2, -1
	s_delay_alu instid0(VALU_DEP_1) | instskip(NEXT) | instid1(VALU_DEP_1)
	v_xor_b32_e32 v1, 2, v0
	v_cmp_gt_i32_e32 vcc_lo, 32, v1
	v_cndmask_b32_e32 v1, v0, v1, vcc_lo
	s_delay_alu instid0(VALU_DEP_1)
	v_lshlrev_b32_e32 v1, 2, v1
	ds_bpermute_b32 v2, v1, v12
	ds_bpermute_b32 v3, v1, v14
	;; [unrolled: 1-line block ×4, first 2 shown]
	v_xor_b32_e32 v1, 1, v0
	s_delay_alu instid0(VALU_DEP_1) | instskip(SKIP_3) | instid1(VALU_DEP_2)
	v_cmp_gt_i32_e32 vcc_lo, 32, v1
	v_cndmask_b32_e32 v0, v0, v1, vcc_lo
	v_cmp_eq_u32_e32 vcc_lo, 3, v9
	s_waitcnt lgkmcnt(0)
	v_dual_add_f32 v1, v14, v3 :: v_dual_lshlrev_b32 v8, 2, v0
	v_add_f32_e32 v0, v12, v2
	v_dual_add_f32 v2, v13, v5 :: v_dual_add_f32 v3, v11, v6
	ds_bpermute_b32 v6, v8, v1
	ds_bpermute_b32 v5, v8, v0
	;; [unrolled: 1-line block ×4, first 2 shown]
	s_and_b32 exec_lo, exec_lo, vcc_lo
	s_cbranch_execz .LBB90_10
; %bb.38:
	s_load_b64 s[0:1], s[0:1], 0x50
	s_waitcnt lgkmcnt(0)
	v_dual_add_f32 v0, v0, v5 :: v_dual_add_f32 v1, v1, v6
	v_dual_add_f32 v2, v2, v7 :: v_dual_add_f32 v3, v3, v8
	v_cmp_eq_f32_e64 s3, s12, 0
	s_delay_alu instid0(VALU_DEP_3) | instskip(NEXT) | instid1(VALU_DEP_3)
	v_dual_mul_f32 v0, s16, v0 :: v_dual_mul_f32 v1, s16, v1
	v_dual_mul_f32 v2, s16, v2 :: v_dual_mul_f32 v3, s16, v3
	v_lshlrev_b32_e32 v4, 2, v4
	s_delay_alu instid0(VALU_DEP_4)
	s_and_b32 vcc_lo, exec_lo, s3
	s_cbranch_vccz .LBB90_40
; %bb.39:
	s_delay_alu instid0(VALU_DEP_1) | instskip(SKIP_1) | instid1(VALU_DEP_1)
	v_ashrrev_i32_e32 v5, 31, v4
	s_mov_b32 s2, 0
	v_lshlrev_b64 v[5:6], 2, v[4:5]
	s_delay_alu instid0(VALU_DEP_1) | instskip(NEXT) | instid1(VALU_DEP_2)
	v_add_co_u32 v5, vcc_lo, s0, v5
	v_add_co_ci_u32_e32 v6, vcc_lo, s1, v6, vcc_lo
	global_store_b128 v[5:6], v[0:3], off
.LBB90_40:
	s_and_not1_b32 vcc_lo, exec_lo, s2
	s_cbranch_vccnz .LBB90_10
; %bb.41:
	v_ashrrev_i32_e32 v5, 31, v4
	s_delay_alu instid0(VALU_DEP_1) | instskip(NEXT) | instid1(VALU_DEP_1)
	v_lshlrev_b64 v[4:5], 2, v[4:5]
	v_add_co_u32 v8, vcc_lo, s0, v4
	s_delay_alu instid0(VALU_DEP_2)
	v_add_co_ci_u32_e32 v9, vcc_lo, s1, v5, vcc_lo
	global_load_b128 v[4:7], v[8:9], off
	s_waitcnt vmcnt(0)
	v_dual_fmac_f32 v0, s12, v4 :: v_dual_fmac_f32 v1, s12, v5
	v_dual_fmac_f32 v2, s12, v6 :: v_dual_fmac_f32 v3, s12, v7
	global_store_b128 v[8:9], v[0:3], off
	s_nop 0
	s_sendmsg sendmsg(MSG_DEALLOC_VGPRS)
	s_endpgm
	.section	.rodata,"a",@progbits
	.p2align	6, 0x0
	.amdhsa_kernel _ZN9rocsparseL18bsrxmvn_4x4_kernelILj128ELj4EfiiDF16_DF16_fEEvT3_20rocsparse_direction_NS_24const_host_device_scalarIT1_EES1_PKS1_PKT2_SA_S7_PKT4_PKT5_S5_PT6_21rocsparse_index_base_b
		.amdhsa_group_segment_fixed_size 0
		.amdhsa_private_segment_fixed_size 0
		.amdhsa_kernarg_size 96
		.amdhsa_user_sgpr_count 15
		.amdhsa_user_sgpr_dispatch_ptr 0
		.amdhsa_user_sgpr_queue_ptr 0
		.amdhsa_user_sgpr_kernarg_segment_ptr 1
		.amdhsa_user_sgpr_dispatch_id 0
		.amdhsa_user_sgpr_private_segment_size 0
		.amdhsa_wavefront_size32 1
		.amdhsa_uses_dynamic_stack 0
		.amdhsa_enable_private_segment 0
		.amdhsa_system_sgpr_workgroup_id_x 1
		.amdhsa_system_sgpr_workgroup_id_y 0
		.amdhsa_system_sgpr_workgroup_id_z 0
		.amdhsa_system_sgpr_workgroup_info 0
		.amdhsa_system_vgpr_workitem_id 0
		.amdhsa_next_free_vgpr 56
		.amdhsa_next_free_sgpr 20
		.amdhsa_reserve_vcc 1
		.amdhsa_float_round_mode_32 0
		.amdhsa_float_round_mode_16_64 0
		.amdhsa_float_denorm_mode_32 3
		.amdhsa_float_denorm_mode_16_64 3
		.amdhsa_dx10_clamp 1
		.amdhsa_ieee_mode 1
		.amdhsa_fp16_overflow 0
		.amdhsa_workgroup_processor_mode 1
		.amdhsa_memory_ordered 1
		.amdhsa_forward_progress 0
		.amdhsa_shared_vgpr_count 0
		.amdhsa_exception_fp_ieee_invalid_op 0
		.amdhsa_exception_fp_denorm_src 0
		.amdhsa_exception_fp_ieee_div_zero 0
		.amdhsa_exception_fp_ieee_overflow 0
		.amdhsa_exception_fp_ieee_underflow 0
		.amdhsa_exception_fp_ieee_inexact 0
		.amdhsa_exception_int_div_zero 0
	.end_amdhsa_kernel
	.section	.text._ZN9rocsparseL18bsrxmvn_4x4_kernelILj128ELj4EfiiDF16_DF16_fEEvT3_20rocsparse_direction_NS_24const_host_device_scalarIT1_EES1_PKS1_PKT2_SA_S7_PKT4_PKT5_S5_PT6_21rocsparse_index_base_b,"axG",@progbits,_ZN9rocsparseL18bsrxmvn_4x4_kernelILj128ELj4EfiiDF16_DF16_fEEvT3_20rocsparse_direction_NS_24const_host_device_scalarIT1_EES1_PKS1_PKT2_SA_S7_PKT4_PKT5_S5_PT6_21rocsparse_index_base_b,comdat
.Lfunc_end90:
	.size	_ZN9rocsparseL18bsrxmvn_4x4_kernelILj128ELj4EfiiDF16_DF16_fEEvT3_20rocsparse_direction_NS_24const_host_device_scalarIT1_EES1_PKS1_PKT2_SA_S7_PKT4_PKT5_S5_PT6_21rocsparse_index_base_b, .Lfunc_end90-_ZN9rocsparseL18bsrxmvn_4x4_kernelILj128ELj4EfiiDF16_DF16_fEEvT3_20rocsparse_direction_NS_24const_host_device_scalarIT1_EES1_PKS1_PKT2_SA_S7_PKT4_PKT5_S5_PT6_21rocsparse_index_base_b
                                        ; -- End function
	.section	.AMDGPU.csdata,"",@progbits
; Kernel info:
; codeLenInByte = 3908
; NumSgprs: 22
; NumVgprs: 56
; ScratchSize: 0
; MemoryBound: 0
; FloatMode: 240
; IeeeMode: 1
; LDSByteSize: 0 bytes/workgroup (compile time only)
; SGPRBlocks: 2
; VGPRBlocks: 6
; NumSGPRsForWavesPerEU: 22
; NumVGPRsForWavesPerEU: 56
; Occupancy: 16
; WaveLimiterHint : 1
; COMPUTE_PGM_RSRC2:SCRATCH_EN: 0
; COMPUTE_PGM_RSRC2:USER_SGPR: 15
; COMPUTE_PGM_RSRC2:TRAP_HANDLER: 0
; COMPUTE_PGM_RSRC2:TGID_X_EN: 1
; COMPUTE_PGM_RSRC2:TGID_Y_EN: 0
; COMPUTE_PGM_RSRC2:TGID_Z_EN: 0
; COMPUTE_PGM_RSRC2:TIDIG_COMP_CNT: 0
	.section	.text._ZN9rocsparseL18bsrxmvn_4x4_kernelILj128ELj8EfiiDF16_DF16_fEEvT3_20rocsparse_direction_NS_24const_host_device_scalarIT1_EES1_PKS1_PKT2_SA_S7_PKT4_PKT5_S5_PT6_21rocsparse_index_base_b,"axG",@progbits,_ZN9rocsparseL18bsrxmvn_4x4_kernelILj128ELj8EfiiDF16_DF16_fEEvT3_20rocsparse_direction_NS_24const_host_device_scalarIT1_EES1_PKS1_PKT2_SA_S7_PKT4_PKT5_S5_PT6_21rocsparse_index_base_b,comdat
	.globl	_ZN9rocsparseL18bsrxmvn_4x4_kernelILj128ELj8EfiiDF16_DF16_fEEvT3_20rocsparse_direction_NS_24const_host_device_scalarIT1_EES1_PKS1_PKT2_SA_S7_PKT4_PKT5_S5_PT6_21rocsparse_index_base_b ; -- Begin function _ZN9rocsparseL18bsrxmvn_4x4_kernelILj128ELj8EfiiDF16_DF16_fEEvT3_20rocsparse_direction_NS_24const_host_device_scalarIT1_EES1_PKS1_PKT2_SA_S7_PKT4_PKT5_S5_PT6_21rocsparse_index_base_b
	.p2align	8
	.type	_ZN9rocsparseL18bsrxmvn_4x4_kernelILj128ELj8EfiiDF16_DF16_fEEvT3_20rocsparse_direction_NS_24const_host_device_scalarIT1_EES1_PKS1_PKT2_SA_S7_PKT4_PKT5_S5_PT6_21rocsparse_index_base_b,@function
_ZN9rocsparseL18bsrxmvn_4x4_kernelILj128ELj8EfiiDF16_DF16_fEEvT3_20rocsparse_direction_NS_24const_host_device_scalarIT1_EES1_PKS1_PKT2_SA_S7_PKT4_PKT5_S5_PT6_21rocsparse_index_base_b: ; @_ZN9rocsparseL18bsrxmvn_4x4_kernelILj128ELj8EfiiDF16_DF16_fEEvT3_20rocsparse_direction_NS_24const_host_device_scalarIT1_EES1_PKS1_PKT2_SA_S7_PKT4_PKT5_S5_PT6_21rocsparse_index_base_b
; %bb.0:
	s_clause 0x2
	s_load_b64 s[18:19], s[0:1], 0x58
	s_load_b64 s[16:17], s[0:1], 0x8
	;; [unrolled: 1-line block ×3, first 2 shown]
	s_waitcnt lgkmcnt(0)
	s_bitcmp1_b32 s19, 0
	s_cselect_b32 s2, -1, 0
	s_delay_alu instid0(SALU_CYCLE_1)
	s_and_b32 vcc_lo, exec_lo, s2
	s_xor_b32 s2, s2, -1
	s_cbranch_vccnz .LBB91_2
; %bb.1:
	s_load_b32 s16, s[16:17], 0x0
.LBB91_2:
	s_and_not1_b32 vcc_lo, exec_lo, s2
	s_cbranch_vccnz .LBB91_4
; %bb.3:
	s_load_b32 s12, s[12:13], 0x0
.LBB91_4:
	s_waitcnt lgkmcnt(0)
	v_cmp_neq_f32_e64 s2, s16, 0
	v_cmp_neq_f32_e64 s3, s12, 1.0
	s_mov_b32 s6, 0
	s_delay_alu instid0(VALU_DEP_1) | instskip(NEXT) | instid1(SALU_CYCLE_1)
	s_or_b32 s2, s2, s3
	s_and_not1_b32 vcc_lo, exec_lo, s2
	s_cbranch_vccnz .LBB91_10
; %bb.5:
	s_clause 0x1
	s_load_b64 s[4:5], s[0:1], 0x18
	s_load_b64 s[2:3], s[0:1], 0x0
	v_lshrrev_b32_e32 v1, 3, v0
	s_delay_alu instid0(VALU_DEP_1)
	v_lshl_or_b32 v4, s15, 4, v1
	s_waitcnt lgkmcnt(0)
	s_cmp_lg_u64 s[4:5], 0
	s_cbranch_scc0 .LBB91_11
; %bb.6:
	s_load_b32 s6, s[0:1], 0x10
	s_mov_b32 s7, 0
                                        ; implicit-def: $vgpr1
	s_waitcnt lgkmcnt(0)
	v_cmp_gt_i32_e32 vcc_lo, s6, v4
	s_mov_b32 s6, 0
	s_and_saveexec_b32 s8, vcc_lo
	s_delay_alu instid0(SALU_CYCLE_1)
	s_xor_b32 s8, exec_lo, s8
	s_cbranch_execz .LBB91_8
; %bb.7:
	v_ashrrev_i32_e32 v5, 31, v4
	s_mov_b32 s6, exec_lo
	s_delay_alu instid0(VALU_DEP_1) | instskip(NEXT) | instid1(VALU_DEP_1)
	v_lshlrev_b64 v[1:2], 2, v[4:5]
	v_add_co_u32 v1, vcc_lo, s4, v1
	s_delay_alu instid0(VALU_DEP_2)
	v_add_co_ci_u32_e32 v2, vcc_lo, s5, v2, vcc_lo
	global_load_b32 v1, v[1:2], off
	s_waitcnt vmcnt(0)
	v_subrev_nc_u32_e32 v1, s18, v1
.LBB91_8:
	s_or_b32 exec_lo, exec_lo, s8
	s_delay_alu instid0(SALU_CYCLE_1)
	s_and_b32 vcc_lo, exec_lo, s7
	s_cbranch_vccz .LBB91_12
.LBB91_9:
	v_cmp_gt_i32_e32 vcc_lo, s2, v4
	s_and_not1_b32 s2, s6, exec_lo
	s_and_b32 s4, vcc_lo, exec_lo
	s_delay_alu instid0(SALU_CYCLE_1) | instskip(NEXT) | instid1(SALU_CYCLE_1)
	s_or_b32 s6, s2, s4
	s_and_saveexec_b32 s2, s6
	s_cbranch_execnz .LBB91_13
.LBB91_10:
	s_nop 0
	s_sendmsg sendmsg(MSG_DEALLOC_VGPRS)
	s_endpgm
.LBB91_11:
                                        ; implicit-def: $vgpr1
	s_cbranch_execnz .LBB91_9
.LBB91_12:
	s_delay_alu instid0(VALU_DEP_1)
	v_mov_b32_e32 v4, v1
	s_and_saveexec_b32 s2, s6
	s_cbranch_execz .LBB91_10
.LBB91_13:
	s_load_b256 s[4:11], s[0:1], 0x20
	s_delay_alu instid0(VALU_DEP_1) | instskip(SKIP_1) | instid1(VALU_DEP_2)
	v_ashrrev_i32_e32 v5, 31, v4
	v_and_b32_e32 v9, 7, v0
	v_lshlrev_b64 v[1:2], 2, v[4:5]
	s_waitcnt lgkmcnt(0)
	s_delay_alu instid0(VALU_DEP_1) | instskip(NEXT) | instid1(VALU_DEP_2)
	v_add_co_u32 v5, vcc_lo, s4, v1
	v_add_co_ci_u32_e32 v6, vcc_lo, s5, v2, vcc_lo
	v_add_co_u32 v1, vcc_lo, s6, v1
	v_add_co_ci_u32_e32 v2, vcc_lo, s7, v2, vcc_lo
	global_load_b32 v15, v[5:6], off
	v_add_co_u32 v3, vcc_lo, v5, 4
	v_add_co_ci_u32_e32 v5, vcc_lo, 0, v6, vcc_lo
	s_cmp_eq_u64 s[6:7], 0
	s_load_b64 s[4:5], s[0:1], 0x40
	s_cselect_b32 vcc_lo, -1, 0
	s_cmp_eq_u32 s3, 1
	v_dual_cndmask_b32 v2, v2, v5 :: v_dual_cndmask_b32 v1, v1, v3
	global_load_b32 v5, v[1:2], off
	s_waitcnt vmcnt(1)
	v_subrev_nc_u32_e32 v0, s18, v15
	s_delay_alu instid0(VALU_DEP_1) | instskip(NEXT) | instid1(VALU_DEP_1)
	v_add_nc_u32_e32 v0, v0, v9
	v_ashrrev_i32_e32 v1, 31, v0
	s_waitcnt vmcnt(0)
	v_subrev_nc_u32_e32 v10, s18, v5
	s_delay_alu instid0(VALU_DEP_2) | instskip(NEXT) | instid1(VALU_DEP_2)
	v_lshlrev_b64 v[2:3], 5, v[0:1]
	v_cmp_lt_i32_e64 s2, v0, v10
	s_delay_alu instid0(VALU_DEP_2) | instskip(NEXT) | instid1(VALU_DEP_3)
	v_add_co_u32 v2, vcc_lo, s10, v2
	v_add_co_ci_u32_e32 v3, vcc_lo, s11, v3, vcc_lo
	s_cbranch_scc1 .LBB91_25
; %bb.14:
	v_dual_mov_b32 v11, 0 :: v_dual_mov_b32 v14, 0
	v_dual_mov_b32 v13, 0 :: v_dual_mov_b32 v12, 0
	s_mov_b32 s3, 0
	s_and_saveexec_b32 s6, s2
	s_cbranch_execz .LBB91_24
; %bb.15:
	v_dual_mov_b32 v12, 0 :: v_dual_add_nc_u32 v1, v15, v9
	v_not_b32_e32 v5, v15
	v_mov_b32_e32 v11, 0
	s_mov_b32 s10, 0
	s_delay_alu instid0(VALU_DEP_3) | instskip(SKIP_3) | instid1(VALU_DEP_3)
	v_subrev_nc_u32_e32 v1, s18, v1
	s_mov_b32 s7, exec_lo
	v_mov_b32_e32 v14, 0
	v_dual_mov_b32 v8, v3 :: v_dual_mov_b32 v7, v2
	v_add_nc_u32_e32 v1, 8, v1
	v_mov_b32_e32 v13, 0
	s_delay_alu instid0(VALU_DEP_2) | instskip(NEXT) | instid1(VALU_DEP_1)
	v_max_i32_e32 v1, v1, v10
	v_add3_u32 v1, v1, s18, v5
	s_delay_alu instid0(VALU_DEP_1) | instskip(NEXT) | instid1(VALU_DEP_1)
	v_sub_nc_u32_e32 v1, v1, v9
	v_lshrrev_b32_e32 v5, 3, v1
	s_delay_alu instid0(VALU_DEP_1) | instskip(NEXT) | instid1(VALU_DEP_1)
	v_add_nc_u32_e32 v5, 1, v5
	v_dual_mov_b32 v5, v0 :: v_dual_and_b32 v6, 3, v5
	s_delay_alu instid0(VALU_DEP_1)
	v_cmpx_ne_u32_e32 0, v6
	s_cbranch_execz .LBB91_19
; %bb.16:
	v_dual_mov_b32 v11, 0 :: v_dual_lshlrev_b32 v16, 5, v6
	v_dual_mov_b32 v8, v3 :: v_dual_mov_b32 v7, v2
	v_dual_mov_b32 v5, v0 :: v_dual_mov_b32 v14, 0
	;; [unrolled: 1-line block ×3, first 2 shown]
.LBB91_17:                              ; =>This Inner Loop Header: Depth=1
	s_delay_alu instid0(VALU_DEP_2) | instskip(SKIP_1) | instid1(VALU_DEP_2)
	v_ashrrev_i32_e32 v6, 31, v5
	v_subrev_nc_u32_e32 v16, 32, v16
	v_lshlrev_b64 v[17:18], 2, v[5:6]
	v_add_nc_u32_e32 v5, 8, v5
	s_delay_alu instid0(VALU_DEP_2) | instskip(NEXT) | instid1(VALU_DEP_3)
	v_add_co_u32 v17, vcc_lo, s8, v17
	v_add_co_ci_u32_e32 v18, vcc_lo, s9, v18, vcc_lo
	global_load_b32 v6, v[17:18], off
	global_load_b128 v[17:20], v[7:8], off
	s_waitcnt vmcnt(1)
	v_subrev_nc_u32_e32 v6, s18, v6
	s_delay_alu instid0(VALU_DEP_1) | instskip(NEXT) | instid1(VALU_DEP_1)
	v_lshlrev_b32_e32 v21, 2, v6
	v_ashrrev_i32_e32 v22, 31, v21
	s_delay_alu instid0(VALU_DEP_1) | instskip(SKIP_1) | instid1(VALU_DEP_1)
	v_lshlrev_b64 v[21:22], 1, v[21:22]
	s_waitcnt lgkmcnt(0)
	v_add_co_u32 v25, vcc_lo, s4, v21
	s_delay_alu instid0(VALU_DEP_2)
	v_add_co_ci_u32_e32 v26, vcc_lo, s5, v22, vcc_lo
	global_load_b128 v[21:24], v[7:8], off offset:16
	global_load_b64 v[25:26], v[25:26], off
	v_add_co_u32 v7, vcc_lo, 0x100, v7
	v_add_co_ci_u32_e32 v8, vcc_lo, 0, v8, vcc_lo
	v_cmp_eq_u32_e32 vcc_lo, 0, v16
	s_or_b32 s10, vcc_lo, s10
	s_waitcnt vmcnt(0)
	v_fma_mix_f32 v6, v17, v25, v12 op_sel_hi:[1,1,0]
	v_fma_mix_f32 v12, v19, v25, v14 op_sel_hi:[1,1,0]
	;; [unrolled: 1-line block ×4, first 2 shown]
	s_delay_alu instid0(VALU_DEP_4) | instskip(NEXT) | instid1(VALU_DEP_4)
	v_fma_mix_f32 v6, v17, v25, v6 op_sel:[1,1,0] op_sel_hi:[1,1,0]
	v_fma_mix_f32 v12, v19, v25, v12 op_sel:[1,1,0] op_sel_hi:[1,1,0]
	s_delay_alu instid0(VALU_DEP_4) | instskip(NEXT) | instid1(VALU_DEP_4)
	v_fma_mix_f32 v13, v21, v25, v13 op_sel:[1,1,0] op_sel_hi:[1,1,0]
	v_fma_mix_f32 v11, v23, v25, v11 op_sel:[1,1,0] op_sel_hi:[1,1,0]
	s_delay_alu instid0(VALU_DEP_4) | instskip(NEXT) | instid1(VALU_DEP_4)
	v_fma_mix_f32 v6, v18, v26, v6 op_sel_hi:[1,1,0]
	v_fma_mix_f32 v14, v20, v26, v12 op_sel_hi:[1,1,0]
	s_delay_alu instid0(VALU_DEP_4) | instskip(NEXT) | instid1(VALU_DEP_4)
	v_fma_mix_f32 v13, v22, v26, v13 op_sel_hi:[1,1,0]
	v_fma_mix_f32 v11, v24, v26, v11 op_sel_hi:[1,1,0]
	s_delay_alu instid0(VALU_DEP_4) | instskip(NEXT) | instid1(VALU_DEP_4)
	v_fma_mix_f32 v12, v18, v26, v6 op_sel:[1,1,0] op_sel_hi:[1,1,0]
	v_fma_mix_f32 v14, v20, v26, v14 op_sel:[1,1,0] op_sel_hi:[1,1,0]
	s_delay_alu instid0(VALU_DEP_4) | instskip(NEXT) | instid1(VALU_DEP_4)
	v_fma_mix_f32 v13, v22, v26, v13 op_sel:[1,1,0] op_sel_hi:[1,1,0]
	v_fma_mix_f32 v11, v24, v26, v11 op_sel:[1,1,0] op_sel_hi:[1,1,0]
	s_and_not1_b32 exec_lo, exec_lo, s10
	s_cbranch_execnz .LBB91_17
; %bb.18:
	s_or_b32 exec_lo, exec_lo, s10
.LBB91_19:
	s_delay_alu instid0(SALU_CYCLE_1) | instskip(NEXT) | instid1(SALU_CYCLE_1)
	s_or_b32 exec_lo, exec_lo, s7
	s_mov_b32 s7, exec_lo
	v_cmpx_lt_u32_e32 23, v1
	s_cbranch_execz .LBB91_23
; %bb.20:
	s_mov_b32 s10, 0
.LBB91_21:                              ; =>This Inner Loop Header: Depth=1
	v_ashrrev_i32_e32 v6, 31, v5
	s_delay_alu instid0(VALU_DEP_1) | instskip(SKIP_1) | instid1(VALU_DEP_2)
	v_lshlrev_b64 v[16:17], 2, v[5:6]
	v_add_nc_u32_e32 v5, 32, v5
	v_add_co_u32 v16, vcc_lo, s8, v16
	s_delay_alu instid0(VALU_DEP_3)
	v_add_co_ci_u32_e32 v17, vcc_lo, s9, v17, vcc_lo
	s_clause 0x3
	global_load_b32 v1, v[16:17], off
	global_load_b32 v6, v[16:17], off offset:32
	global_load_b32 v48, v[16:17], off offset:64
	;; [unrolled: 1-line block ×3, first 2 shown]
	s_clause 0x7
	global_load_b128 v[16:19], v[7:8], off
	global_load_b128 v[20:23], v[7:8], off offset:16
	global_load_b128 v[24:27], v[7:8], off offset:256
	global_load_b128 v[28:31], v[7:8], off offset:272
	global_load_b128 v[32:35], v[7:8], off offset:512
	global_load_b128 v[36:39], v[7:8], off offset:528
	global_load_b128 v[40:43], v[7:8], off offset:768
	global_load_b128 v[44:47], v[7:8], off offset:784
	s_waitcnt vmcnt(11)
	v_subrev_nc_u32_e32 v1, s18, v1
	s_waitcnt vmcnt(10)
	v_subrev_nc_u32_e32 v6, s18, v6
	;; [unrolled: 2-line block ×4, first 2 shown]
	v_lshlrev_b32_e32 v48, 2, v1
	v_lshlrev_b32_e32 v50, 2, v6
	;; [unrolled: 1-line block ×3, first 2 shown]
	s_delay_alu instid0(VALU_DEP_4) | instskip(NEXT) | instid1(VALU_DEP_4)
	v_lshlrev_b32_e32 v54, 2, v49
	v_ashrrev_i32_e32 v49, 31, v48
	s_delay_alu instid0(VALU_DEP_4) | instskip(NEXT) | instid1(VALU_DEP_4)
	v_ashrrev_i32_e32 v51, 31, v50
	v_ashrrev_i32_e32 v53, 31, v52
	s_delay_alu instid0(VALU_DEP_4) | instskip(NEXT) | instid1(VALU_DEP_4)
	v_ashrrev_i32_e32 v55, 31, v54
	v_lshlrev_b64 v[48:49], 1, v[48:49]
	s_delay_alu instid0(VALU_DEP_4) | instskip(NEXT) | instid1(VALU_DEP_4)
	v_lshlrev_b64 v[50:51], 1, v[50:51]
	v_lshlrev_b64 v[52:53], 1, v[52:53]
	s_delay_alu instid0(VALU_DEP_4) | instskip(SKIP_1) | instid1(VALU_DEP_4)
	v_lshlrev_b64 v[54:55], 1, v[54:55]
	s_waitcnt lgkmcnt(0)
	v_add_co_u32 v48, vcc_lo, s4, v48
	v_add_co_ci_u32_e32 v49, vcc_lo, s5, v49, vcc_lo
	v_add_co_u32 v50, vcc_lo, s4, v50
	v_add_co_ci_u32_e32 v51, vcc_lo, s5, v51, vcc_lo
	global_load_b64 v[48:49], v[48:49], off
	v_add_co_u32 v52, vcc_lo, s4, v52
	global_load_b64 v[50:51], v[50:51], off
	v_add_co_ci_u32_e32 v53, vcc_lo, s5, v53, vcc_lo
	v_add_co_u32 v54, vcc_lo, s4, v54
	v_add_co_ci_u32_e32 v55, vcc_lo, s5, v55, vcc_lo
	global_load_b64 v[52:53], v[52:53], off
	v_add_co_u32 v7, vcc_lo, 0x400, v7
	global_load_b64 v[54:55], v[54:55], off
	v_add_co_ci_u32_e32 v8, vcc_lo, 0, v8, vcc_lo
	v_cmp_ge_i32_e32 vcc_lo, v5, v10
	s_or_b32 s10, vcc_lo, s10
	s_waitcnt vmcnt(3)
	v_fma_mix_f32 v1, v16, v48, v12 op_sel_hi:[1,1,0]
	v_fma_mix_f32 v6, v18, v48, v14 op_sel_hi:[1,1,0]
	v_fma_mix_f32 v12, v20, v48, v13 op_sel_hi:[1,1,0]
	v_fma_mix_f32 v11, v22, v48, v11 op_sel_hi:[1,1,0]
	s_delay_alu instid0(VALU_DEP_4) | instskip(NEXT) | instid1(VALU_DEP_4)
	v_fma_mix_f32 v1, v16, v48, v1 op_sel:[1,1,0] op_sel_hi:[1,1,0]
	v_fma_mix_f32 v6, v18, v48, v6 op_sel:[1,1,0] op_sel_hi:[1,1,0]
	s_delay_alu instid0(VALU_DEP_4) | instskip(NEXT) | instid1(VALU_DEP_4)
	v_fma_mix_f32 v12, v20, v48, v12 op_sel:[1,1,0] op_sel_hi:[1,1,0]
	v_fma_mix_f32 v11, v22, v48, v11 op_sel:[1,1,0] op_sel_hi:[1,1,0]
	s_delay_alu instid0(VALU_DEP_4) | instskip(NEXT) | instid1(VALU_DEP_4)
	v_fma_mix_f32 v1, v17, v49, v1 op_sel_hi:[1,1,0]
	v_fma_mix_f32 v6, v19, v49, v6 op_sel_hi:[1,1,0]
	s_delay_alu instid0(VALU_DEP_4) | instskip(NEXT) | instid1(VALU_DEP_4)
	v_fma_mix_f32 v12, v21, v49, v12 op_sel_hi:[1,1,0]
	v_fma_mix_f32 v11, v23, v49, v11 op_sel_hi:[1,1,0]
	s_delay_alu instid0(VALU_DEP_4) | instskip(NEXT) | instid1(VALU_DEP_4)
	v_fma_mix_f32 v1, v17, v49, v1 op_sel:[1,1,0] op_sel_hi:[1,1,0]
	v_fma_mix_f32 v6, v19, v49, v6 op_sel:[1,1,0] op_sel_hi:[1,1,0]
	s_delay_alu instid0(VALU_DEP_4) | instskip(NEXT) | instid1(VALU_DEP_4)
	v_fma_mix_f32 v12, v21, v49, v12 op_sel:[1,1,0] op_sel_hi:[1,1,0]
	v_fma_mix_f32 v11, v23, v49, v11 op_sel:[1,1,0] op_sel_hi:[1,1,0]
	s_waitcnt vmcnt(2)
	v_fma_mix_f32 v1, v24, v50, v1 op_sel_hi:[1,1,0]
	v_fma_mix_f32 v6, v26, v50, v6 op_sel_hi:[1,1,0]
	v_fma_mix_f32 v12, v28, v50, v12 op_sel_hi:[1,1,0]
	v_fma_mix_f32 v11, v30, v50, v11 op_sel_hi:[1,1,0]
	s_delay_alu instid0(VALU_DEP_4) | instskip(NEXT) | instid1(VALU_DEP_4)
	v_fma_mix_f32 v1, v24, v50, v1 op_sel:[1,1,0] op_sel_hi:[1,1,0]
	v_fma_mix_f32 v6, v26, v50, v6 op_sel:[1,1,0] op_sel_hi:[1,1,0]
	s_delay_alu instid0(VALU_DEP_4) | instskip(NEXT) | instid1(VALU_DEP_4)
	v_fma_mix_f32 v12, v28, v50, v12 op_sel:[1,1,0] op_sel_hi:[1,1,0]
	v_fma_mix_f32 v11, v30, v50, v11 op_sel:[1,1,0] op_sel_hi:[1,1,0]
	s_delay_alu instid0(VALU_DEP_4) | instskip(NEXT) | instid1(VALU_DEP_4)
	v_fma_mix_f32 v1, v25, v51, v1 op_sel_hi:[1,1,0]
	v_fma_mix_f32 v6, v27, v51, v6 op_sel_hi:[1,1,0]
	s_delay_alu instid0(VALU_DEP_4) | instskip(NEXT) | instid1(VALU_DEP_4)
	v_fma_mix_f32 v12, v29, v51, v12 op_sel_hi:[1,1,0]
	v_fma_mix_f32 v11, v31, v51, v11 op_sel_hi:[1,1,0]
	s_delay_alu instid0(VALU_DEP_4) | instskip(NEXT) | instid1(VALU_DEP_4)
	v_fma_mix_f32 v1, v25, v51, v1 op_sel:[1,1,0] op_sel_hi:[1,1,0]
	v_fma_mix_f32 v6, v27, v51, v6 op_sel:[1,1,0] op_sel_hi:[1,1,0]
	s_delay_alu instid0(VALU_DEP_4) | instskip(NEXT) | instid1(VALU_DEP_4)
	v_fma_mix_f32 v12, v29, v51, v12 op_sel:[1,1,0] op_sel_hi:[1,1,0]
	v_fma_mix_f32 v11, v31, v51, v11 op_sel:[1,1,0] op_sel_hi:[1,1,0]
	;; [unrolled: 23-line block ×4, first 2 shown]
	s_and_not1_b32 exec_lo, exec_lo, s10
	s_cbranch_execnz .LBB91_21
; %bb.22:
	s_or_b32 exec_lo, exec_lo, s10
.LBB91_23:
	s_delay_alu instid0(SALU_CYCLE_1)
	s_or_b32 exec_lo, exec_lo, s7
.LBB91_24:
	s_delay_alu instid0(SALU_CYCLE_1) | instskip(NEXT) | instid1(SALU_CYCLE_1)
	s_or_b32 exec_lo, exec_lo, s6
	s_and_not1_b32 vcc_lo, exec_lo, s3
	s_cbranch_vccz .LBB91_26
	s_branch .LBB91_37
.LBB91_25:
                                        ; implicit-def: $vgpr11
                                        ; implicit-def: $vgpr13
                                        ; implicit-def: $vgpr14
                                        ; implicit-def: $vgpr12
.LBB91_26:
	v_dual_mov_b32 v11, 0 :: v_dual_mov_b32 v14, 0
	v_dual_mov_b32 v13, 0 :: v_dual_mov_b32 v12, 0
	s_and_saveexec_b32 s3, s2
	s_cbranch_execz .LBB91_36
; %bb.27:
	v_dual_mov_b32 v12, 0 :: v_dual_add_nc_u32 v1, v15, v9
	v_not_b32_e32 v5, v15
	v_mov_b32_e32 v13, 0
	v_mov_b32_e32 v11, 0
	s_delay_alu instid0(VALU_DEP_4) | instskip(SKIP_2) | instid1(VALU_DEP_1)
	v_subrev_nc_u32_e32 v1, s18, v1
	s_mov_b32 s6, 0
	s_mov_b32 s2, exec_lo
	v_dual_mov_b32 v14, 0 :: v_dual_add_nc_u32 v1, 8, v1
	s_delay_alu instid0(VALU_DEP_1) | instskip(NEXT) | instid1(VALU_DEP_1)
	v_max_i32_e32 v1, v1, v10
	v_add3_u32 v1, v1, s18, v5
	s_delay_alu instid0(VALU_DEP_1) | instskip(NEXT) | instid1(VALU_DEP_1)
	v_sub_nc_u32_e32 v5, v1, v9
	v_lshrrev_b32_e32 v1, 3, v5
	s_delay_alu instid0(VALU_DEP_1) | instskip(NEXT) | instid1(VALU_DEP_1)
	v_add_nc_u32_e32 v1, 1, v1
	v_and_b32_e32 v1, 3, v1
	s_delay_alu instid0(VALU_DEP_1)
	v_cmpx_ne_u32_e32 0, v1
	s_cbranch_execz .LBB91_31
; %bb.28:
	v_dual_mov_b32 v11, 0 :: v_dual_lshlrev_b32 v6, 5, v1
	v_dual_mov_b32 v13, 0 :: v_dual_mov_b32 v14, 0
	v_mov_b32_e32 v12, 0
.LBB91_29:                              ; =>This Inner Loop Header: Depth=1
	v_ashrrev_i32_e32 v1, 31, v0
	s_delay_alu instid0(VALU_DEP_4) | instskip(NEXT) | instid1(VALU_DEP_2)
	v_subrev_nc_u32_e32 v6, 32, v6
	v_lshlrev_b64 v[7:8], 2, v[0:1]
	v_add_nc_u32_e32 v0, 8, v0
	s_delay_alu instid0(VALU_DEP_2) | instskip(NEXT) | instid1(VALU_DEP_3)
	v_add_co_u32 v7, vcc_lo, s8, v7
	v_add_co_ci_u32_e32 v8, vcc_lo, s9, v8, vcc_lo
	global_load_b32 v1, v[7:8], off
	s_waitcnt vmcnt(0)
	v_subrev_nc_u32_e32 v1, s18, v1
	s_delay_alu instid0(VALU_DEP_1) | instskip(NEXT) | instid1(VALU_DEP_1)
	v_lshlrev_b32_e32 v7, 2, v1
	v_ashrrev_i32_e32 v8, 31, v7
	s_delay_alu instid0(VALU_DEP_1) | instskip(SKIP_1) | instid1(VALU_DEP_1)
	v_lshlrev_b64 v[7:8], 1, v[7:8]
	s_waitcnt lgkmcnt(0)
	v_add_co_u32 v7, vcc_lo, s4, v7
	s_delay_alu instid0(VALU_DEP_2)
	v_add_co_ci_u32_e32 v8, vcc_lo, s5, v8, vcc_lo
	global_load_b128 v[15:18], v[2:3], off
	global_load_b64 v[7:8], v[7:8], off
	global_load_b128 v[19:22], v[2:3], off offset:16
	v_add_co_u32 v2, vcc_lo, 0x100, v2
	v_add_co_ci_u32_e32 v3, vcc_lo, 0, v3, vcc_lo
	v_cmp_eq_u32_e32 vcc_lo, 0, v6
	s_or_b32 s6, vcc_lo, s6
	s_waitcnt vmcnt(1)
	v_fma_mix_f32 v1, v15, v7, v12 op_sel_hi:[1,1,0]
	v_fma_mix_f32 v12, v15, v7, v14 op_sel:[1,0,0] op_sel_hi:[1,1,0]
	v_fma_mix_f32 v13, v16, v7, v13 op_sel_hi:[1,1,0]
	v_fma_mix_f32 v11, v16, v7, v11 op_sel:[1,0,0] op_sel_hi:[1,1,0]
	s_delay_alu instid0(VALU_DEP_4) | instskip(NEXT) | instid1(VALU_DEP_4)
	v_fma_mix_f32 v1, v17, v7, v1 op_sel:[0,1,0] op_sel_hi:[1,1,0]
	v_fma_mix_f32 v12, v17, v7, v12 op_sel:[1,1,0] op_sel_hi:[1,1,0]
	s_delay_alu instid0(VALU_DEP_4) | instskip(NEXT) | instid1(VALU_DEP_4)
	v_fma_mix_f32 v13, v18, v7, v13 op_sel:[0,1,0] op_sel_hi:[1,1,0]
	v_fma_mix_f32 v7, v18, v7, v11 op_sel:[1,1,0] op_sel_hi:[1,1,0]
	s_waitcnt vmcnt(0)
	v_fma_mix_f32 v1, v19, v8, v1 op_sel_hi:[1,1,0]
	v_fma_mix_f32 v11, v19, v8, v12 op_sel:[1,0,0] op_sel_hi:[1,1,0]
	v_fma_mix_f32 v13, v20, v8, v13 op_sel_hi:[1,1,0]
	v_fma_mix_f32 v7, v20, v8, v7 op_sel:[1,0,0] op_sel_hi:[1,1,0]
	s_delay_alu instid0(VALU_DEP_4) | instskip(NEXT) | instid1(VALU_DEP_4)
	v_fma_mix_f32 v12, v21, v8, v1 op_sel:[0,1,0] op_sel_hi:[1,1,0]
	v_fma_mix_f32 v14, v21, v8, v11 op_sel:[1,1,0] op_sel_hi:[1,1,0]
	s_delay_alu instid0(VALU_DEP_4) | instskip(NEXT) | instid1(VALU_DEP_4)
	v_fma_mix_f32 v13, v22, v8, v13 op_sel:[0,1,0] op_sel_hi:[1,1,0]
	v_fma_mix_f32 v11, v22, v8, v7 op_sel:[1,1,0] op_sel_hi:[1,1,0]
	s_and_not1_b32 exec_lo, exec_lo, s6
	s_cbranch_execnz .LBB91_29
; %bb.30:
	s_or_b32 exec_lo, exec_lo, s6
.LBB91_31:
	s_delay_alu instid0(SALU_CYCLE_1) | instskip(NEXT) | instid1(SALU_CYCLE_1)
	s_or_b32 exec_lo, exec_lo, s2
	s_mov_b32 s2, exec_lo
	v_cmpx_lt_u32_e32 23, v5
	s_cbranch_execz .LBB91_35
; %bb.32:
	s_mov_b32 s6, 0
.LBB91_33:                              ; =>This Inner Loop Header: Depth=1
	v_ashrrev_i32_e32 v1, 31, v0
	s_delay_alu instid0(VALU_DEP_1) | instskip(SKIP_1) | instid1(VALU_DEP_2)
	v_lshlrev_b64 v[5:6], 2, v[0:1]
	v_add_nc_u32_e32 v0, 32, v0
	v_add_co_u32 v5, vcc_lo, s8, v5
	s_delay_alu instid0(VALU_DEP_3)
	v_add_co_ci_u32_e32 v6, vcc_lo, s9, v6, vcc_lo
	s_clause 0x3
	global_load_b32 v1, v[5:6], off
	global_load_b32 v39, v[5:6], off offset:32
	global_load_b32 v40, v[5:6], off offset:64
	;; [unrolled: 1-line block ×3, first 2 shown]
	s_clause 0x6
	global_load_b128 v[5:8], v[2:3], off
	global_load_b128 v[15:18], v[2:3], off offset:16
	global_load_b128 v[19:22], v[2:3], off offset:256
	;; [unrolled: 1-line block ×6, first 2 shown]
	s_waitcnt vmcnt(10)
	v_subrev_nc_u32_e32 v1, s18, v1
	s_waitcnt vmcnt(9)
	v_subrev_nc_u32_e32 v42, s18, v39
	;; [unrolled: 2-line block ×4, first 2 shown]
	v_lshlrev_b32_e32 v39, 2, v1
	v_lshlrev_b32_e32 v41, 2, v42
	;; [unrolled: 1-line block ×3, first 2 shown]
	s_delay_alu instid0(VALU_DEP_4) | instskip(NEXT) | instid1(VALU_DEP_4)
	v_lshlrev_b32_e32 v45, 2, v44
	v_ashrrev_i32_e32 v40, 31, v39
	s_delay_alu instid0(VALU_DEP_4) | instskip(NEXT) | instid1(VALU_DEP_4)
	v_ashrrev_i32_e32 v42, 31, v41
	v_ashrrev_i32_e32 v44, 31, v43
	s_delay_alu instid0(VALU_DEP_4) | instskip(NEXT) | instid1(VALU_DEP_4)
	v_ashrrev_i32_e32 v46, 31, v45
	v_lshlrev_b64 v[39:40], 1, v[39:40]
	s_waitcnt lgkmcnt(0)
	s_delay_alu instid0(VALU_DEP_1) | instskip(NEXT) | instid1(VALU_DEP_2)
	v_add_co_u32 v39, vcc_lo, s4, v39
	v_add_co_ci_u32_e32 v40, vcc_lo, s5, v40, vcc_lo
	global_load_b64 v[47:48], v[39:40], off
	v_lshlrev_b64 v[39:40], 1, v[41:42]
	s_delay_alu instid0(VALU_DEP_1) | instskip(NEXT) | instid1(VALU_DEP_2)
	v_add_co_u32 v39, vcc_lo, s4, v39
	v_add_co_ci_u32_e32 v40, vcc_lo, s5, v40, vcc_lo
	global_load_b64 v[49:50], v[39:40], off
	v_lshlrev_b64 v[39:40], 1, v[43:44]
	;; [unrolled: 5-line block ×3, first 2 shown]
	s_delay_alu instid0(VALU_DEP_1) | instskip(NEXT) | instid1(VALU_DEP_2)
	v_add_co_u32 v39, vcc_lo, s4, v39
	v_add_co_ci_u32_e32 v40, vcc_lo, s5, v40, vcc_lo
	global_load_b64 v[45:46], v[39:40], off
	global_load_b128 v[39:42], v[2:3], off offset:784
	v_add_co_u32 v2, vcc_lo, 0x400, v2
	v_add_co_ci_u32_e32 v3, vcc_lo, 0, v3, vcc_lo
	v_cmp_ge_i32_e32 vcc_lo, v0, v10
	s_or_b32 s6, vcc_lo, s6
	s_waitcnt vmcnt(4)
	v_fma_mix_f32 v1, v5, v47, v12 op_sel_hi:[1,1,0]
	v_fma_mix_f32 v5, v5, v47, v14 op_sel:[1,0,0] op_sel_hi:[1,1,0]
	v_fma_mix_f32 v12, v6, v47, v13 op_sel_hi:[1,1,0]
	v_fma_mix_f32 v6, v6, v47, v11 op_sel:[1,0,0] op_sel_hi:[1,1,0]
	s_delay_alu instid0(VALU_DEP_4) | instskip(NEXT) | instid1(VALU_DEP_4)
	v_fma_mix_f32 v1, v7, v47, v1 op_sel:[0,1,0] op_sel_hi:[1,1,0]
	v_fma_mix_f32 v5, v7, v47, v5 op_sel:[1,1,0] op_sel_hi:[1,1,0]
	s_delay_alu instid0(VALU_DEP_4) | instskip(NEXT) | instid1(VALU_DEP_4)
	v_fma_mix_f32 v7, v8, v47, v12 op_sel:[0,1,0] op_sel_hi:[1,1,0]
	v_fma_mix_f32 v6, v8, v47, v6 op_sel:[1,1,0] op_sel_hi:[1,1,0]
	s_delay_alu instid0(VALU_DEP_4) | instskip(NEXT) | instid1(VALU_DEP_4)
	v_fma_mix_f32 v1, v15, v48, v1 op_sel_hi:[1,1,0]
	v_fma_mix_f32 v5, v15, v48, v5 op_sel:[1,0,0] op_sel_hi:[1,1,0]
	s_delay_alu instid0(VALU_DEP_4) | instskip(NEXT) | instid1(VALU_DEP_4)
	v_fma_mix_f32 v7, v16, v48, v7 op_sel_hi:[1,1,0]
	v_fma_mix_f32 v6, v16, v48, v6 op_sel:[1,0,0] op_sel_hi:[1,1,0]
	s_delay_alu instid0(VALU_DEP_4) | instskip(NEXT) | instid1(VALU_DEP_4)
	v_fma_mix_f32 v1, v17, v48, v1 op_sel:[0,1,0] op_sel_hi:[1,1,0]
	v_fma_mix_f32 v5, v17, v48, v5 op_sel:[1,1,0] op_sel_hi:[1,1,0]
	s_delay_alu instid0(VALU_DEP_4) | instskip(NEXT) | instid1(VALU_DEP_4)
	v_fma_mix_f32 v7, v18, v48, v7 op_sel:[0,1,0] op_sel_hi:[1,1,0]
	v_fma_mix_f32 v6, v18, v48, v6 op_sel:[1,1,0] op_sel_hi:[1,1,0]
	s_waitcnt vmcnt(3)
	v_fma_mix_f32 v1, v19, v49, v1 op_sel_hi:[1,1,0]
	v_fma_mix_f32 v5, v19, v49, v5 op_sel:[1,0,0] op_sel_hi:[1,1,0]
	v_fma_mix_f32 v7, v20, v49, v7 op_sel_hi:[1,1,0]
	v_fma_mix_f32 v6, v20, v49, v6 op_sel:[1,0,0] op_sel_hi:[1,1,0]
	s_delay_alu instid0(VALU_DEP_4) | instskip(NEXT) | instid1(VALU_DEP_4)
	v_fma_mix_f32 v1, v21, v49, v1 op_sel:[0,1,0] op_sel_hi:[1,1,0]
	v_fma_mix_f32 v5, v21, v49, v5 op_sel:[1,1,0] op_sel_hi:[1,1,0]
	s_delay_alu instid0(VALU_DEP_4) | instskip(NEXT) | instid1(VALU_DEP_4)
	v_fma_mix_f32 v7, v22, v49, v7 op_sel:[0,1,0] op_sel_hi:[1,1,0]
	v_fma_mix_f32 v6, v22, v49, v6 op_sel:[1,1,0] op_sel_hi:[1,1,0]
	s_delay_alu instid0(VALU_DEP_4) | instskip(NEXT) | instid1(VALU_DEP_4)
	v_fma_mix_f32 v1, v23, v50, v1 op_sel_hi:[1,1,0]
	v_fma_mix_f32 v5, v23, v50, v5 op_sel:[1,0,0] op_sel_hi:[1,1,0]
	s_delay_alu instid0(VALU_DEP_4) | instskip(NEXT) | instid1(VALU_DEP_4)
	v_fma_mix_f32 v7, v24, v50, v7 op_sel_hi:[1,1,0]
	v_fma_mix_f32 v6, v24, v50, v6 op_sel:[1,0,0] op_sel_hi:[1,1,0]
	s_delay_alu instid0(VALU_DEP_4) | instskip(NEXT) | instid1(VALU_DEP_4)
	v_fma_mix_f32 v1, v25, v50, v1 op_sel:[0,1,0] op_sel_hi:[1,1,0]
	v_fma_mix_f32 v5, v25, v50, v5 op_sel:[1,1,0] op_sel_hi:[1,1,0]
	s_delay_alu instid0(VALU_DEP_4) | instskip(NEXT) | instid1(VALU_DEP_4)
	v_fma_mix_f32 v7, v26, v50, v7 op_sel:[0,1,0] op_sel_hi:[1,1,0]
	v_fma_mix_f32 v6, v26, v50, v6 op_sel:[1,1,0] op_sel_hi:[1,1,0]
	;; [unrolled: 23-line block ×3, first 2 shown]
	s_waitcnt vmcnt(1)
	v_fma_mix_f32 v1, v35, v45, v1 op_sel_hi:[1,1,0]
	v_fma_mix_f32 v5, v35, v45, v5 op_sel:[1,0,0] op_sel_hi:[1,1,0]
	v_fma_mix_f32 v7, v36, v45, v7 op_sel_hi:[1,1,0]
	v_fma_mix_f32 v6, v36, v45, v6 op_sel:[1,0,0] op_sel_hi:[1,1,0]
	s_delay_alu instid0(VALU_DEP_4) | instskip(NEXT) | instid1(VALU_DEP_4)
	v_fma_mix_f32 v1, v37, v45, v1 op_sel:[0,1,0] op_sel_hi:[1,1,0]
	v_fma_mix_f32 v5, v37, v45, v5 op_sel:[1,1,0] op_sel_hi:[1,1,0]
	s_delay_alu instid0(VALU_DEP_4) | instskip(NEXT) | instid1(VALU_DEP_4)
	v_fma_mix_f32 v7, v38, v45, v7 op_sel:[0,1,0] op_sel_hi:[1,1,0]
	v_fma_mix_f32 v6, v38, v45, v6 op_sel:[1,1,0] op_sel_hi:[1,1,0]
	s_waitcnt vmcnt(0)
	v_fma_mix_f32 v1, v39, v46, v1 op_sel_hi:[1,1,0]
	v_fma_mix_f32 v5, v39, v46, v5 op_sel:[1,0,0] op_sel_hi:[1,1,0]
	v_fma_mix_f32 v7, v40, v46, v7 op_sel_hi:[1,1,0]
	v_fma_mix_f32 v6, v40, v46, v6 op_sel:[1,0,0] op_sel_hi:[1,1,0]
	s_delay_alu instid0(VALU_DEP_4) | instskip(NEXT) | instid1(VALU_DEP_4)
	v_fma_mix_f32 v12, v41, v46, v1 op_sel:[0,1,0] op_sel_hi:[1,1,0]
	v_fma_mix_f32 v14, v41, v46, v5 op_sel:[1,1,0] op_sel_hi:[1,1,0]
	s_delay_alu instid0(VALU_DEP_4) | instskip(NEXT) | instid1(VALU_DEP_4)
	v_fma_mix_f32 v13, v42, v46, v7 op_sel:[0,1,0] op_sel_hi:[1,1,0]
	v_fma_mix_f32 v11, v42, v46, v6 op_sel:[1,1,0] op_sel_hi:[1,1,0]
	s_and_not1_b32 exec_lo, exec_lo, s6
	s_cbranch_execnz .LBB91_33
; %bb.34:
	s_or_b32 exec_lo, exec_lo, s6
.LBB91_35:
	s_delay_alu instid0(SALU_CYCLE_1)
	s_or_b32 exec_lo, exec_lo, s2
.LBB91_36:
	s_delay_alu instid0(SALU_CYCLE_1)
	s_or_b32 exec_lo, exec_lo, s3
.LBB91_37:
	v_mbcnt_lo_u32_b32 v0, -1, 0
	s_mov_b32 s2, -1
	s_delay_alu instid0(VALU_DEP_1) | instskip(SKIP_1) | instid1(VALU_DEP_2)
	v_xor_b32_e32 v1, 4, v0
	v_xor_b32_e32 v6, 2, v0
	v_cmp_gt_i32_e32 vcc_lo, 32, v1
	v_cndmask_b32_e32 v1, v0, v1, vcc_lo
	s_delay_alu instid0(VALU_DEP_3) | instskip(SKIP_1) | instid1(VALU_DEP_1)
	v_cmp_gt_i32_e32 vcc_lo, 32, v6
	v_cndmask_b32_e32 v6, v0, v6, vcc_lo
	v_lshlrev_b32_e32 v6, 2, v6
	s_delay_alu instid0(VALU_DEP_4)
	v_lshlrev_b32_e32 v1, 2, v1
	ds_bpermute_b32 v2, v1, v12
	s_waitcnt lgkmcnt(0)
	v_add_f32_e32 v2, v12, v2
	ds_bpermute_b32 v3, v1, v14
	ds_bpermute_b32 v5, v1, v13
	;; [unrolled: 1-line block ×3, first 2 shown]
	s_waitcnt lgkmcnt(2)
	v_add_f32_e32 v3, v14, v3
	s_waitcnt lgkmcnt(0)
	v_add_f32_e32 v7, v11, v1
	v_xor_b32_e32 v11, 1, v0
	ds_bpermute_b32 v1, v6, v2
	ds_bpermute_b32 v8, v6, v3
	v_cmp_gt_i32_e32 vcc_lo, 32, v11
	v_dual_add_f32 v5, v13, v5 :: v_dual_cndmask_b32 v0, v0, v11
	ds_bpermute_b32 v10, v6, v5
	v_cmp_eq_u32_e32 vcc_lo, 7, v9
	s_waitcnt lgkmcnt(2)
	v_dual_add_f32 v0, v2, v1 :: v_dual_lshlrev_b32 v11, 2, v0
	s_waitcnt lgkmcnt(0)
	v_dual_add_f32 v1, v3, v8 :: v_dual_add_f32 v2, v5, v10
	ds_bpermute_b32 v6, v6, v7
	ds_bpermute_b32 v5, v11, v0
	s_waitcnt lgkmcnt(1)
	v_add_f32_e32 v3, v7, v6
	ds_bpermute_b32 v6, v11, v1
	ds_bpermute_b32 v7, v11, v2
	;; [unrolled: 1-line block ×3, first 2 shown]
	s_and_b32 exec_lo, exec_lo, vcc_lo
	s_cbranch_execz .LBB91_10
; %bb.38:
	s_load_b64 s[0:1], s[0:1], 0x50
	s_waitcnt lgkmcnt(0)
	v_dual_add_f32 v0, v0, v5 :: v_dual_add_f32 v1, v1, v6
	v_dual_add_f32 v2, v2, v7 :: v_dual_add_f32 v3, v3, v8
	v_cmp_eq_f32_e64 s3, s12, 0
	s_delay_alu instid0(VALU_DEP_3) | instskip(NEXT) | instid1(VALU_DEP_3)
	v_dual_mul_f32 v0, s16, v0 :: v_dual_mul_f32 v1, s16, v1
	v_dual_mul_f32 v2, s16, v2 :: v_dual_mul_f32 v3, s16, v3
	v_lshlrev_b32_e32 v4, 2, v4
	s_delay_alu instid0(VALU_DEP_4)
	s_and_b32 vcc_lo, exec_lo, s3
	s_cbranch_vccz .LBB91_40
; %bb.39:
	s_delay_alu instid0(VALU_DEP_1) | instskip(SKIP_1) | instid1(VALU_DEP_1)
	v_ashrrev_i32_e32 v5, 31, v4
	s_mov_b32 s2, 0
	v_lshlrev_b64 v[5:6], 2, v[4:5]
	s_delay_alu instid0(VALU_DEP_1) | instskip(NEXT) | instid1(VALU_DEP_2)
	v_add_co_u32 v5, vcc_lo, s0, v5
	v_add_co_ci_u32_e32 v6, vcc_lo, s1, v6, vcc_lo
	global_store_b128 v[5:6], v[0:3], off
.LBB91_40:
	s_and_not1_b32 vcc_lo, exec_lo, s2
	s_cbranch_vccnz .LBB91_10
; %bb.41:
	v_ashrrev_i32_e32 v5, 31, v4
	s_delay_alu instid0(VALU_DEP_1) | instskip(NEXT) | instid1(VALU_DEP_1)
	v_lshlrev_b64 v[4:5], 2, v[4:5]
	v_add_co_u32 v8, vcc_lo, s0, v4
	s_delay_alu instid0(VALU_DEP_2)
	v_add_co_ci_u32_e32 v9, vcc_lo, s1, v5, vcc_lo
	global_load_b128 v[4:7], v[8:9], off
	s_waitcnt vmcnt(0)
	v_dual_fmac_f32 v0, s12, v4 :: v_dual_fmac_f32 v1, s12, v5
	v_dual_fmac_f32 v2, s12, v6 :: v_dual_fmac_f32 v3, s12, v7
	global_store_b128 v[8:9], v[0:3], off
	s_nop 0
	s_sendmsg sendmsg(MSG_DEALLOC_VGPRS)
	s_endpgm
	.section	.rodata,"a",@progbits
	.p2align	6, 0x0
	.amdhsa_kernel _ZN9rocsparseL18bsrxmvn_4x4_kernelILj128ELj8EfiiDF16_DF16_fEEvT3_20rocsparse_direction_NS_24const_host_device_scalarIT1_EES1_PKS1_PKT2_SA_S7_PKT4_PKT5_S5_PT6_21rocsparse_index_base_b
		.amdhsa_group_segment_fixed_size 0
		.amdhsa_private_segment_fixed_size 0
		.amdhsa_kernarg_size 96
		.amdhsa_user_sgpr_count 15
		.amdhsa_user_sgpr_dispatch_ptr 0
		.amdhsa_user_sgpr_queue_ptr 0
		.amdhsa_user_sgpr_kernarg_segment_ptr 1
		.amdhsa_user_sgpr_dispatch_id 0
		.amdhsa_user_sgpr_private_segment_size 0
		.amdhsa_wavefront_size32 1
		.amdhsa_uses_dynamic_stack 0
		.amdhsa_enable_private_segment 0
		.amdhsa_system_sgpr_workgroup_id_x 1
		.amdhsa_system_sgpr_workgroup_id_y 0
		.amdhsa_system_sgpr_workgroup_id_z 0
		.amdhsa_system_sgpr_workgroup_info 0
		.amdhsa_system_vgpr_workitem_id 0
		.amdhsa_next_free_vgpr 56
		.amdhsa_next_free_sgpr 20
		.amdhsa_reserve_vcc 1
		.amdhsa_float_round_mode_32 0
		.amdhsa_float_round_mode_16_64 0
		.amdhsa_float_denorm_mode_32 3
		.amdhsa_float_denorm_mode_16_64 3
		.amdhsa_dx10_clamp 1
		.amdhsa_ieee_mode 1
		.amdhsa_fp16_overflow 0
		.amdhsa_workgroup_processor_mode 1
		.amdhsa_memory_ordered 1
		.amdhsa_forward_progress 0
		.amdhsa_shared_vgpr_count 0
		.amdhsa_exception_fp_ieee_invalid_op 0
		.amdhsa_exception_fp_denorm_src 0
		.amdhsa_exception_fp_ieee_div_zero 0
		.amdhsa_exception_fp_ieee_overflow 0
		.amdhsa_exception_fp_ieee_underflow 0
		.amdhsa_exception_fp_ieee_inexact 0
		.amdhsa_exception_int_div_zero 0
	.end_amdhsa_kernel
	.section	.text._ZN9rocsparseL18bsrxmvn_4x4_kernelILj128ELj8EfiiDF16_DF16_fEEvT3_20rocsparse_direction_NS_24const_host_device_scalarIT1_EES1_PKS1_PKT2_SA_S7_PKT4_PKT5_S5_PT6_21rocsparse_index_base_b,"axG",@progbits,_ZN9rocsparseL18bsrxmvn_4x4_kernelILj128ELj8EfiiDF16_DF16_fEEvT3_20rocsparse_direction_NS_24const_host_device_scalarIT1_EES1_PKS1_PKT2_SA_S7_PKT4_PKT5_S5_PT6_21rocsparse_index_base_b,comdat
.Lfunc_end91:
	.size	_ZN9rocsparseL18bsrxmvn_4x4_kernelILj128ELj8EfiiDF16_DF16_fEEvT3_20rocsparse_direction_NS_24const_host_device_scalarIT1_EES1_PKS1_PKT2_SA_S7_PKT4_PKT5_S5_PT6_21rocsparse_index_base_b, .Lfunc_end91-_ZN9rocsparseL18bsrxmvn_4x4_kernelILj128ELj8EfiiDF16_DF16_fEEvT3_20rocsparse_direction_NS_24const_host_device_scalarIT1_EES1_PKS1_PKT2_SA_S7_PKT4_PKT5_S5_PT6_21rocsparse_index_base_b
                                        ; -- End function
	.section	.AMDGPU.csdata,"",@progbits
; Kernel info:
; codeLenInByte = 3992
; NumSgprs: 22
; NumVgprs: 56
; ScratchSize: 0
; MemoryBound: 0
; FloatMode: 240
; IeeeMode: 1
; LDSByteSize: 0 bytes/workgroup (compile time only)
; SGPRBlocks: 2
; VGPRBlocks: 6
; NumSGPRsForWavesPerEU: 22
; NumVGPRsForWavesPerEU: 56
; Occupancy: 16
; WaveLimiterHint : 1
; COMPUTE_PGM_RSRC2:SCRATCH_EN: 0
; COMPUTE_PGM_RSRC2:USER_SGPR: 15
; COMPUTE_PGM_RSRC2:TRAP_HANDLER: 0
; COMPUTE_PGM_RSRC2:TGID_X_EN: 1
; COMPUTE_PGM_RSRC2:TGID_Y_EN: 0
; COMPUTE_PGM_RSRC2:TGID_Z_EN: 0
; COMPUTE_PGM_RSRC2:TIDIG_COMP_CNT: 0
	.section	.text._ZN9rocsparseL18bsrxmvn_4x4_kernelILj128ELj16EfiiDF16_DF16_fEEvT3_20rocsparse_direction_NS_24const_host_device_scalarIT1_EES1_PKS1_PKT2_SA_S7_PKT4_PKT5_S5_PT6_21rocsparse_index_base_b,"axG",@progbits,_ZN9rocsparseL18bsrxmvn_4x4_kernelILj128ELj16EfiiDF16_DF16_fEEvT3_20rocsparse_direction_NS_24const_host_device_scalarIT1_EES1_PKS1_PKT2_SA_S7_PKT4_PKT5_S5_PT6_21rocsparse_index_base_b,comdat
	.globl	_ZN9rocsparseL18bsrxmvn_4x4_kernelILj128ELj16EfiiDF16_DF16_fEEvT3_20rocsparse_direction_NS_24const_host_device_scalarIT1_EES1_PKS1_PKT2_SA_S7_PKT4_PKT5_S5_PT6_21rocsparse_index_base_b ; -- Begin function _ZN9rocsparseL18bsrxmvn_4x4_kernelILj128ELj16EfiiDF16_DF16_fEEvT3_20rocsparse_direction_NS_24const_host_device_scalarIT1_EES1_PKS1_PKT2_SA_S7_PKT4_PKT5_S5_PT6_21rocsparse_index_base_b
	.p2align	8
	.type	_ZN9rocsparseL18bsrxmvn_4x4_kernelILj128ELj16EfiiDF16_DF16_fEEvT3_20rocsparse_direction_NS_24const_host_device_scalarIT1_EES1_PKS1_PKT2_SA_S7_PKT4_PKT5_S5_PT6_21rocsparse_index_base_b,@function
_ZN9rocsparseL18bsrxmvn_4x4_kernelILj128ELj16EfiiDF16_DF16_fEEvT3_20rocsparse_direction_NS_24const_host_device_scalarIT1_EES1_PKS1_PKT2_SA_S7_PKT4_PKT5_S5_PT6_21rocsparse_index_base_b: ; @_ZN9rocsparseL18bsrxmvn_4x4_kernelILj128ELj16EfiiDF16_DF16_fEEvT3_20rocsparse_direction_NS_24const_host_device_scalarIT1_EES1_PKS1_PKT2_SA_S7_PKT4_PKT5_S5_PT6_21rocsparse_index_base_b
; %bb.0:
	s_clause 0x2
	s_load_b64 s[18:19], s[0:1], 0x58
	s_load_b64 s[16:17], s[0:1], 0x8
	;; [unrolled: 1-line block ×3, first 2 shown]
	s_waitcnt lgkmcnt(0)
	s_bitcmp1_b32 s19, 0
	s_cselect_b32 s2, -1, 0
	s_delay_alu instid0(SALU_CYCLE_1)
	s_and_b32 vcc_lo, exec_lo, s2
	s_xor_b32 s2, s2, -1
	s_cbranch_vccnz .LBB92_2
; %bb.1:
	s_load_b32 s16, s[16:17], 0x0
.LBB92_2:
	s_and_not1_b32 vcc_lo, exec_lo, s2
	s_cbranch_vccnz .LBB92_4
; %bb.3:
	s_load_b32 s12, s[12:13], 0x0
.LBB92_4:
	s_waitcnt lgkmcnt(0)
	v_cmp_neq_f32_e64 s2, s16, 0
	v_cmp_neq_f32_e64 s3, s12, 1.0
	s_mov_b32 s6, 0
	s_delay_alu instid0(VALU_DEP_1) | instskip(NEXT) | instid1(SALU_CYCLE_1)
	s_or_b32 s2, s2, s3
	s_and_not1_b32 vcc_lo, exec_lo, s2
	s_cbranch_vccnz .LBB92_10
; %bb.5:
	s_clause 0x1
	s_load_b64 s[4:5], s[0:1], 0x18
	s_load_b64 s[2:3], s[0:1], 0x0
	v_lshrrev_b32_e32 v1, 4, v0
	s_delay_alu instid0(VALU_DEP_1)
	v_lshl_or_b32 v4, s15, 3, v1
	s_waitcnt lgkmcnt(0)
	s_cmp_lg_u64 s[4:5], 0
	s_cbranch_scc0 .LBB92_11
; %bb.6:
	s_load_b32 s6, s[0:1], 0x10
	s_mov_b32 s7, 0
                                        ; implicit-def: $vgpr1
	s_waitcnt lgkmcnt(0)
	v_cmp_gt_i32_e32 vcc_lo, s6, v4
	s_mov_b32 s6, 0
	s_and_saveexec_b32 s8, vcc_lo
	s_delay_alu instid0(SALU_CYCLE_1)
	s_xor_b32 s8, exec_lo, s8
	s_cbranch_execz .LBB92_8
; %bb.7:
	v_ashrrev_i32_e32 v5, 31, v4
	s_mov_b32 s6, exec_lo
	s_delay_alu instid0(VALU_DEP_1) | instskip(NEXT) | instid1(VALU_DEP_1)
	v_lshlrev_b64 v[1:2], 2, v[4:5]
	v_add_co_u32 v1, vcc_lo, s4, v1
	s_delay_alu instid0(VALU_DEP_2)
	v_add_co_ci_u32_e32 v2, vcc_lo, s5, v2, vcc_lo
	global_load_b32 v1, v[1:2], off
	s_waitcnt vmcnt(0)
	v_subrev_nc_u32_e32 v1, s18, v1
.LBB92_8:
	s_or_b32 exec_lo, exec_lo, s8
	s_delay_alu instid0(SALU_CYCLE_1)
	s_and_b32 vcc_lo, exec_lo, s7
	s_cbranch_vccz .LBB92_12
.LBB92_9:
	v_cmp_gt_i32_e32 vcc_lo, s2, v4
	s_and_not1_b32 s2, s6, exec_lo
	s_and_b32 s4, vcc_lo, exec_lo
	s_delay_alu instid0(SALU_CYCLE_1) | instskip(NEXT) | instid1(SALU_CYCLE_1)
	s_or_b32 s6, s2, s4
	s_and_saveexec_b32 s2, s6
	s_cbranch_execnz .LBB92_13
.LBB92_10:
	s_nop 0
	s_sendmsg sendmsg(MSG_DEALLOC_VGPRS)
	s_endpgm
.LBB92_11:
                                        ; implicit-def: $vgpr1
	s_cbranch_execnz .LBB92_9
.LBB92_12:
	s_delay_alu instid0(VALU_DEP_1)
	v_mov_b32_e32 v4, v1
	s_and_saveexec_b32 s2, s6
	s_cbranch_execz .LBB92_10
.LBB92_13:
	s_load_b256 s[4:11], s[0:1], 0x20
	s_delay_alu instid0(VALU_DEP_1) | instskip(SKIP_1) | instid1(VALU_DEP_2)
	v_ashrrev_i32_e32 v5, 31, v4
	v_and_b32_e32 v9, 15, v0
	v_lshlrev_b64 v[1:2], 2, v[4:5]
	s_waitcnt lgkmcnt(0)
	s_delay_alu instid0(VALU_DEP_1) | instskip(NEXT) | instid1(VALU_DEP_2)
	v_add_co_u32 v5, vcc_lo, s4, v1
	v_add_co_ci_u32_e32 v6, vcc_lo, s5, v2, vcc_lo
	v_add_co_u32 v1, vcc_lo, s6, v1
	v_add_co_ci_u32_e32 v2, vcc_lo, s7, v2, vcc_lo
	global_load_b32 v15, v[5:6], off
	v_add_co_u32 v3, vcc_lo, v5, 4
	v_add_co_ci_u32_e32 v5, vcc_lo, 0, v6, vcc_lo
	s_cmp_eq_u64 s[6:7], 0
	s_load_b64 s[4:5], s[0:1], 0x40
	s_cselect_b32 vcc_lo, -1, 0
	s_cmp_eq_u32 s3, 1
	v_dual_cndmask_b32 v2, v2, v5 :: v_dual_cndmask_b32 v1, v1, v3
	global_load_b32 v5, v[1:2], off
	s_waitcnt vmcnt(1)
	v_subrev_nc_u32_e32 v0, s18, v15
	s_delay_alu instid0(VALU_DEP_1) | instskip(NEXT) | instid1(VALU_DEP_1)
	v_add_nc_u32_e32 v0, v0, v9
	v_ashrrev_i32_e32 v1, 31, v0
	s_waitcnt vmcnt(0)
	v_subrev_nc_u32_e32 v10, s18, v5
	s_delay_alu instid0(VALU_DEP_2) | instskip(NEXT) | instid1(VALU_DEP_2)
	v_lshlrev_b64 v[2:3], 5, v[0:1]
	v_cmp_lt_i32_e64 s2, v0, v10
	s_delay_alu instid0(VALU_DEP_2) | instskip(NEXT) | instid1(VALU_DEP_3)
	v_add_co_u32 v2, vcc_lo, s10, v2
	v_add_co_ci_u32_e32 v3, vcc_lo, s11, v3, vcc_lo
	s_cbranch_scc1 .LBB92_25
; %bb.14:
	v_dual_mov_b32 v11, 0 :: v_dual_mov_b32 v14, 0
	v_dual_mov_b32 v13, 0 :: v_dual_mov_b32 v12, 0
	s_mov_b32 s3, 0
	s_and_saveexec_b32 s6, s2
	s_cbranch_execz .LBB92_24
; %bb.15:
	v_dual_mov_b32 v12, 0 :: v_dual_add_nc_u32 v1, v15, v9
	v_not_b32_e32 v5, v15
	v_mov_b32_e32 v11, 0
	s_mov_b32 s10, 0
	s_delay_alu instid0(VALU_DEP_3) | instskip(SKIP_3) | instid1(VALU_DEP_3)
	v_subrev_nc_u32_e32 v1, s18, v1
	s_mov_b32 s7, exec_lo
	v_mov_b32_e32 v14, 0
	v_dual_mov_b32 v8, v3 :: v_dual_mov_b32 v7, v2
	v_add_nc_u32_e32 v1, 16, v1
	v_mov_b32_e32 v13, 0
	s_delay_alu instid0(VALU_DEP_2) | instskip(NEXT) | instid1(VALU_DEP_1)
	v_max_i32_e32 v1, v1, v10
	v_add3_u32 v1, v1, s18, v5
	s_delay_alu instid0(VALU_DEP_1) | instskip(NEXT) | instid1(VALU_DEP_1)
	v_sub_nc_u32_e32 v1, v1, v9
	v_lshrrev_b32_e32 v5, 4, v1
	s_delay_alu instid0(VALU_DEP_1) | instskip(NEXT) | instid1(VALU_DEP_1)
	v_add_nc_u32_e32 v5, 1, v5
	v_dual_mov_b32 v5, v0 :: v_dual_and_b32 v6, 3, v5
	s_delay_alu instid0(VALU_DEP_1)
	v_cmpx_ne_u32_e32 0, v6
	s_cbranch_execz .LBB92_19
; %bb.16:
	v_dual_mov_b32 v11, 0 :: v_dual_lshlrev_b32 v16, 5, v6
	v_dual_mov_b32 v8, v3 :: v_dual_mov_b32 v7, v2
	v_dual_mov_b32 v5, v0 :: v_dual_mov_b32 v14, 0
	;; [unrolled: 1-line block ×3, first 2 shown]
.LBB92_17:                              ; =>This Inner Loop Header: Depth=1
	s_delay_alu instid0(VALU_DEP_2) | instskip(SKIP_1) | instid1(VALU_DEP_2)
	v_ashrrev_i32_e32 v6, 31, v5
	v_subrev_nc_u32_e32 v16, 32, v16
	v_lshlrev_b64 v[17:18], 2, v[5:6]
	v_add_nc_u32_e32 v5, 16, v5
	s_delay_alu instid0(VALU_DEP_2) | instskip(NEXT) | instid1(VALU_DEP_3)
	v_add_co_u32 v17, vcc_lo, s8, v17
	v_add_co_ci_u32_e32 v18, vcc_lo, s9, v18, vcc_lo
	global_load_b32 v6, v[17:18], off
	global_load_b128 v[17:20], v[7:8], off
	s_waitcnt vmcnt(1)
	v_subrev_nc_u32_e32 v6, s18, v6
	s_delay_alu instid0(VALU_DEP_1) | instskip(NEXT) | instid1(VALU_DEP_1)
	v_lshlrev_b32_e32 v21, 2, v6
	v_ashrrev_i32_e32 v22, 31, v21
	s_delay_alu instid0(VALU_DEP_1) | instskip(SKIP_1) | instid1(VALU_DEP_1)
	v_lshlrev_b64 v[21:22], 1, v[21:22]
	s_waitcnt lgkmcnt(0)
	v_add_co_u32 v25, vcc_lo, s4, v21
	s_delay_alu instid0(VALU_DEP_2)
	v_add_co_ci_u32_e32 v26, vcc_lo, s5, v22, vcc_lo
	global_load_b128 v[21:24], v[7:8], off offset:16
	global_load_b64 v[25:26], v[25:26], off
	v_add_co_u32 v7, vcc_lo, 0x200, v7
	v_add_co_ci_u32_e32 v8, vcc_lo, 0, v8, vcc_lo
	v_cmp_eq_u32_e32 vcc_lo, 0, v16
	s_or_b32 s10, vcc_lo, s10
	s_waitcnt vmcnt(0)
	v_fma_mix_f32 v6, v17, v25, v12 op_sel_hi:[1,1,0]
	v_fma_mix_f32 v12, v19, v25, v14 op_sel_hi:[1,1,0]
	;; [unrolled: 1-line block ×4, first 2 shown]
	s_delay_alu instid0(VALU_DEP_4) | instskip(NEXT) | instid1(VALU_DEP_4)
	v_fma_mix_f32 v6, v17, v25, v6 op_sel:[1,1,0] op_sel_hi:[1,1,0]
	v_fma_mix_f32 v12, v19, v25, v12 op_sel:[1,1,0] op_sel_hi:[1,1,0]
	s_delay_alu instid0(VALU_DEP_4) | instskip(NEXT) | instid1(VALU_DEP_4)
	v_fma_mix_f32 v13, v21, v25, v13 op_sel:[1,1,0] op_sel_hi:[1,1,0]
	v_fma_mix_f32 v11, v23, v25, v11 op_sel:[1,1,0] op_sel_hi:[1,1,0]
	s_delay_alu instid0(VALU_DEP_4) | instskip(NEXT) | instid1(VALU_DEP_4)
	v_fma_mix_f32 v6, v18, v26, v6 op_sel_hi:[1,1,0]
	v_fma_mix_f32 v14, v20, v26, v12 op_sel_hi:[1,1,0]
	s_delay_alu instid0(VALU_DEP_4) | instskip(NEXT) | instid1(VALU_DEP_4)
	v_fma_mix_f32 v13, v22, v26, v13 op_sel_hi:[1,1,0]
	v_fma_mix_f32 v11, v24, v26, v11 op_sel_hi:[1,1,0]
	s_delay_alu instid0(VALU_DEP_4) | instskip(NEXT) | instid1(VALU_DEP_4)
	v_fma_mix_f32 v12, v18, v26, v6 op_sel:[1,1,0] op_sel_hi:[1,1,0]
	v_fma_mix_f32 v14, v20, v26, v14 op_sel:[1,1,0] op_sel_hi:[1,1,0]
	s_delay_alu instid0(VALU_DEP_4) | instskip(NEXT) | instid1(VALU_DEP_4)
	v_fma_mix_f32 v13, v22, v26, v13 op_sel:[1,1,0] op_sel_hi:[1,1,0]
	v_fma_mix_f32 v11, v24, v26, v11 op_sel:[1,1,0] op_sel_hi:[1,1,0]
	s_and_not1_b32 exec_lo, exec_lo, s10
	s_cbranch_execnz .LBB92_17
; %bb.18:
	s_or_b32 exec_lo, exec_lo, s10
.LBB92_19:
	s_delay_alu instid0(SALU_CYCLE_1) | instskip(NEXT) | instid1(SALU_CYCLE_1)
	s_or_b32 exec_lo, exec_lo, s7
	s_mov_b32 s7, exec_lo
	v_cmpx_lt_u32_e32 47, v1
	s_cbranch_execz .LBB92_23
; %bb.20:
	s_mov_b32 s10, 0
.LBB92_21:                              ; =>This Inner Loop Header: Depth=1
	v_ashrrev_i32_e32 v6, 31, v5
	s_delay_alu instid0(VALU_DEP_1) | instskip(SKIP_1) | instid1(VALU_DEP_2)
	v_lshlrev_b64 v[16:17], 2, v[5:6]
	v_add_nc_u32_e32 v5, 64, v5
	v_add_co_u32 v16, vcc_lo, s8, v16
	s_delay_alu instid0(VALU_DEP_3)
	v_add_co_ci_u32_e32 v17, vcc_lo, s9, v17, vcc_lo
	s_clause 0x3
	global_load_b32 v1, v[16:17], off
	global_load_b32 v6, v[16:17], off offset:64
	global_load_b32 v48, v[16:17], off offset:128
	;; [unrolled: 1-line block ×3, first 2 shown]
	s_clause 0x7
	global_load_b128 v[16:19], v[7:8], off
	global_load_b128 v[20:23], v[7:8], off offset:16
	global_load_b128 v[24:27], v[7:8], off offset:512
	global_load_b128 v[28:31], v[7:8], off offset:528
	global_load_b128 v[32:35], v[7:8], off offset:1024
	global_load_b128 v[36:39], v[7:8], off offset:1040
	global_load_b128 v[40:43], v[7:8], off offset:1536
	global_load_b128 v[44:47], v[7:8], off offset:1552
	s_waitcnt vmcnt(11)
	v_subrev_nc_u32_e32 v1, s18, v1
	s_waitcnt vmcnt(10)
	v_subrev_nc_u32_e32 v6, s18, v6
	;; [unrolled: 2-line block ×4, first 2 shown]
	v_lshlrev_b32_e32 v48, 2, v1
	v_lshlrev_b32_e32 v50, 2, v6
	;; [unrolled: 1-line block ×3, first 2 shown]
	s_delay_alu instid0(VALU_DEP_4) | instskip(NEXT) | instid1(VALU_DEP_4)
	v_lshlrev_b32_e32 v54, 2, v49
	v_ashrrev_i32_e32 v49, 31, v48
	s_delay_alu instid0(VALU_DEP_4) | instskip(NEXT) | instid1(VALU_DEP_4)
	v_ashrrev_i32_e32 v51, 31, v50
	v_ashrrev_i32_e32 v53, 31, v52
	s_delay_alu instid0(VALU_DEP_4) | instskip(NEXT) | instid1(VALU_DEP_4)
	v_ashrrev_i32_e32 v55, 31, v54
	v_lshlrev_b64 v[48:49], 1, v[48:49]
	s_delay_alu instid0(VALU_DEP_4) | instskip(NEXT) | instid1(VALU_DEP_4)
	v_lshlrev_b64 v[50:51], 1, v[50:51]
	v_lshlrev_b64 v[52:53], 1, v[52:53]
	s_delay_alu instid0(VALU_DEP_4) | instskip(SKIP_1) | instid1(VALU_DEP_4)
	v_lshlrev_b64 v[54:55], 1, v[54:55]
	s_waitcnt lgkmcnt(0)
	v_add_co_u32 v48, vcc_lo, s4, v48
	v_add_co_ci_u32_e32 v49, vcc_lo, s5, v49, vcc_lo
	v_add_co_u32 v50, vcc_lo, s4, v50
	v_add_co_ci_u32_e32 v51, vcc_lo, s5, v51, vcc_lo
	global_load_b64 v[48:49], v[48:49], off
	v_add_co_u32 v52, vcc_lo, s4, v52
	global_load_b64 v[50:51], v[50:51], off
	v_add_co_ci_u32_e32 v53, vcc_lo, s5, v53, vcc_lo
	v_add_co_u32 v54, vcc_lo, s4, v54
	v_add_co_ci_u32_e32 v55, vcc_lo, s5, v55, vcc_lo
	global_load_b64 v[52:53], v[52:53], off
	v_add_co_u32 v7, vcc_lo, 0x800, v7
	global_load_b64 v[54:55], v[54:55], off
	v_add_co_ci_u32_e32 v8, vcc_lo, 0, v8, vcc_lo
	v_cmp_ge_i32_e32 vcc_lo, v5, v10
	s_or_b32 s10, vcc_lo, s10
	s_waitcnt vmcnt(3)
	v_fma_mix_f32 v1, v16, v48, v12 op_sel_hi:[1,1,0]
	v_fma_mix_f32 v6, v18, v48, v14 op_sel_hi:[1,1,0]
	v_fma_mix_f32 v12, v20, v48, v13 op_sel_hi:[1,1,0]
	v_fma_mix_f32 v11, v22, v48, v11 op_sel_hi:[1,1,0]
	s_delay_alu instid0(VALU_DEP_4) | instskip(NEXT) | instid1(VALU_DEP_4)
	v_fma_mix_f32 v1, v16, v48, v1 op_sel:[1,1,0] op_sel_hi:[1,1,0]
	v_fma_mix_f32 v6, v18, v48, v6 op_sel:[1,1,0] op_sel_hi:[1,1,0]
	s_delay_alu instid0(VALU_DEP_4) | instskip(NEXT) | instid1(VALU_DEP_4)
	v_fma_mix_f32 v12, v20, v48, v12 op_sel:[1,1,0] op_sel_hi:[1,1,0]
	v_fma_mix_f32 v11, v22, v48, v11 op_sel:[1,1,0] op_sel_hi:[1,1,0]
	s_delay_alu instid0(VALU_DEP_4) | instskip(NEXT) | instid1(VALU_DEP_4)
	v_fma_mix_f32 v1, v17, v49, v1 op_sel_hi:[1,1,0]
	v_fma_mix_f32 v6, v19, v49, v6 op_sel_hi:[1,1,0]
	s_delay_alu instid0(VALU_DEP_4) | instskip(NEXT) | instid1(VALU_DEP_4)
	v_fma_mix_f32 v12, v21, v49, v12 op_sel_hi:[1,1,0]
	v_fma_mix_f32 v11, v23, v49, v11 op_sel_hi:[1,1,0]
	s_delay_alu instid0(VALU_DEP_4) | instskip(NEXT) | instid1(VALU_DEP_4)
	v_fma_mix_f32 v1, v17, v49, v1 op_sel:[1,1,0] op_sel_hi:[1,1,0]
	v_fma_mix_f32 v6, v19, v49, v6 op_sel:[1,1,0] op_sel_hi:[1,1,0]
	s_delay_alu instid0(VALU_DEP_4) | instskip(NEXT) | instid1(VALU_DEP_4)
	v_fma_mix_f32 v12, v21, v49, v12 op_sel:[1,1,0] op_sel_hi:[1,1,0]
	v_fma_mix_f32 v11, v23, v49, v11 op_sel:[1,1,0] op_sel_hi:[1,1,0]
	s_waitcnt vmcnt(2)
	v_fma_mix_f32 v1, v24, v50, v1 op_sel_hi:[1,1,0]
	v_fma_mix_f32 v6, v26, v50, v6 op_sel_hi:[1,1,0]
	v_fma_mix_f32 v12, v28, v50, v12 op_sel_hi:[1,1,0]
	v_fma_mix_f32 v11, v30, v50, v11 op_sel_hi:[1,1,0]
	s_delay_alu instid0(VALU_DEP_4) | instskip(NEXT) | instid1(VALU_DEP_4)
	v_fma_mix_f32 v1, v24, v50, v1 op_sel:[1,1,0] op_sel_hi:[1,1,0]
	v_fma_mix_f32 v6, v26, v50, v6 op_sel:[1,1,0] op_sel_hi:[1,1,0]
	s_delay_alu instid0(VALU_DEP_4) | instskip(NEXT) | instid1(VALU_DEP_4)
	v_fma_mix_f32 v12, v28, v50, v12 op_sel:[1,1,0] op_sel_hi:[1,1,0]
	v_fma_mix_f32 v11, v30, v50, v11 op_sel:[1,1,0] op_sel_hi:[1,1,0]
	s_delay_alu instid0(VALU_DEP_4) | instskip(NEXT) | instid1(VALU_DEP_4)
	v_fma_mix_f32 v1, v25, v51, v1 op_sel_hi:[1,1,0]
	v_fma_mix_f32 v6, v27, v51, v6 op_sel_hi:[1,1,0]
	s_delay_alu instid0(VALU_DEP_4) | instskip(NEXT) | instid1(VALU_DEP_4)
	v_fma_mix_f32 v12, v29, v51, v12 op_sel_hi:[1,1,0]
	v_fma_mix_f32 v11, v31, v51, v11 op_sel_hi:[1,1,0]
	s_delay_alu instid0(VALU_DEP_4) | instskip(NEXT) | instid1(VALU_DEP_4)
	v_fma_mix_f32 v1, v25, v51, v1 op_sel:[1,1,0] op_sel_hi:[1,1,0]
	v_fma_mix_f32 v6, v27, v51, v6 op_sel:[1,1,0] op_sel_hi:[1,1,0]
	s_delay_alu instid0(VALU_DEP_4) | instskip(NEXT) | instid1(VALU_DEP_4)
	v_fma_mix_f32 v12, v29, v51, v12 op_sel:[1,1,0] op_sel_hi:[1,1,0]
	v_fma_mix_f32 v11, v31, v51, v11 op_sel:[1,1,0] op_sel_hi:[1,1,0]
	;; [unrolled: 23-line block ×4, first 2 shown]
	s_and_not1_b32 exec_lo, exec_lo, s10
	s_cbranch_execnz .LBB92_21
; %bb.22:
	s_or_b32 exec_lo, exec_lo, s10
.LBB92_23:
	s_delay_alu instid0(SALU_CYCLE_1)
	s_or_b32 exec_lo, exec_lo, s7
.LBB92_24:
	s_delay_alu instid0(SALU_CYCLE_1) | instskip(NEXT) | instid1(SALU_CYCLE_1)
	s_or_b32 exec_lo, exec_lo, s6
	s_and_not1_b32 vcc_lo, exec_lo, s3
	s_cbranch_vccz .LBB92_26
	s_branch .LBB92_37
.LBB92_25:
                                        ; implicit-def: $vgpr11
                                        ; implicit-def: $vgpr13
                                        ; implicit-def: $vgpr14
                                        ; implicit-def: $vgpr12
.LBB92_26:
	v_dual_mov_b32 v11, 0 :: v_dual_mov_b32 v14, 0
	v_dual_mov_b32 v13, 0 :: v_dual_mov_b32 v12, 0
	s_and_saveexec_b32 s3, s2
	s_cbranch_execz .LBB92_36
; %bb.27:
	v_dual_mov_b32 v12, 0 :: v_dual_add_nc_u32 v1, v15, v9
	v_not_b32_e32 v5, v15
	v_mov_b32_e32 v13, 0
	v_mov_b32_e32 v11, 0
	s_delay_alu instid0(VALU_DEP_4) | instskip(SKIP_2) | instid1(VALU_DEP_1)
	v_subrev_nc_u32_e32 v1, s18, v1
	s_mov_b32 s6, 0
	s_mov_b32 s2, exec_lo
	v_dual_mov_b32 v14, 0 :: v_dual_add_nc_u32 v1, 16, v1
	s_delay_alu instid0(VALU_DEP_1) | instskip(NEXT) | instid1(VALU_DEP_1)
	v_max_i32_e32 v1, v1, v10
	v_add3_u32 v1, v1, s18, v5
	s_delay_alu instid0(VALU_DEP_1) | instskip(NEXT) | instid1(VALU_DEP_1)
	v_sub_nc_u32_e32 v5, v1, v9
	v_lshrrev_b32_e32 v1, 4, v5
	s_delay_alu instid0(VALU_DEP_1) | instskip(NEXT) | instid1(VALU_DEP_1)
	v_add_nc_u32_e32 v1, 1, v1
	v_and_b32_e32 v1, 3, v1
	s_delay_alu instid0(VALU_DEP_1)
	v_cmpx_ne_u32_e32 0, v1
	s_cbranch_execz .LBB92_31
; %bb.28:
	v_dual_mov_b32 v11, 0 :: v_dual_lshlrev_b32 v6, 5, v1
	v_dual_mov_b32 v13, 0 :: v_dual_mov_b32 v14, 0
	v_mov_b32_e32 v12, 0
.LBB92_29:                              ; =>This Inner Loop Header: Depth=1
	v_ashrrev_i32_e32 v1, 31, v0
	s_delay_alu instid0(VALU_DEP_4) | instskip(NEXT) | instid1(VALU_DEP_2)
	v_subrev_nc_u32_e32 v6, 32, v6
	v_lshlrev_b64 v[7:8], 2, v[0:1]
	v_add_nc_u32_e32 v0, 16, v0
	s_delay_alu instid0(VALU_DEP_2) | instskip(NEXT) | instid1(VALU_DEP_3)
	v_add_co_u32 v7, vcc_lo, s8, v7
	v_add_co_ci_u32_e32 v8, vcc_lo, s9, v8, vcc_lo
	global_load_b32 v1, v[7:8], off
	s_waitcnt vmcnt(0)
	v_subrev_nc_u32_e32 v1, s18, v1
	s_delay_alu instid0(VALU_DEP_1) | instskip(NEXT) | instid1(VALU_DEP_1)
	v_lshlrev_b32_e32 v7, 2, v1
	v_ashrrev_i32_e32 v8, 31, v7
	s_delay_alu instid0(VALU_DEP_1) | instskip(SKIP_1) | instid1(VALU_DEP_1)
	v_lshlrev_b64 v[7:8], 1, v[7:8]
	s_waitcnt lgkmcnt(0)
	v_add_co_u32 v7, vcc_lo, s4, v7
	s_delay_alu instid0(VALU_DEP_2)
	v_add_co_ci_u32_e32 v8, vcc_lo, s5, v8, vcc_lo
	global_load_b128 v[15:18], v[2:3], off
	global_load_b64 v[7:8], v[7:8], off
	global_load_b128 v[19:22], v[2:3], off offset:16
	v_add_co_u32 v2, vcc_lo, 0x200, v2
	v_add_co_ci_u32_e32 v3, vcc_lo, 0, v3, vcc_lo
	v_cmp_eq_u32_e32 vcc_lo, 0, v6
	s_or_b32 s6, vcc_lo, s6
	s_waitcnt vmcnt(1)
	v_fma_mix_f32 v1, v15, v7, v12 op_sel_hi:[1,1,0]
	v_fma_mix_f32 v12, v15, v7, v14 op_sel:[1,0,0] op_sel_hi:[1,1,0]
	v_fma_mix_f32 v13, v16, v7, v13 op_sel_hi:[1,1,0]
	v_fma_mix_f32 v11, v16, v7, v11 op_sel:[1,0,0] op_sel_hi:[1,1,0]
	s_delay_alu instid0(VALU_DEP_4) | instskip(NEXT) | instid1(VALU_DEP_4)
	v_fma_mix_f32 v1, v17, v7, v1 op_sel:[0,1,0] op_sel_hi:[1,1,0]
	v_fma_mix_f32 v12, v17, v7, v12 op_sel:[1,1,0] op_sel_hi:[1,1,0]
	s_delay_alu instid0(VALU_DEP_4) | instskip(NEXT) | instid1(VALU_DEP_4)
	v_fma_mix_f32 v13, v18, v7, v13 op_sel:[0,1,0] op_sel_hi:[1,1,0]
	v_fma_mix_f32 v7, v18, v7, v11 op_sel:[1,1,0] op_sel_hi:[1,1,0]
	s_waitcnt vmcnt(0)
	v_fma_mix_f32 v1, v19, v8, v1 op_sel_hi:[1,1,0]
	v_fma_mix_f32 v11, v19, v8, v12 op_sel:[1,0,0] op_sel_hi:[1,1,0]
	v_fma_mix_f32 v13, v20, v8, v13 op_sel_hi:[1,1,0]
	v_fma_mix_f32 v7, v20, v8, v7 op_sel:[1,0,0] op_sel_hi:[1,1,0]
	s_delay_alu instid0(VALU_DEP_4) | instskip(NEXT) | instid1(VALU_DEP_4)
	v_fma_mix_f32 v12, v21, v8, v1 op_sel:[0,1,0] op_sel_hi:[1,1,0]
	v_fma_mix_f32 v14, v21, v8, v11 op_sel:[1,1,0] op_sel_hi:[1,1,0]
	s_delay_alu instid0(VALU_DEP_4) | instskip(NEXT) | instid1(VALU_DEP_4)
	v_fma_mix_f32 v13, v22, v8, v13 op_sel:[0,1,0] op_sel_hi:[1,1,0]
	v_fma_mix_f32 v11, v22, v8, v7 op_sel:[1,1,0] op_sel_hi:[1,1,0]
	s_and_not1_b32 exec_lo, exec_lo, s6
	s_cbranch_execnz .LBB92_29
; %bb.30:
	s_or_b32 exec_lo, exec_lo, s6
.LBB92_31:
	s_delay_alu instid0(SALU_CYCLE_1) | instskip(NEXT) | instid1(SALU_CYCLE_1)
	s_or_b32 exec_lo, exec_lo, s2
	s_mov_b32 s2, exec_lo
	v_cmpx_lt_u32_e32 47, v5
	s_cbranch_execz .LBB92_35
; %bb.32:
	s_mov_b32 s6, 0
.LBB92_33:                              ; =>This Inner Loop Header: Depth=1
	v_ashrrev_i32_e32 v1, 31, v0
	s_delay_alu instid0(VALU_DEP_1) | instskip(SKIP_1) | instid1(VALU_DEP_2)
	v_lshlrev_b64 v[5:6], 2, v[0:1]
	v_add_nc_u32_e32 v0, 64, v0
	v_add_co_u32 v5, vcc_lo, s8, v5
	s_delay_alu instid0(VALU_DEP_3)
	v_add_co_ci_u32_e32 v6, vcc_lo, s9, v6, vcc_lo
	s_clause 0x3
	global_load_b32 v1, v[5:6], off
	global_load_b32 v39, v[5:6], off offset:64
	global_load_b32 v40, v[5:6], off offset:128
	;; [unrolled: 1-line block ×3, first 2 shown]
	s_clause 0x6
	global_load_b128 v[5:8], v[2:3], off
	global_load_b128 v[15:18], v[2:3], off offset:16
	global_load_b128 v[19:22], v[2:3], off offset:512
	;; [unrolled: 1-line block ×6, first 2 shown]
	s_waitcnt vmcnt(10)
	v_subrev_nc_u32_e32 v1, s18, v1
	s_waitcnt vmcnt(9)
	v_subrev_nc_u32_e32 v42, s18, v39
	;; [unrolled: 2-line block ×4, first 2 shown]
	v_lshlrev_b32_e32 v39, 2, v1
	v_lshlrev_b32_e32 v41, 2, v42
	;; [unrolled: 1-line block ×3, first 2 shown]
	s_delay_alu instid0(VALU_DEP_4) | instskip(NEXT) | instid1(VALU_DEP_4)
	v_lshlrev_b32_e32 v45, 2, v44
	v_ashrrev_i32_e32 v40, 31, v39
	s_delay_alu instid0(VALU_DEP_4) | instskip(NEXT) | instid1(VALU_DEP_4)
	v_ashrrev_i32_e32 v42, 31, v41
	v_ashrrev_i32_e32 v44, 31, v43
	s_delay_alu instid0(VALU_DEP_4) | instskip(NEXT) | instid1(VALU_DEP_4)
	v_ashrrev_i32_e32 v46, 31, v45
	v_lshlrev_b64 v[39:40], 1, v[39:40]
	s_waitcnt lgkmcnt(0)
	s_delay_alu instid0(VALU_DEP_1) | instskip(NEXT) | instid1(VALU_DEP_2)
	v_add_co_u32 v39, vcc_lo, s4, v39
	v_add_co_ci_u32_e32 v40, vcc_lo, s5, v40, vcc_lo
	global_load_b64 v[47:48], v[39:40], off
	v_lshlrev_b64 v[39:40], 1, v[41:42]
	s_delay_alu instid0(VALU_DEP_1) | instskip(NEXT) | instid1(VALU_DEP_2)
	v_add_co_u32 v39, vcc_lo, s4, v39
	v_add_co_ci_u32_e32 v40, vcc_lo, s5, v40, vcc_lo
	global_load_b64 v[49:50], v[39:40], off
	v_lshlrev_b64 v[39:40], 1, v[43:44]
	;; [unrolled: 5-line block ×3, first 2 shown]
	s_delay_alu instid0(VALU_DEP_1) | instskip(NEXT) | instid1(VALU_DEP_2)
	v_add_co_u32 v39, vcc_lo, s4, v39
	v_add_co_ci_u32_e32 v40, vcc_lo, s5, v40, vcc_lo
	global_load_b64 v[45:46], v[39:40], off
	global_load_b128 v[39:42], v[2:3], off offset:1552
	v_add_co_u32 v2, vcc_lo, 0x800, v2
	v_add_co_ci_u32_e32 v3, vcc_lo, 0, v3, vcc_lo
	v_cmp_ge_i32_e32 vcc_lo, v0, v10
	s_or_b32 s6, vcc_lo, s6
	s_waitcnt vmcnt(4)
	v_fma_mix_f32 v1, v5, v47, v12 op_sel_hi:[1,1,0]
	v_fma_mix_f32 v5, v5, v47, v14 op_sel:[1,0,0] op_sel_hi:[1,1,0]
	v_fma_mix_f32 v12, v6, v47, v13 op_sel_hi:[1,1,0]
	v_fma_mix_f32 v6, v6, v47, v11 op_sel:[1,0,0] op_sel_hi:[1,1,0]
	s_delay_alu instid0(VALU_DEP_4) | instskip(NEXT) | instid1(VALU_DEP_4)
	v_fma_mix_f32 v1, v7, v47, v1 op_sel:[0,1,0] op_sel_hi:[1,1,0]
	v_fma_mix_f32 v5, v7, v47, v5 op_sel:[1,1,0] op_sel_hi:[1,1,0]
	s_delay_alu instid0(VALU_DEP_4) | instskip(NEXT) | instid1(VALU_DEP_4)
	v_fma_mix_f32 v7, v8, v47, v12 op_sel:[0,1,0] op_sel_hi:[1,1,0]
	v_fma_mix_f32 v6, v8, v47, v6 op_sel:[1,1,0] op_sel_hi:[1,1,0]
	s_delay_alu instid0(VALU_DEP_4) | instskip(NEXT) | instid1(VALU_DEP_4)
	v_fma_mix_f32 v1, v15, v48, v1 op_sel_hi:[1,1,0]
	v_fma_mix_f32 v5, v15, v48, v5 op_sel:[1,0,0] op_sel_hi:[1,1,0]
	s_delay_alu instid0(VALU_DEP_4) | instskip(NEXT) | instid1(VALU_DEP_4)
	v_fma_mix_f32 v7, v16, v48, v7 op_sel_hi:[1,1,0]
	v_fma_mix_f32 v6, v16, v48, v6 op_sel:[1,0,0] op_sel_hi:[1,1,0]
	s_delay_alu instid0(VALU_DEP_4) | instskip(NEXT) | instid1(VALU_DEP_4)
	v_fma_mix_f32 v1, v17, v48, v1 op_sel:[0,1,0] op_sel_hi:[1,1,0]
	v_fma_mix_f32 v5, v17, v48, v5 op_sel:[1,1,0] op_sel_hi:[1,1,0]
	s_delay_alu instid0(VALU_DEP_4) | instskip(NEXT) | instid1(VALU_DEP_4)
	v_fma_mix_f32 v7, v18, v48, v7 op_sel:[0,1,0] op_sel_hi:[1,1,0]
	v_fma_mix_f32 v6, v18, v48, v6 op_sel:[1,1,0] op_sel_hi:[1,1,0]
	s_waitcnt vmcnt(3)
	v_fma_mix_f32 v1, v19, v49, v1 op_sel_hi:[1,1,0]
	v_fma_mix_f32 v5, v19, v49, v5 op_sel:[1,0,0] op_sel_hi:[1,1,0]
	v_fma_mix_f32 v7, v20, v49, v7 op_sel_hi:[1,1,0]
	v_fma_mix_f32 v6, v20, v49, v6 op_sel:[1,0,0] op_sel_hi:[1,1,0]
	s_delay_alu instid0(VALU_DEP_4) | instskip(NEXT) | instid1(VALU_DEP_4)
	v_fma_mix_f32 v1, v21, v49, v1 op_sel:[0,1,0] op_sel_hi:[1,1,0]
	v_fma_mix_f32 v5, v21, v49, v5 op_sel:[1,1,0] op_sel_hi:[1,1,0]
	s_delay_alu instid0(VALU_DEP_4) | instskip(NEXT) | instid1(VALU_DEP_4)
	v_fma_mix_f32 v7, v22, v49, v7 op_sel:[0,1,0] op_sel_hi:[1,1,0]
	v_fma_mix_f32 v6, v22, v49, v6 op_sel:[1,1,0] op_sel_hi:[1,1,0]
	s_delay_alu instid0(VALU_DEP_4) | instskip(NEXT) | instid1(VALU_DEP_4)
	v_fma_mix_f32 v1, v23, v50, v1 op_sel_hi:[1,1,0]
	v_fma_mix_f32 v5, v23, v50, v5 op_sel:[1,0,0] op_sel_hi:[1,1,0]
	s_delay_alu instid0(VALU_DEP_4) | instskip(NEXT) | instid1(VALU_DEP_4)
	v_fma_mix_f32 v7, v24, v50, v7 op_sel_hi:[1,1,0]
	v_fma_mix_f32 v6, v24, v50, v6 op_sel:[1,0,0] op_sel_hi:[1,1,0]
	s_delay_alu instid0(VALU_DEP_4) | instskip(NEXT) | instid1(VALU_DEP_4)
	v_fma_mix_f32 v1, v25, v50, v1 op_sel:[0,1,0] op_sel_hi:[1,1,0]
	v_fma_mix_f32 v5, v25, v50, v5 op_sel:[1,1,0] op_sel_hi:[1,1,0]
	s_delay_alu instid0(VALU_DEP_4) | instskip(NEXT) | instid1(VALU_DEP_4)
	v_fma_mix_f32 v7, v26, v50, v7 op_sel:[0,1,0] op_sel_hi:[1,1,0]
	v_fma_mix_f32 v6, v26, v50, v6 op_sel:[1,1,0] op_sel_hi:[1,1,0]
	;; [unrolled: 23-line block ×3, first 2 shown]
	s_waitcnt vmcnt(1)
	v_fma_mix_f32 v1, v35, v45, v1 op_sel_hi:[1,1,0]
	v_fma_mix_f32 v5, v35, v45, v5 op_sel:[1,0,0] op_sel_hi:[1,1,0]
	v_fma_mix_f32 v7, v36, v45, v7 op_sel_hi:[1,1,0]
	v_fma_mix_f32 v6, v36, v45, v6 op_sel:[1,0,0] op_sel_hi:[1,1,0]
	s_delay_alu instid0(VALU_DEP_4) | instskip(NEXT) | instid1(VALU_DEP_4)
	v_fma_mix_f32 v1, v37, v45, v1 op_sel:[0,1,0] op_sel_hi:[1,1,0]
	v_fma_mix_f32 v5, v37, v45, v5 op_sel:[1,1,0] op_sel_hi:[1,1,0]
	s_delay_alu instid0(VALU_DEP_4) | instskip(NEXT) | instid1(VALU_DEP_4)
	v_fma_mix_f32 v7, v38, v45, v7 op_sel:[0,1,0] op_sel_hi:[1,1,0]
	v_fma_mix_f32 v6, v38, v45, v6 op_sel:[1,1,0] op_sel_hi:[1,1,0]
	s_waitcnt vmcnt(0)
	v_fma_mix_f32 v1, v39, v46, v1 op_sel_hi:[1,1,0]
	v_fma_mix_f32 v5, v39, v46, v5 op_sel:[1,0,0] op_sel_hi:[1,1,0]
	v_fma_mix_f32 v7, v40, v46, v7 op_sel_hi:[1,1,0]
	v_fma_mix_f32 v6, v40, v46, v6 op_sel:[1,0,0] op_sel_hi:[1,1,0]
	s_delay_alu instid0(VALU_DEP_4) | instskip(NEXT) | instid1(VALU_DEP_4)
	v_fma_mix_f32 v12, v41, v46, v1 op_sel:[0,1,0] op_sel_hi:[1,1,0]
	v_fma_mix_f32 v14, v41, v46, v5 op_sel:[1,1,0] op_sel_hi:[1,1,0]
	s_delay_alu instid0(VALU_DEP_4) | instskip(NEXT) | instid1(VALU_DEP_4)
	v_fma_mix_f32 v13, v42, v46, v7 op_sel:[0,1,0] op_sel_hi:[1,1,0]
	v_fma_mix_f32 v11, v42, v46, v6 op_sel:[1,1,0] op_sel_hi:[1,1,0]
	s_and_not1_b32 exec_lo, exec_lo, s6
	s_cbranch_execnz .LBB92_33
; %bb.34:
	s_or_b32 exec_lo, exec_lo, s6
.LBB92_35:
	s_delay_alu instid0(SALU_CYCLE_1)
	s_or_b32 exec_lo, exec_lo, s2
.LBB92_36:
	s_delay_alu instid0(SALU_CYCLE_1)
	s_or_b32 exec_lo, exec_lo, s3
.LBB92_37:
	v_mbcnt_lo_u32_b32 v0, -1, 0
	s_mov_b32 s2, -1
	s_delay_alu instid0(VALU_DEP_1) | instskip(SKIP_1) | instid1(VALU_DEP_2)
	v_xor_b32_e32 v1, 8, v0
	v_xor_b32_e32 v6, 4, v0
	v_cmp_gt_i32_e32 vcc_lo, 32, v1
	v_cndmask_b32_e32 v1, v0, v1, vcc_lo
	s_delay_alu instid0(VALU_DEP_3) | instskip(SKIP_1) | instid1(VALU_DEP_1)
	v_cmp_gt_i32_e32 vcc_lo, 32, v6
	v_cndmask_b32_e32 v6, v0, v6, vcc_lo
	v_lshlrev_b32_e32 v6, 2, v6
	s_delay_alu instid0(VALU_DEP_4)
	v_lshlrev_b32_e32 v1, 2, v1
	ds_bpermute_b32 v2, v1, v12
	s_waitcnt lgkmcnt(0)
	v_add_f32_e32 v2, v12, v2
	ds_bpermute_b32 v3, v1, v14
	ds_bpermute_b32 v5, v1, v13
	;; [unrolled: 1-line block ×4, first 2 shown]
	s_waitcnt lgkmcnt(3)
	v_add_f32_e32 v3, v14, v3
	s_waitcnt lgkmcnt(2)
	v_add_f32_e32 v5, v13, v5
	;; [unrolled: 2-line block ×3, first 2 shown]
	v_xor_b32_e32 v11, 2, v0
	s_waitcnt lgkmcnt(0)
	v_add_f32_e32 v2, v2, v7
	ds_bpermute_b32 v8, v6, v3
	ds_bpermute_b32 v10, v6, v5
	;; [unrolled: 1-line block ×3, first 2 shown]
	v_cmp_gt_i32_e32 vcc_lo, 32, v11
	v_cndmask_b32_e32 v11, v0, v11, vcc_lo
	s_waitcnt lgkmcnt(2)
	v_add_f32_e32 v3, v3, v8
	s_waitcnt lgkmcnt(1)
	v_add_f32_e32 v5, v5, v10
	s_waitcnt lgkmcnt(0)
	v_dual_add_f32 v6, v1, v6 :: v_dual_lshlrev_b32 v11, 2, v11
	ds_bpermute_b32 v1, v11, v2
	ds_bpermute_b32 v7, v11, v3
	;; [unrolled: 1-line block ×4, first 2 shown]
	v_xor_b32_e32 v11, 1, v0
	s_delay_alu instid0(VALU_DEP_1) | instskip(SKIP_3) | instid1(VALU_DEP_2)
	v_cmp_gt_i32_e32 vcc_lo, 32, v11
	v_cndmask_b32_e32 v0, v0, v11, vcc_lo
	v_cmp_eq_u32_e32 vcc_lo, 15, v9
	s_waitcnt lgkmcnt(3)
	v_dual_add_f32 v0, v2, v1 :: v_dual_lshlrev_b32 v11, 2, v0
	s_waitcnt lgkmcnt(1)
	v_dual_add_f32 v1, v3, v7 :: v_dual_add_f32 v2, v5, v8
	s_waitcnt lgkmcnt(0)
	v_add_f32_e32 v3, v6, v10
	ds_bpermute_b32 v5, v11, v0
	ds_bpermute_b32 v6, v11, v1
	;; [unrolled: 1-line block ×4, first 2 shown]
	s_and_b32 exec_lo, exec_lo, vcc_lo
	s_cbranch_execz .LBB92_10
; %bb.38:
	s_load_b64 s[0:1], s[0:1], 0x50
	s_waitcnt lgkmcnt(0)
	v_dual_add_f32 v0, v0, v5 :: v_dual_add_f32 v1, v1, v6
	v_dual_add_f32 v2, v2, v7 :: v_dual_add_f32 v3, v3, v8
	v_cmp_eq_f32_e64 s3, s12, 0
	s_delay_alu instid0(VALU_DEP_3) | instskip(NEXT) | instid1(VALU_DEP_3)
	v_dual_mul_f32 v0, s16, v0 :: v_dual_mul_f32 v1, s16, v1
	v_dual_mul_f32 v2, s16, v2 :: v_dual_mul_f32 v3, s16, v3
	v_lshlrev_b32_e32 v4, 2, v4
	s_delay_alu instid0(VALU_DEP_4)
	s_and_b32 vcc_lo, exec_lo, s3
	s_cbranch_vccz .LBB92_40
; %bb.39:
	s_delay_alu instid0(VALU_DEP_1) | instskip(SKIP_1) | instid1(VALU_DEP_1)
	v_ashrrev_i32_e32 v5, 31, v4
	s_mov_b32 s2, 0
	v_lshlrev_b64 v[5:6], 2, v[4:5]
	s_delay_alu instid0(VALU_DEP_1) | instskip(NEXT) | instid1(VALU_DEP_2)
	v_add_co_u32 v5, vcc_lo, s0, v5
	v_add_co_ci_u32_e32 v6, vcc_lo, s1, v6, vcc_lo
	global_store_b128 v[5:6], v[0:3], off
.LBB92_40:
	s_and_not1_b32 vcc_lo, exec_lo, s2
	s_cbranch_vccnz .LBB92_10
; %bb.41:
	v_ashrrev_i32_e32 v5, 31, v4
	s_delay_alu instid0(VALU_DEP_1) | instskip(NEXT) | instid1(VALU_DEP_1)
	v_lshlrev_b64 v[4:5], 2, v[4:5]
	v_add_co_u32 v8, vcc_lo, s0, v4
	s_delay_alu instid0(VALU_DEP_2)
	v_add_co_ci_u32_e32 v9, vcc_lo, s1, v5, vcc_lo
	global_load_b128 v[4:7], v[8:9], off
	s_waitcnt vmcnt(0)
	v_dual_fmac_f32 v0, s12, v4 :: v_dual_fmac_f32 v1, s12, v5
	v_dual_fmac_f32 v2, s12, v6 :: v_dual_fmac_f32 v3, s12, v7
	global_store_b128 v[8:9], v[0:3], off
	s_nop 0
	s_sendmsg sendmsg(MSG_DEALLOC_VGPRS)
	s_endpgm
	.section	.rodata,"a",@progbits
	.p2align	6, 0x0
	.amdhsa_kernel _ZN9rocsparseL18bsrxmvn_4x4_kernelILj128ELj16EfiiDF16_DF16_fEEvT3_20rocsparse_direction_NS_24const_host_device_scalarIT1_EES1_PKS1_PKT2_SA_S7_PKT4_PKT5_S5_PT6_21rocsparse_index_base_b
		.amdhsa_group_segment_fixed_size 0
		.amdhsa_private_segment_fixed_size 0
		.amdhsa_kernarg_size 96
		.amdhsa_user_sgpr_count 15
		.amdhsa_user_sgpr_dispatch_ptr 0
		.amdhsa_user_sgpr_queue_ptr 0
		.amdhsa_user_sgpr_kernarg_segment_ptr 1
		.amdhsa_user_sgpr_dispatch_id 0
		.amdhsa_user_sgpr_private_segment_size 0
		.amdhsa_wavefront_size32 1
		.amdhsa_uses_dynamic_stack 0
		.amdhsa_enable_private_segment 0
		.amdhsa_system_sgpr_workgroup_id_x 1
		.amdhsa_system_sgpr_workgroup_id_y 0
		.amdhsa_system_sgpr_workgroup_id_z 0
		.amdhsa_system_sgpr_workgroup_info 0
		.amdhsa_system_vgpr_workitem_id 0
		.amdhsa_next_free_vgpr 56
		.amdhsa_next_free_sgpr 20
		.amdhsa_reserve_vcc 1
		.amdhsa_float_round_mode_32 0
		.amdhsa_float_round_mode_16_64 0
		.amdhsa_float_denorm_mode_32 3
		.amdhsa_float_denorm_mode_16_64 3
		.amdhsa_dx10_clamp 1
		.amdhsa_ieee_mode 1
		.amdhsa_fp16_overflow 0
		.amdhsa_workgroup_processor_mode 1
		.amdhsa_memory_ordered 1
		.amdhsa_forward_progress 0
		.amdhsa_shared_vgpr_count 0
		.amdhsa_exception_fp_ieee_invalid_op 0
		.amdhsa_exception_fp_denorm_src 0
		.amdhsa_exception_fp_ieee_div_zero 0
		.amdhsa_exception_fp_ieee_overflow 0
		.amdhsa_exception_fp_ieee_underflow 0
		.amdhsa_exception_fp_ieee_inexact 0
		.amdhsa_exception_int_div_zero 0
	.end_amdhsa_kernel
	.section	.text._ZN9rocsparseL18bsrxmvn_4x4_kernelILj128ELj16EfiiDF16_DF16_fEEvT3_20rocsparse_direction_NS_24const_host_device_scalarIT1_EES1_PKS1_PKT2_SA_S7_PKT4_PKT5_S5_PT6_21rocsparse_index_base_b,"axG",@progbits,_ZN9rocsparseL18bsrxmvn_4x4_kernelILj128ELj16EfiiDF16_DF16_fEEvT3_20rocsparse_direction_NS_24const_host_device_scalarIT1_EES1_PKS1_PKT2_SA_S7_PKT4_PKT5_S5_PT6_21rocsparse_index_base_b,comdat
.Lfunc_end92:
	.size	_ZN9rocsparseL18bsrxmvn_4x4_kernelILj128ELj16EfiiDF16_DF16_fEEvT3_20rocsparse_direction_NS_24const_host_device_scalarIT1_EES1_PKS1_PKT2_SA_S7_PKT4_PKT5_S5_PT6_21rocsparse_index_base_b, .Lfunc_end92-_ZN9rocsparseL18bsrxmvn_4x4_kernelILj128ELj16EfiiDF16_DF16_fEEvT3_20rocsparse_direction_NS_24const_host_device_scalarIT1_EES1_PKS1_PKT2_SA_S7_PKT4_PKT5_S5_PT6_21rocsparse_index_base_b
                                        ; -- End function
	.section	.AMDGPU.csdata,"",@progbits
; Kernel info:
; codeLenInByte = 4080
; NumSgprs: 22
; NumVgprs: 56
; ScratchSize: 0
; MemoryBound: 0
; FloatMode: 240
; IeeeMode: 1
; LDSByteSize: 0 bytes/workgroup (compile time only)
; SGPRBlocks: 2
; VGPRBlocks: 6
; NumSGPRsForWavesPerEU: 22
; NumVGPRsForWavesPerEU: 56
; Occupancy: 16
; WaveLimiterHint : 1
; COMPUTE_PGM_RSRC2:SCRATCH_EN: 0
; COMPUTE_PGM_RSRC2:USER_SGPR: 15
; COMPUTE_PGM_RSRC2:TRAP_HANDLER: 0
; COMPUTE_PGM_RSRC2:TGID_X_EN: 1
; COMPUTE_PGM_RSRC2:TGID_Y_EN: 0
; COMPUTE_PGM_RSRC2:TGID_Z_EN: 0
; COMPUTE_PGM_RSRC2:TIDIG_COMP_CNT: 0
	.section	.text._ZN9rocsparseL18bsrxmvn_4x4_kernelILj128ELj32EfiiDF16_DF16_fEEvT3_20rocsparse_direction_NS_24const_host_device_scalarIT1_EES1_PKS1_PKT2_SA_S7_PKT4_PKT5_S5_PT6_21rocsparse_index_base_b,"axG",@progbits,_ZN9rocsparseL18bsrxmvn_4x4_kernelILj128ELj32EfiiDF16_DF16_fEEvT3_20rocsparse_direction_NS_24const_host_device_scalarIT1_EES1_PKS1_PKT2_SA_S7_PKT4_PKT5_S5_PT6_21rocsparse_index_base_b,comdat
	.globl	_ZN9rocsparseL18bsrxmvn_4x4_kernelILj128ELj32EfiiDF16_DF16_fEEvT3_20rocsparse_direction_NS_24const_host_device_scalarIT1_EES1_PKS1_PKT2_SA_S7_PKT4_PKT5_S5_PT6_21rocsparse_index_base_b ; -- Begin function _ZN9rocsparseL18bsrxmvn_4x4_kernelILj128ELj32EfiiDF16_DF16_fEEvT3_20rocsparse_direction_NS_24const_host_device_scalarIT1_EES1_PKS1_PKT2_SA_S7_PKT4_PKT5_S5_PT6_21rocsparse_index_base_b
	.p2align	8
	.type	_ZN9rocsparseL18bsrxmvn_4x4_kernelILj128ELj32EfiiDF16_DF16_fEEvT3_20rocsparse_direction_NS_24const_host_device_scalarIT1_EES1_PKS1_PKT2_SA_S7_PKT4_PKT5_S5_PT6_21rocsparse_index_base_b,@function
_ZN9rocsparseL18bsrxmvn_4x4_kernelILj128ELj32EfiiDF16_DF16_fEEvT3_20rocsparse_direction_NS_24const_host_device_scalarIT1_EES1_PKS1_PKT2_SA_S7_PKT4_PKT5_S5_PT6_21rocsparse_index_base_b: ; @_ZN9rocsparseL18bsrxmvn_4x4_kernelILj128ELj32EfiiDF16_DF16_fEEvT3_20rocsparse_direction_NS_24const_host_device_scalarIT1_EES1_PKS1_PKT2_SA_S7_PKT4_PKT5_S5_PT6_21rocsparse_index_base_b
; %bb.0:
	s_clause 0x2
	s_load_b64 s[18:19], s[0:1], 0x58
	s_load_b64 s[16:17], s[0:1], 0x8
	;; [unrolled: 1-line block ×3, first 2 shown]
	s_waitcnt lgkmcnt(0)
	s_bitcmp1_b32 s19, 0
	s_cselect_b32 s2, -1, 0
	s_delay_alu instid0(SALU_CYCLE_1)
	s_and_b32 vcc_lo, exec_lo, s2
	s_xor_b32 s2, s2, -1
	s_cbranch_vccnz .LBB93_2
; %bb.1:
	s_load_b32 s16, s[16:17], 0x0
.LBB93_2:
	s_and_not1_b32 vcc_lo, exec_lo, s2
	s_cbranch_vccnz .LBB93_4
; %bb.3:
	s_load_b32 s12, s[12:13], 0x0
.LBB93_4:
	s_waitcnt lgkmcnt(0)
	v_cmp_neq_f32_e64 s2, s16, 0
	v_cmp_neq_f32_e64 s3, s12, 1.0
	s_mov_b32 s6, 0
	s_delay_alu instid0(VALU_DEP_1) | instskip(NEXT) | instid1(SALU_CYCLE_1)
	s_or_b32 s2, s2, s3
	s_and_not1_b32 vcc_lo, exec_lo, s2
	s_cbranch_vccnz .LBB93_10
; %bb.5:
	s_clause 0x1
	s_load_b64 s[4:5], s[0:1], 0x18
	s_load_b64 s[2:3], s[0:1], 0x0
	v_lshrrev_b32_e32 v1, 5, v0
	s_delay_alu instid0(VALU_DEP_1)
	v_lshl_or_b32 v4, s15, 2, v1
	s_waitcnt lgkmcnt(0)
	s_cmp_lg_u64 s[4:5], 0
	s_cbranch_scc0 .LBB93_11
; %bb.6:
	s_load_b32 s6, s[0:1], 0x10
	s_mov_b32 s7, 0
                                        ; implicit-def: $vgpr1
	s_waitcnt lgkmcnt(0)
	v_cmp_gt_i32_e32 vcc_lo, s6, v4
	s_mov_b32 s6, 0
	s_and_saveexec_b32 s8, vcc_lo
	s_delay_alu instid0(SALU_CYCLE_1)
	s_xor_b32 s8, exec_lo, s8
	s_cbranch_execz .LBB93_8
; %bb.7:
	v_ashrrev_i32_e32 v5, 31, v4
	s_mov_b32 s6, exec_lo
	s_delay_alu instid0(VALU_DEP_1) | instskip(NEXT) | instid1(VALU_DEP_1)
	v_lshlrev_b64 v[1:2], 2, v[4:5]
	v_add_co_u32 v1, vcc_lo, s4, v1
	s_delay_alu instid0(VALU_DEP_2)
	v_add_co_ci_u32_e32 v2, vcc_lo, s5, v2, vcc_lo
	global_load_b32 v1, v[1:2], off
	s_waitcnt vmcnt(0)
	v_subrev_nc_u32_e32 v1, s18, v1
.LBB93_8:
	s_or_b32 exec_lo, exec_lo, s8
	s_delay_alu instid0(SALU_CYCLE_1)
	s_and_b32 vcc_lo, exec_lo, s7
	s_cbranch_vccz .LBB93_12
.LBB93_9:
	v_cmp_gt_i32_e32 vcc_lo, s2, v4
	s_and_not1_b32 s2, s6, exec_lo
	s_and_b32 s4, vcc_lo, exec_lo
	s_delay_alu instid0(SALU_CYCLE_1) | instskip(NEXT) | instid1(SALU_CYCLE_1)
	s_or_b32 s6, s2, s4
	s_and_saveexec_b32 s2, s6
	s_cbranch_execnz .LBB93_13
.LBB93_10:
	s_nop 0
	s_sendmsg sendmsg(MSG_DEALLOC_VGPRS)
	s_endpgm
.LBB93_11:
                                        ; implicit-def: $vgpr1
	s_cbranch_execnz .LBB93_9
.LBB93_12:
	s_delay_alu instid0(VALU_DEP_1)
	v_mov_b32_e32 v4, v1
	s_and_saveexec_b32 s2, s6
	s_cbranch_execz .LBB93_10
.LBB93_13:
	s_load_b256 s[4:11], s[0:1], 0x20
	s_delay_alu instid0(VALU_DEP_1) | instskip(SKIP_1) | instid1(VALU_DEP_2)
	v_ashrrev_i32_e32 v5, 31, v4
	v_and_b32_e32 v9, 31, v0
	v_lshlrev_b64 v[1:2], 2, v[4:5]
	s_waitcnt lgkmcnt(0)
	s_delay_alu instid0(VALU_DEP_1) | instskip(NEXT) | instid1(VALU_DEP_2)
	v_add_co_u32 v5, vcc_lo, s4, v1
	v_add_co_ci_u32_e32 v6, vcc_lo, s5, v2, vcc_lo
	v_add_co_u32 v1, vcc_lo, s6, v1
	v_add_co_ci_u32_e32 v2, vcc_lo, s7, v2, vcc_lo
	global_load_b32 v15, v[5:6], off
	v_add_co_u32 v3, vcc_lo, v5, 4
	v_add_co_ci_u32_e32 v5, vcc_lo, 0, v6, vcc_lo
	s_cmp_eq_u64 s[6:7], 0
	s_load_b64 s[4:5], s[0:1], 0x40
	s_cselect_b32 vcc_lo, -1, 0
	s_cmp_eq_u32 s3, 1
	v_dual_cndmask_b32 v2, v2, v5 :: v_dual_cndmask_b32 v1, v1, v3
	global_load_b32 v5, v[1:2], off
	s_waitcnt vmcnt(1)
	v_subrev_nc_u32_e32 v0, s18, v15
	s_delay_alu instid0(VALU_DEP_1) | instskip(NEXT) | instid1(VALU_DEP_1)
	v_add_nc_u32_e32 v0, v0, v9
	v_ashrrev_i32_e32 v1, 31, v0
	s_waitcnt vmcnt(0)
	v_subrev_nc_u32_e32 v10, s18, v5
	s_delay_alu instid0(VALU_DEP_2) | instskip(NEXT) | instid1(VALU_DEP_2)
	v_lshlrev_b64 v[2:3], 5, v[0:1]
	v_cmp_lt_i32_e64 s2, v0, v10
	s_delay_alu instid0(VALU_DEP_2) | instskip(NEXT) | instid1(VALU_DEP_3)
	v_add_co_u32 v2, vcc_lo, s10, v2
	v_add_co_ci_u32_e32 v3, vcc_lo, s11, v3, vcc_lo
	s_cbranch_scc1 .LBB93_25
; %bb.14:
	v_dual_mov_b32 v11, 0 :: v_dual_mov_b32 v14, 0
	v_dual_mov_b32 v13, 0 :: v_dual_mov_b32 v12, 0
	s_mov_b32 s3, 0
	s_and_saveexec_b32 s6, s2
	s_cbranch_execz .LBB93_24
; %bb.15:
	v_dual_mov_b32 v12, 0 :: v_dual_add_nc_u32 v1, v15, v9
	v_not_b32_e32 v5, v15
	v_mov_b32_e32 v11, 0
	s_mov_b32 s10, 0
	s_delay_alu instid0(VALU_DEP_3) | instskip(SKIP_3) | instid1(VALU_DEP_3)
	v_subrev_nc_u32_e32 v1, s18, v1
	s_mov_b32 s7, exec_lo
	v_mov_b32_e32 v14, 0
	v_dual_mov_b32 v8, v3 :: v_dual_mov_b32 v7, v2
	v_add_nc_u32_e32 v1, 32, v1
	v_mov_b32_e32 v13, 0
	s_delay_alu instid0(VALU_DEP_2) | instskip(NEXT) | instid1(VALU_DEP_1)
	v_max_i32_e32 v1, v1, v10
	v_add3_u32 v1, v1, s18, v5
	s_delay_alu instid0(VALU_DEP_1) | instskip(NEXT) | instid1(VALU_DEP_1)
	v_sub_nc_u32_e32 v1, v1, v9
	v_lshrrev_b32_e32 v5, 5, v1
	s_delay_alu instid0(VALU_DEP_1) | instskip(NEXT) | instid1(VALU_DEP_1)
	v_add_nc_u32_e32 v5, 1, v5
	v_dual_mov_b32 v5, v0 :: v_dual_and_b32 v6, 3, v5
	s_delay_alu instid0(VALU_DEP_1)
	v_cmpx_ne_u32_e32 0, v6
	s_cbranch_execz .LBB93_19
; %bb.16:
	v_dual_mov_b32 v11, 0 :: v_dual_lshlrev_b32 v16, 5, v6
	v_dual_mov_b32 v8, v3 :: v_dual_mov_b32 v7, v2
	v_dual_mov_b32 v5, v0 :: v_dual_mov_b32 v14, 0
	v_dual_mov_b32 v13, 0 :: v_dual_mov_b32 v12, 0
.LBB93_17:                              ; =>This Inner Loop Header: Depth=1
	s_delay_alu instid0(VALU_DEP_2) | instskip(SKIP_1) | instid1(VALU_DEP_2)
	v_ashrrev_i32_e32 v6, 31, v5
	v_subrev_nc_u32_e32 v16, 32, v16
	v_lshlrev_b64 v[17:18], 2, v[5:6]
	v_add_nc_u32_e32 v5, 32, v5
	s_delay_alu instid0(VALU_DEP_2) | instskip(NEXT) | instid1(VALU_DEP_3)
	v_add_co_u32 v17, vcc_lo, s8, v17
	v_add_co_ci_u32_e32 v18, vcc_lo, s9, v18, vcc_lo
	global_load_b32 v6, v[17:18], off
	global_load_b128 v[17:20], v[7:8], off
	s_waitcnt vmcnt(1)
	v_subrev_nc_u32_e32 v6, s18, v6
	s_delay_alu instid0(VALU_DEP_1) | instskip(NEXT) | instid1(VALU_DEP_1)
	v_lshlrev_b32_e32 v21, 2, v6
	v_ashrrev_i32_e32 v22, 31, v21
	s_delay_alu instid0(VALU_DEP_1) | instskip(SKIP_1) | instid1(VALU_DEP_1)
	v_lshlrev_b64 v[21:22], 1, v[21:22]
	s_waitcnt lgkmcnt(0)
	v_add_co_u32 v25, vcc_lo, s4, v21
	s_delay_alu instid0(VALU_DEP_2)
	v_add_co_ci_u32_e32 v26, vcc_lo, s5, v22, vcc_lo
	global_load_b128 v[21:24], v[7:8], off offset:16
	global_load_b64 v[25:26], v[25:26], off
	v_add_co_u32 v7, vcc_lo, 0x400, v7
	v_add_co_ci_u32_e32 v8, vcc_lo, 0, v8, vcc_lo
	v_cmp_eq_u32_e32 vcc_lo, 0, v16
	s_or_b32 s10, vcc_lo, s10
	s_waitcnt vmcnt(0)
	v_fma_mix_f32 v6, v17, v25, v12 op_sel_hi:[1,1,0]
	v_fma_mix_f32 v12, v19, v25, v14 op_sel_hi:[1,1,0]
	;; [unrolled: 1-line block ×4, first 2 shown]
	s_delay_alu instid0(VALU_DEP_4) | instskip(NEXT) | instid1(VALU_DEP_4)
	v_fma_mix_f32 v6, v17, v25, v6 op_sel:[1,1,0] op_sel_hi:[1,1,0]
	v_fma_mix_f32 v12, v19, v25, v12 op_sel:[1,1,0] op_sel_hi:[1,1,0]
	s_delay_alu instid0(VALU_DEP_4) | instskip(NEXT) | instid1(VALU_DEP_4)
	v_fma_mix_f32 v13, v21, v25, v13 op_sel:[1,1,0] op_sel_hi:[1,1,0]
	v_fma_mix_f32 v11, v23, v25, v11 op_sel:[1,1,0] op_sel_hi:[1,1,0]
	s_delay_alu instid0(VALU_DEP_4) | instskip(NEXT) | instid1(VALU_DEP_4)
	v_fma_mix_f32 v6, v18, v26, v6 op_sel_hi:[1,1,0]
	v_fma_mix_f32 v14, v20, v26, v12 op_sel_hi:[1,1,0]
	s_delay_alu instid0(VALU_DEP_4) | instskip(NEXT) | instid1(VALU_DEP_4)
	v_fma_mix_f32 v13, v22, v26, v13 op_sel_hi:[1,1,0]
	v_fma_mix_f32 v11, v24, v26, v11 op_sel_hi:[1,1,0]
	s_delay_alu instid0(VALU_DEP_4) | instskip(NEXT) | instid1(VALU_DEP_4)
	v_fma_mix_f32 v12, v18, v26, v6 op_sel:[1,1,0] op_sel_hi:[1,1,0]
	v_fma_mix_f32 v14, v20, v26, v14 op_sel:[1,1,0] op_sel_hi:[1,1,0]
	s_delay_alu instid0(VALU_DEP_4) | instskip(NEXT) | instid1(VALU_DEP_4)
	v_fma_mix_f32 v13, v22, v26, v13 op_sel:[1,1,0] op_sel_hi:[1,1,0]
	v_fma_mix_f32 v11, v24, v26, v11 op_sel:[1,1,0] op_sel_hi:[1,1,0]
	s_and_not1_b32 exec_lo, exec_lo, s10
	s_cbranch_execnz .LBB93_17
; %bb.18:
	s_or_b32 exec_lo, exec_lo, s10
.LBB93_19:
	s_delay_alu instid0(SALU_CYCLE_1) | instskip(NEXT) | instid1(SALU_CYCLE_1)
	s_or_b32 exec_lo, exec_lo, s7
	s_mov_b32 s7, exec_lo
	v_cmpx_lt_u32_e32 0x5f, v1
	s_cbranch_execz .LBB93_23
; %bb.20:
	s_mov_b32 s10, 0
.LBB93_21:                              ; =>This Inner Loop Header: Depth=1
	v_ashrrev_i32_e32 v6, 31, v5
	s_delay_alu instid0(VALU_DEP_1) | instskip(SKIP_1) | instid1(VALU_DEP_2)
	v_lshlrev_b64 v[16:17], 2, v[5:6]
	v_add_nc_u32_e32 v5, 0x80, v5
	v_add_co_u32 v16, vcc_lo, s8, v16
	s_delay_alu instid0(VALU_DEP_3)
	v_add_co_ci_u32_e32 v17, vcc_lo, s9, v17, vcc_lo
	s_clause 0x3
	global_load_b32 v1, v[16:17], off
	global_load_b32 v6, v[16:17], off offset:128
	global_load_b32 v48, v[16:17], off offset:256
	;; [unrolled: 1-line block ×3, first 2 shown]
	s_clause 0x7
	global_load_b128 v[16:19], v[7:8], off
	global_load_b128 v[20:23], v[7:8], off offset:16
	global_load_b128 v[24:27], v[7:8], off offset:1024
	;; [unrolled: 1-line block ×7, first 2 shown]
	s_waitcnt vmcnt(11)
	v_subrev_nc_u32_e32 v1, s18, v1
	s_waitcnt vmcnt(10)
	v_subrev_nc_u32_e32 v6, s18, v6
	;; [unrolled: 2-line block ×4, first 2 shown]
	v_lshlrev_b32_e32 v48, 2, v1
	v_lshlrev_b32_e32 v50, 2, v6
	v_lshlrev_b32_e32 v52, 2, v51
	s_delay_alu instid0(VALU_DEP_4) | instskip(NEXT) | instid1(VALU_DEP_4)
	v_lshlrev_b32_e32 v54, 2, v49
	v_ashrrev_i32_e32 v49, 31, v48
	s_delay_alu instid0(VALU_DEP_4) | instskip(NEXT) | instid1(VALU_DEP_4)
	v_ashrrev_i32_e32 v51, 31, v50
	v_ashrrev_i32_e32 v53, 31, v52
	s_delay_alu instid0(VALU_DEP_4) | instskip(NEXT) | instid1(VALU_DEP_4)
	v_ashrrev_i32_e32 v55, 31, v54
	v_lshlrev_b64 v[48:49], 1, v[48:49]
	s_delay_alu instid0(VALU_DEP_4) | instskip(NEXT) | instid1(VALU_DEP_4)
	v_lshlrev_b64 v[50:51], 1, v[50:51]
	v_lshlrev_b64 v[52:53], 1, v[52:53]
	s_delay_alu instid0(VALU_DEP_4) | instskip(SKIP_1) | instid1(VALU_DEP_4)
	v_lshlrev_b64 v[54:55], 1, v[54:55]
	s_waitcnt lgkmcnt(0)
	v_add_co_u32 v48, vcc_lo, s4, v48
	v_add_co_ci_u32_e32 v49, vcc_lo, s5, v49, vcc_lo
	v_add_co_u32 v50, vcc_lo, s4, v50
	v_add_co_ci_u32_e32 v51, vcc_lo, s5, v51, vcc_lo
	global_load_b64 v[48:49], v[48:49], off
	v_add_co_u32 v52, vcc_lo, s4, v52
	global_load_b64 v[50:51], v[50:51], off
	v_add_co_ci_u32_e32 v53, vcc_lo, s5, v53, vcc_lo
	v_add_co_u32 v54, vcc_lo, s4, v54
	v_add_co_ci_u32_e32 v55, vcc_lo, s5, v55, vcc_lo
	global_load_b64 v[52:53], v[52:53], off
	v_add_co_u32 v7, vcc_lo, 0x1000, v7
	global_load_b64 v[54:55], v[54:55], off
	v_add_co_ci_u32_e32 v8, vcc_lo, 0, v8, vcc_lo
	v_cmp_ge_i32_e32 vcc_lo, v5, v10
	s_or_b32 s10, vcc_lo, s10
	s_waitcnt vmcnt(3)
	v_fma_mix_f32 v1, v16, v48, v12 op_sel_hi:[1,1,0]
	v_fma_mix_f32 v6, v18, v48, v14 op_sel_hi:[1,1,0]
	v_fma_mix_f32 v12, v20, v48, v13 op_sel_hi:[1,1,0]
	v_fma_mix_f32 v11, v22, v48, v11 op_sel_hi:[1,1,0]
	s_delay_alu instid0(VALU_DEP_4) | instskip(NEXT) | instid1(VALU_DEP_4)
	v_fma_mix_f32 v1, v16, v48, v1 op_sel:[1,1,0] op_sel_hi:[1,1,0]
	v_fma_mix_f32 v6, v18, v48, v6 op_sel:[1,1,0] op_sel_hi:[1,1,0]
	s_delay_alu instid0(VALU_DEP_4) | instskip(NEXT) | instid1(VALU_DEP_4)
	v_fma_mix_f32 v12, v20, v48, v12 op_sel:[1,1,0] op_sel_hi:[1,1,0]
	v_fma_mix_f32 v11, v22, v48, v11 op_sel:[1,1,0] op_sel_hi:[1,1,0]
	s_delay_alu instid0(VALU_DEP_4) | instskip(NEXT) | instid1(VALU_DEP_4)
	v_fma_mix_f32 v1, v17, v49, v1 op_sel_hi:[1,1,0]
	v_fma_mix_f32 v6, v19, v49, v6 op_sel_hi:[1,1,0]
	s_delay_alu instid0(VALU_DEP_4) | instskip(NEXT) | instid1(VALU_DEP_4)
	v_fma_mix_f32 v12, v21, v49, v12 op_sel_hi:[1,1,0]
	v_fma_mix_f32 v11, v23, v49, v11 op_sel_hi:[1,1,0]
	s_delay_alu instid0(VALU_DEP_4) | instskip(NEXT) | instid1(VALU_DEP_4)
	v_fma_mix_f32 v1, v17, v49, v1 op_sel:[1,1,0] op_sel_hi:[1,1,0]
	v_fma_mix_f32 v6, v19, v49, v6 op_sel:[1,1,0] op_sel_hi:[1,1,0]
	s_delay_alu instid0(VALU_DEP_4) | instskip(NEXT) | instid1(VALU_DEP_4)
	v_fma_mix_f32 v12, v21, v49, v12 op_sel:[1,1,0] op_sel_hi:[1,1,0]
	v_fma_mix_f32 v11, v23, v49, v11 op_sel:[1,1,0] op_sel_hi:[1,1,0]
	s_waitcnt vmcnt(2)
	v_fma_mix_f32 v1, v24, v50, v1 op_sel_hi:[1,1,0]
	v_fma_mix_f32 v6, v26, v50, v6 op_sel_hi:[1,1,0]
	v_fma_mix_f32 v12, v28, v50, v12 op_sel_hi:[1,1,0]
	v_fma_mix_f32 v11, v30, v50, v11 op_sel_hi:[1,1,0]
	s_delay_alu instid0(VALU_DEP_4) | instskip(NEXT) | instid1(VALU_DEP_4)
	v_fma_mix_f32 v1, v24, v50, v1 op_sel:[1,1,0] op_sel_hi:[1,1,0]
	v_fma_mix_f32 v6, v26, v50, v6 op_sel:[1,1,0] op_sel_hi:[1,1,0]
	s_delay_alu instid0(VALU_DEP_4) | instskip(NEXT) | instid1(VALU_DEP_4)
	v_fma_mix_f32 v12, v28, v50, v12 op_sel:[1,1,0] op_sel_hi:[1,1,0]
	v_fma_mix_f32 v11, v30, v50, v11 op_sel:[1,1,0] op_sel_hi:[1,1,0]
	s_delay_alu instid0(VALU_DEP_4) | instskip(NEXT) | instid1(VALU_DEP_4)
	v_fma_mix_f32 v1, v25, v51, v1 op_sel_hi:[1,1,0]
	v_fma_mix_f32 v6, v27, v51, v6 op_sel_hi:[1,1,0]
	s_delay_alu instid0(VALU_DEP_4) | instskip(NEXT) | instid1(VALU_DEP_4)
	v_fma_mix_f32 v12, v29, v51, v12 op_sel_hi:[1,1,0]
	v_fma_mix_f32 v11, v31, v51, v11 op_sel_hi:[1,1,0]
	s_delay_alu instid0(VALU_DEP_4) | instskip(NEXT) | instid1(VALU_DEP_4)
	v_fma_mix_f32 v1, v25, v51, v1 op_sel:[1,1,0] op_sel_hi:[1,1,0]
	v_fma_mix_f32 v6, v27, v51, v6 op_sel:[1,1,0] op_sel_hi:[1,1,0]
	s_delay_alu instid0(VALU_DEP_4) | instskip(NEXT) | instid1(VALU_DEP_4)
	v_fma_mix_f32 v12, v29, v51, v12 op_sel:[1,1,0] op_sel_hi:[1,1,0]
	v_fma_mix_f32 v11, v31, v51, v11 op_sel:[1,1,0] op_sel_hi:[1,1,0]
	;; [unrolled: 23-line block ×4, first 2 shown]
	s_and_not1_b32 exec_lo, exec_lo, s10
	s_cbranch_execnz .LBB93_21
; %bb.22:
	s_or_b32 exec_lo, exec_lo, s10
.LBB93_23:
	s_delay_alu instid0(SALU_CYCLE_1)
	s_or_b32 exec_lo, exec_lo, s7
.LBB93_24:
	s_delay_alu instid0(SALU_CYCLE_1) | instskip(NEXT) | instid1(SALU_CYCLE_1)
	s_or_b32 exec_lo, exec_lo, s6
	s_and_not1_b32 vcc_lo, exec_lo, s3
	s_cbranch_vccz .LBB93_26
	s_branch .LBB93_37
.LBB93_25:
                                        ; implicit-def: $vgpr11
                                        ; implicit-def: $vgpr13
                                        ; implicit-def: $vgpr14
                                        ; implicit-def: $vgpr12
.LBB93_26:
	v_dual_mov_b32 v11, 0 :: v_dual_mov_b32 v14, 0
	v_dual_mov_b32 v13, 0 :: v_dual_mov_b32 v12, 0
	s_and_saveexec_b32 s3, s2
	s_cbranch_execz .LBB93_36
; %bb.27:
	v_dual_mov_b32 v12, 0 :: v_dual_add_nc_u32 v1, v15, v9
	v_not_b32_e32 v5, v15
	v_mov_b32_e32 v13, 0
	v_mov_b32_e32 v11, 0
	s_delay_alu instid0(VALU_DEP_4) | instskip(SKIP_2) | instid1(VALU_DEP_1)
	v_subrev_nc_u32_e32 v1, s18, v1
	s_mov_b32 s6, 0
	s_mov_b32 s2, exec_lo
	v_dual_mov_b32 v14, 0 :: v_dual_add_nc_u32 v1, 32, v1
	s_delay_alu instid0(VALU_DEP_1) | instskip(NEXT) | instid1(VALU_DEP_1)
	v_max_i32_e32 v1, v1, v10
	v_add3_u32 v1, v1, s18, v5
	s_delay_alu instid0(VALU_DEP_1) | instskip(NEXT) | instid1(VALU_DEP_1)
	v_sub_nc_u32_e32 v5, v1, v9
	v_lshrrev_b32_e32 v1, 5, v5
	s_delay_alu instid0(VALU_DEP_1) | instskip(NEXT) | instid1(VALU_DEP_1)
	v_add_nc_u32_e32 v1, 1, v1
	v_and_b32_e32 v1, 3, v1
	s_delay_alu instid0(VALU_DEP_1)
	v_cmpx_ne_u32_e32 0, v1
	s_cbranch_execz .LBB93_31
; %bb.28:
	v_dual_mov_b32 v11, 0 :: v_dual_lshlrev_b32 v6, 5, v1
	v_dual_mov_b32 v13, 0 :: v_dual_mov_b32 v14, 0
	v_mov_b32_e32 v12, 0
.LBB93_29:                              ; =>This Inner Loop Header: Depth=1
	v_ashrrev_i32_e32 v1, 31, v0
	s_delay_alu instid0(VALU_DEP_4) | instskip(NEXT) | instid1(VALU_DEP_2)
	v_subrev_nc_u32_e32 v6, 32, v6
	v_lshlrev_b64 v[7:8], 2, v[0:1]
	v_add_nc_u32_e32 v0, 32, v0
	s_delay_alu instid0(VALU_DEP_2) | instskip(NEXT) | instid1(VALU_DEP_3)
	v_add_co_u32 v7, vcc_lo, s8, v7
	v_add_co_ci_u32_e32 v8, vcc_lo, s9, v8, vcc_lo
	global_load_b32 v1, v[7:8], off
	s_waitcnt vmcnt(0)
	v_subrev_nc_u32_e32 v1, s18, v1
	s_delay_alu instid0(VALU_DEP_1) | instskip(NEXT) | instid1(VALU_DEP_1)
	v_lshlrev_b32_e32 v7, 2, v1
	v_ashrrev_i32_e32 v8, 31, v7
	s_delay_alu instid0(VALU_DEP_1) | instskip(SKIP_1) | instid1(VALU_DEP_1)
	v_lshlrev_b64 v[7:8], 1, v[7:8]
	s_waitcnt lgkmcnt(0)
	v_add_co_u32 v7, vcc_lo, s4, v7
	s_delay_alu instid0(VALU_DEP_2)
	v_add_co_ci_u32_e32 v8, vcc_lo, s5, v8, vcc_lo
	global_load_b128 v[15:18], v[2:3], off
	global_load_b64 v[7:8], v[7:8], off
	global_load_b128 v[19:22], v[2:3], off offset:16
	v_add_co_u32 v2, vcc_lo, 0x400, v2
	v_add_co_ci_u32_e32 v3, vcc_lo, 0, v3, vcc_lo
	v_cmp_eq_u32_e32 vcc_lo, 0, v6
	s_or_b32 s6, vcc_lo, s6
	s_waitcnt vmcnt(1)
	v_fma_mix_f32 v1, v15, v7, v12 op_sel_hi:[1,1,0]
	v_fma_mix_f32 v12, v15, v7, v14 op_sel:[1,0,0] op_sel_hi:[1,1,0]
	v_fma_mix_f32 v13, v16, v7, v13 op_sel_hi:[1,1,0]
	v_fma_mix_f32 v11, v16, v7, v11 op_sel:[1,0,0] op_sel_hi:[1,1,0]
	s_delay_alu instid0(VALU_DEP_4) | instskip(NEXT) | instid1(VALU_DEP_4)
	v_fma_mix_f32 v1, v17, v7, v1 op_sel:[0,1,0] op_sel_hi:[1,1,0]
	v_fma_mix_f32 v12, v17, v7, v12 op_sel:[1,1,0] op_sel_hi:[1,1,0]
	s_delay_alu instid0(VALU_DEP_4) | instskip(NEXT) | instid1(VALU_DEP_4)
	v_fma_mix_f32 v13, v18, v7, v13 op_sel:[0,1,0] op_sel_hi:[1,1,0]
	v_fma_mix_f32 v7, v18, v7, v11 op_sel:[1,1,0] op_sel_hi:[1,1,0]
	s_waitcnt vmcnt(0)
	v_fma_mix_f32 v1, v19, v8, v1 op_sel_hi:[1,1,0]
	v_fma_mix_f32 v11, v19, v8, v12 op_sel:[1,0,0] op_sel_hi:[1,1,0]
	v_fma_mix_f32 v13, v20, v8, v13 op_sel_hi:[1,1,0]
	v_fma_mix_f32 v7, v20, v8, v7 op_sel:[1,0,0] op_sel_hi:[1,1,0]
	s_delay_alu instid0(VALU_DEP_4) | instskip(NEXT) | instid1(VALU_DEP_4)
	v_fma_mix_f32 v12, v21, v8, v1 op_sel:[0,1,0] op_sel_hi:[1,1,0]
	v_fma_mix_f32 v14, v21, v8, v11 op_sel:[1,1,0] op_sel_hi:[1,1,0]
	s_delay_alu instid0(VALU_DEP_4) | instskip(NEXT) | instid1(VALU_DEP_4)
	v_fma_mix_f32 v13, v22, v8, v13 op_sel:[0,1,0] op_sel_hi:[1,1,0]
	v_fma_mix_f32 v11, v22, v8, v7 op_sel:[1,1,0] op_sel_hi:[1,1,0]
	s_and_not1_b32 exec_lo, exec_lo, s6
	s_cbranch_execnz .LBB93_29
; %bb.30:
	s_or_b32 exec_lo, exec_lo, s6
.LBB93_31:
	s_delay_alu instid0(SALU_CYCLE_1) | instskip(NEXT) | instid1(SALU_CYCLE_1)
	s_or_b32 exec_lo, exec_lo, s2
	s_mov_b32 s2, exec_lo
	v_cmpx_lt_u32_e32 0x5f, v5
	s_cbranch_execz .LBB93_35
; %bb.32:
	s_mov_b32 s6, 0
.LBB93_33:                              ; =>This Inner Loop Header: Depth=1
	v_ashrrev_i32_e32 v1, 31, v0
	s_delay_alu instid0(VALU_DEP_1) | instskip(SKIP_1) | instid1(VALU_DEP_2)
	v_lshlrev_b64 v[5:6], 2, v[0:1]
	v_add_nc_u32_e32 v0, 0x80, v0
	v_add_co_u32 v5, vcc_lo, s8, v5
	s_delay_alu instid0(VALU_DEP_3)
	v_add_co_ci_u32_e32 v6, vcc_lo, s9, v6, vcc_lo
	s_clause 0x3
	global_load_b32 v1, v[5:6], off
	global_load_b32 v39, v[5:6], off offset:128
	global_load_b32 v40, v[5:6], off offset:256
	;; [unrolled: 1-line block ×3, first 2 shown]
	s_clause 0x6
	global_load_b128 v[5:8], v[2:3], off
	global_load_b128 v[15:18], v[2:3], off offset:16
	global_load_b128 v[19:22], v[2:3], off offset:1024
	;; [unrolled: 1-line block ×6, first 2 shown]
	s_waitcnt vmcnt(10)
	v_subrev_nc_u32_e32 v1, s18, v1
	s_waitcnt vmcnt(9)
	v_subrev_nc_u32_e32 v42, s18, v39
	;; [unrolled: 2-line block ×4, first 2 shown]
	v_lshlrev_b32_e32 v39, 2, v1
	v_lshlrev_b32_e32 v41, 2, v42
	v_lshlrev_b32_e32 v43, 2, v40
	s_delay_alu instid0(VALU_DEP_4) | instskip(NEXT) | instid1(VALU_DEP_4)
	v_lshlrev_b32_e32 v45, 2, v44
	v_ashrrev_i32_e32 v40, 31, v39
	s_delay_alu instid0(VALU_DEP_4) | instskip(NEXT) | instid1(VALU_DEP_4)
	v_ashrrev_i32_e32 v42, 31, v41
	v_ashrrev_i32_e32 v44, 31, v43
	s_delay_alu instid0(VALU_DEP_4) | instskip(NEXT) | instid1(VALU_DEP_4)
	v_ashrrev_i32_e32 v46, 31, v45
	v_lshlrev_b64 v[39:40], 1, v[39:40]
	s_waitcnt lgkmcnt(0)
	s_delay_alu instid0(VALU_DEP_1) | instskip(NEXT) | instid1(VALU_DEP_2)
	v_add_co_u32 v39, vcc_lo, s4, v39
	v_add_co_ci_u32_e32 v40, vcc_lo, s5, v40, vcc_lo
	global_load_b64 v[47:48], v[39:40], off
	v_lshlrev_b64 v[39:40], 1, v[41:42]
	s_delay_alu instid0(VALU_DEP_1) | instskip(NEXT) | instid1(VALU_DEP_2)
	v_add_co_u32 v39, vcc_lo, s4, v39
	v_add_co_ci_u32_e32 v40, vcc_lo, s5, v40, vcc_lo
	global_load_b64 v[49:50], v[39:40], off
	v_lshlrev_b64 v[39:40], 1, v[43:44]
	;; [unrolled: 5-line block ×3, first 2 shown]
	s_delay_alu instid0(VALU_DEP_1) | instskip(NEXT) | instid1(VALU_DEP_2)
	v_add_co_u32 v39, vcc_lo, s4, v39
	v_add_co_ci_u32_e32 v40, vcc_lo, s5, v40, vcc_lo
	global_load_b64 v[45:46], v[39:40], off
	global_load_b128 v[39:42], v[2:3], off offset:3088
	v_add_co_u32 v2, vcc_lo, 0x1000, v2
	v_add_co_ci_u32_e32 v3, vcc_lo, 0, v3, vcc_lo
	v_cmp_ge_i32_e32 vcc_lo, v0, v10
	s_or_b32 s6, vcc_lo, s6
	s_waitcnt vmcnt(4)
	v_fma_mix_f32 v1, v5, v47, v12 op_sel_hi:[1,1,0]
	v_fma_mix_f32 v5, v5, v47, v14 op_sel:[1,0,0] op_sel_hi:[1,1,0]
	v_fma_mix_f32 v12, v6, v47, v13 op_sel_hi:[1,1,0]
	v_fma_mix_f32 v6, v6, v47, v11 op_sel:[1,0,0] op_sel_hi:[1,1,0]
	s_delay_alu instid0(VALU_DEP_4) | instskip(NEXT) | instid1(VALU_DEP_4)
	v_fma_mix_f32 v1, v7, v47, v1 op_sel:[0,1,0] op_sel_hi:[1,1,0]
	v_fma_mix_f32 v5, v7, v47, v5 op_sel:[1,1,0] op_sel_hi:[1,1,0]
	s_delay_alu instid0(VALU_DEP_4) | instskip(NEXT) | instid1(VALU_DEP_4)
	v_fma_mix_f32 v7, v8, v47, v12 op_sel:[0,1,0] op_sel_hi:[1,1,0]
	v_fma_mix_f32 v6, v8, v47, v6 op_sel:[1,1,0] op_sel_hi:[1,1,0]
	s_delay_alu instid0(VALU_DEP_4) | instskip(NEXT) | instid1(VALU_DEP_4)
	v_fma_mix_f32 v1, v15, v48, v1 op_sel_hi:[1,1,0]
	v_fma_mix_f32 v5, v15, v48, v5 op_sel:[1,0,0] op_sel_hi:[1,1,0]
	s_delay_alu instid0(VALU_DEP_4) | instskip(NEXT) | instid1(VALU_DEP_4)
	v_fma_mix_f32 v7, v16, v48, v7 op_sel_hi:[1,1,0]
	v_fma_mix_f32 v6, v16, v48, v6 op_sel:[1,0,0] op_sel_hi:[1,1,0]
	s_delay_alu instid0(VALU_DEP_4) | instskip(NEXT) | instid1(VALU_DEP_4)
	v_fma_mix_f32 v1, v17, v48, v1 op_sel:[0,1,0] op_sel_hi:[1,1,0]
	v_fma_mix_f32 v5, v17, v48, v5 op_sel:[1,1,0] op_sel_hi:[1,1,0]
	s_delay_alu instid0(VALU_DEP_4) | instskip(NEXT) | instid1(VALU_DEP_4)
	v_fma_mix_f32 v7, v18, v48, v7 op_sel:[0,1,0] op_sel_hi:[1,1,0]
	v_fma_mix_f32 v6, v18, v48, v6 op_sel:[1,1,0] op_sel_hi:[1,1,0]
	s_waitcnt vmcnt(3)
	v_fma_mix_f32 v1, v19, v49, v1 op_sel_hi:[1,1,0]
	v_fma_mix_f32 v5, v19, v49, v5 op_sel:[1,0,0] op_sel_hi:[1,1,0]
	v_fma_mix_f32 v7, v20, v49, v7 op_sel_hi:[1,1,0]
	v_fma_mix_f32 v6, v20, v49, v6 op_sel:[1,0,0] op_sel_hi:[1,1,0]
	s_delay_alu instid0(VALU_DEP_4) | instskip(NEXT) | instid1(VALU_DEP_4)
	v_fma_mix_f32 v1, v21, v49, v1 op_sel:[0,1,0] op_sel_hi:[1,1,0]
	v_fma_mix_f32 v5, v21, v49, v5 op_sel:[1,1,0] op_sel_hi:[1,1,0]
	s_delay_alu instid0(VALU_DEP_4) | instskip(NEXT) | instid1(VALU_DEP_4)
	v_fma_mix_f32 v7, v22, v49, v7 op_sel:[0,1,0] op_sel_hi:[1,1,0]
	v_fma_mix_f32 v6, v22, v49, v6 op_sel:[1,1,0] op_sel_hi:[1,1,0]
	s_delay_alu instid0(VALU_DEP_4) | instskip(NEXT) | instid1(VALU_DEP_4)
	v_fma_mix_f32 v1, v23, v50, v1 op_sel_hi:[1,1,0]
	v_fma_mix_f32 v5, v23, v50, v5 op_sel:[1,0,0] op_sel_hi:[1,1,0]
	s_delay_alu instid0(VALU_DEP_4) | instskip(NEXT) | instid1(VALU_DEP_4)
	v_fma_mix_f32 v7, v24, v50, v7 op_sel_hi:[1,1,0]
	v_fma_mix_f32 v6, v24, v50, v6 op_sel:[1,0,0] op_sel_hi:[1,1,0]
	s_delay_alu instid0(VALU_DEP_4) | instskip(NEXT) | instid1(VALU_DEP_4)
	v_fma_mix_f32 v1, v25, v50, v1 op_sel:[0,1,0] op_sel_hi:[1,1,0]
	v_fma_mix_f32 v5, v25, v50, v5 op_sel:[1,1,0] op_sel_hi:[1,1,0]
	s_delay_alu instid0(VALU_DEP_4) | instskip(NEXT) | instid1(VALU_DEP_4)
	v_fma_mix_f32 v7, v26, v50, v7 op_sel:[0,1,0] op_sel_hi:[1,1,0]
	v_fma_mix_f32 v6, v26, v50, v6 op_sel:[1,1,0] op_sel_hi:[1,1,0]
	;; [unrolled: 23-line block ×3, first 2 shown]
	s_waitcnt vmcnt(1)
	v_fma_mix_f32 v1, v35, v45, v1 op_sel_hi:[1,1,0]
	v_fma_mix_f32 v5, v35, v45, v5 op_sel:[1,0,0] op_sel_hi:[1,1,0]
	v_fma_mix_f32 v7, v36, v45, v7 op_sel_hi:[1,1,0]
	v_fma_mix_f32 v6, v36, v45, v6 op_sel:[1,0,0] op_sel_hi:[1,1,0]
	s_delay_alu instid0(VALU_DEP_4) | instskip(NEXT) | instid1(VALU_DEP_4)
	v_fma_mix_f32 v1, v37, v45, v1 op_sel:[0,1,0] op_sel_hi:[1,1,0]
	v_fma_mix_f32 v5, v37, v45, v5 op_sel:[1,1,0] op_sel_hi:[1,1,0]
	s_delay_alu instid0(VALU_DEP_4) | instskip(NEXT) | instid1(VALU_DEP_4)
	v_fma_mix_f32 v7, v38, v45, v7 op_sel:[0,1,0] op_sel_hi:[1,1,0]
	v_fma_mix_f32 v6, v38, v45, v6 op_sel:[1,1,0] op_sel_hi:[1,1,0]
	s_waitcnt vmcnt(0)
	v_fma_mix_f32 v1, v39, v46, v1 op_sel_hi:[1,1,0]
	v_fma_mix_f32 v5, v39, v46, v5 op_sel:[1,0,0] op_sel_hi:[1,1,0]
	v_fma_mix_f32 v7, v40, v46, v7 op_sel_hi:[1,1,0]
	v_fma_mix_f32 v6, v40, v46, v6 op_sel:[1,0,0] op_sel_hi:[1,1,0]
	s_delay_alu instid0(VALU_DEP_4) | instskip(NEXT) | instid1(VALU_DEP_4)
	v_fma_mix_f32 v12, v41, v46, v1 op_sel:[0,1,0] op_sel_hi:[1,1,0]
	v_fma_mix_f32 v14, v41, v46, v5 op_sel:[1,1,0] op_sel_hi:[1,1,0]
	s_delay_alu instid0(VALU_DEP_4) | instskip(NEXT) | instid1(VALU_DEP_4)
	v_fma_mix_f32 v13, v42, v46, v7 op_sel:[0,1,0] op_sel_hi:[1,1,0]
	v_fma_mix_f32 v11, v42, v46, v6 op_sel:[1,1,0] op_sel_hi:[1,1,0]
	s_and_not1_b32 exec_lo, exec_lo, s6
	s_cbranch_execnz .LBB93_33
; %bb.34:
	s_or_b32 exec_lo, exec_lo, s6
.LBB93_35:
	s_delay_alu instid0(SALU_CYCLE_1)
	s_or_b32 exec_lo, exec_lo, s2
.LBB93_36:
	s_delay_alu instid0(SALU_CYCLE_1)
	s_or_b32 exec_lo, exec_lo, s3
.LBB93_37:
	v_mbcnt_lo_u32_b32 v0, -1, 0
	s_mov_b32 s2, -1
	s_delay_alu instid0(VALU_DEP_1) | instskip(SKIP_1) | instid1(VALU_DEP_2)
	v_xor_b32_e32 v1, 16, v0
	v_xor_b32_e32 v6, 8, v0
	v_cmp_gt_i32_e32 vcc_lo, 32, v1
	v_cndmask_b32_e32 v1, v0, v1, vcc_lo
	s_delay_alu instid0(VALU_DEP_3) | instskip(SKIP_1) | instid1(VALU_DEP_1)
	v_cmp_gt_i32_e32 vcc_lo, 32, v6
	v_cndmask_b32_e32 v6, v0, v6, vcc_lo
	v_lshlrev_b32_e32 v6, 2, v6
	s_delay_alu instid0(VALU_DEP_4)
	v_lshlrev_b32_e32 v1, 2, v1
	ds_bpermute_b32 v2, v1, v12
	s_waitcnt lgkmcnt(0)
	v_add_f32_e32 v2, v12, v2
	ds_bpermute_b32 v3, v1, v14
	ds_bpermute_b32 v5, v1, v13
	;; [unrolled: 1-line block ×4, first 2 shown]
	s_waitcnt lgkmcnt(3)
	v_add_f32_e32 v3, v14, v3
	s_waitcnt lgkmcnt(0)
	v_dual_add_f32 v5, v13, v5 :: v_dual_add_f32 v2, v2, v7
	v_add_f32_e32 v1, v11, v1
	ds_bpermute_b32 v8, v6, v3
	ds_bpermute_b32 v10, v6, v5
	v_xor_b32_e32 v11, 4, v0
	ds_bpermute_b32 v6, v6, v1
	v_cmp_gt_i32_e32 vcc_lo, 32, v11
	s_waitcnt lgkmcnt(2)
	v_add_f32_e32 v3, v3, v8
	s_waitcnt lgkmcnt(1)
	v_add_f32_e32 v5, v5, v10
	;; [unrolled: 2-line block ×3, first 2 shown]
	v_cndmask_b32_e32 v11, v0, v11, vcc_lo
	s_delay_alu instid0(VALU_DEP_1)
	v_lshlrev_b32_e32 v11, 2, v11
	ds_bpermute_b32 v8, v11, v5
	ds_bpermute_b32 v6, v11, v2
	;; [unrolled: 1-line block ×4, first 2 shown]
	v_xor_b32_e32 v11, 2, v0
	s_delay_alu instid0(VALU_DEP_1)
	v_cmp_gt_i32_e32 vcc_lo, 32, v11
	s_waitcnt lgkmcnt(3)
	v_add_f32_e32 v5, v5, v8
	s_waitcnt lgkmcnt(2)
	v_dual_cndmask_b32 v11, v0, v11 :: v_dual_add_f32 v2, v2, v6
	s_waitcnt lgkmcnt(0)
	v_dual_add_f32 v3, v3, v7 :: v_dual_add_f32 v6, v1, v10
	s_delay_alu instid0(VALU_DEP_2)
	v_lshlrev_b32_e32 v11, 2, v11
	ds_bpermute_b32 v1, v11, v2
	ds_bpermute_b32 v7, v11, v3
	ds_bpermute_b32 v8, v11, v5
	ds_bpermute_b32 v10, v11, v6
	v_xor_b32_e32 v11, 1, v0
	s_delay_alu instid0(VALU_DEP_1) | instskip(SKIP_3) | instid1(VALU_DEP_2)
	v_cmp_gt_i32_e32 vcc_lo, 32, v11
	v_cndmask_b32_e32 v0, v0, v11, vcc_lo
	v_cmp_eq_u32_e32 vcc_lo, 31, v9
	s_waitcnt lgkmcnt(3)
	v_dual_add_f32 v0, v2, v1 :: v_dual_lshlrev_b32 v11, 2, v0
	s_waitcnt lgkmcnt(1)
	v_dual_add_f32 v1, v3, v7 :: v_dual_add_f32 v2, v5, v8
	s_waitcnt lgkmcnt(0)
	v_add_f32_e32 v3, v6, v10
	ds_bpermute_b32 v5, v11, v0
	ds_bpermute_b32 v6, v11, v1
	;; [unrolled: 1-line block ×4, first 2 shown]
	s_and_b32 exec_lo, exec_lo, vcc_lo
	s_cbranch_execz .LBB93_10
; %bb.38:
	s_load_b64 s[0:1], s[0:1], 0x50
	s_waitcnt lgkmcnt(0)
	v_dual_add_f32 v0, v0, v5 :: v_dual_add_f32 v1, v1, v6
	v_dual_add_f32 v2, v2, v7 :: v_dual_add_f32 v3, v3, v8
	v_cmp_eq_f32_e64 s3, s12, 0
	s_delay_alu instid0(VALU_DEP_3) | instskip(NEXT) | instid1(VALU_DEP_3)
	v_dual_mul_f32 v0, s16, v0 :: v_dual_mul_f32 v1, s16, v1
	v_dual_mul_f32 v2, s16, v2 :: v_dual_mul_f32 v3, s16, v3
	v_lshlrev_b32_e32 v4, 2, v4
	s_delay_alu instid0(VALU_DEP_4)
	s_and_b32 vcc_lo, exec_lo, s3
	s_cbranch_vccz .LBB93_40
; %bb.39:
	s_delay_alu instid0(VALU_DEP_1) | instskip(SKIP_1) | instid1(VALU_DEP_1)
	v_ashrrev_i32_e32 v5, 31, v4
	s_mov_b32 s2, 0
	v_lshlrev_b64 v[5:6], 2, v[4:5]
	s_delay_alu instid0(VALU_DEP_1) | instskip(NEXT) | instid1(VALU_DEP_2)
	v_add_co_u32 v5, vcc_lo, s0, v5
	v_add_co_ci_u32_e32 v6, vcc_lo, s1, v6, vcc_lo
	global_store_b128 v[5:6], v[0:3], off
.LBB93_40:
	s_and_not1_b32 vcc_lo, exec_lo, s2
	s_cbranch_vccnz .LBB93_10
; %bb.41:
	v_ashrrev_i32_e32 v5, 31, v4
	s_delay_alu instid0(VALU_DEP_1) | instskip(NEXT) | instid1(VALU_DEP_1)
	v_lshlrev_b64 v[4:5], 2, v[4:5]
	v_add_co_u32 v8, vcc_lo, s0, v4
	s_delay_alu instid0(VALU_DEP_2)
	v_add_co_ci_u32_e32 v9, vcc_lo, s1, v5, vcc_lo
	global_load_b128 v[4:7], v[8:9], off
	s_waitcnt vmcnt(0)
	v_dual_fmac_f32 v0, s12, v4 :: v_dual_fmac_f32 v1, s12, v5
	v_dual_fmac_f32 v2, s12, v6 :: v_dual_fmac_f32 v3, s12, v7
	global_store_b128 v[8:9], v[0:3], off
	s_nop 0
	s_sendmsg sendmsg(MSG_DEALLOC_VGPRS)
	s_endpgm
	.section	.rodata,"a",@progbits
	.p2align	6, 0x0
	.amdhsa_kernel _ZN9rocsparseL18bsrxmvn_4x4_kernelILj128ELj32EfiiDF16_DF16_fEEvT3_20rocsparse_direction_NS_24const_host_device_scalarIT1_EES1_PKS1_PKT2_SA_S7_PKT4_PKT5_S5_PT6_21rocsparse_index_base_b
		.amdhsa_group_segment_fixed_size 0
		.amdhsa_private_segment_fixed_size 0
		.amdhsa_kernarg_size 96
		.amdhsa_user_sgpr_count 15
		.amdhsa_user_sgpr_dispatch_ptr 0
		.amdhsa_user_sgpr_queue_ptr 0
		.amdhsa_user_sgpr_kernarg_segment_ptr 1
		.amdhsa_user_sgpr_dispatch_id 0
		.amdhsa_user_sgpr_private_segment_size 0
		.amdhsa_wavefront_size32 1
		.amdhsa_uses_dynamic_stack 0
		.amdhsa_enable_private_segment 0
		.amdhsa_system_sgpr_workgroup_id_x 1
		.amdhsa_system_sgpr_workgroup_id_y 0
		.amdhsa_system_sgpr_workgroup_id_z 0
		.amdhsa_system_sgpr_workgroup_info 0
		.amdhsa_system_vgpr_workitem_id 0
		.amdhsa_next_free_vgpr 56
		.amdhsa_next_free_sgpr 20
		.amdhsa_reserve_vcc 1
		.amdhsa_float_round_mode_32 0
		.amdhsa_float_round_mode_16_64 0
		.amdhsa_float_denorm_mode_32 3
		.amdhsa_float_denorm_mode_16_64 3
		.amdhsa_dx10_clamp 1
		.amdhsa_ieee_mode 1
		.amdhsa_fp16_overflow 0
		.amdhsa_workgroup_processor_mode 1
		.amdhsa_memory_ordered 1
		.amdhsa_forward_progress 0
		.amdhsa_shared_vgpr_count 0
		.amdhsa_exception_fp_ieee_invalid_op 0
		.amdhsa_exception_fp_denorm_src 0
		.amdhsa_exception_fp_ieee_div_zero 0
		.amdhsa_exception_fp_ieee_overflow 0
		.amdhsa_exception_fp_ieee_underflow 0
		.amdhsa_exception_fp_ieee_inexact 0
		.amdhsa_exception_int_div_zero 0
	.end_amdhsa_kernel
	.section	.text._ZN9rocsparseL18bsrxmvn_4x4_kernelILj128ELj32EfiiDF16_DF16_fEEvT3_20rocsparse_direction_NS_24const_host_device_scalarIT1_EES1_PKS1_PKT2_SA_S7_PKT4_PKT5_S5_PT6_21rocsparse_index_base_b,"axG",@progbits,_ZN9rocsparseL18bsrxmvn_4x4_kernelILj128ELj32EfiiDF16_DF16_fEEvT3_20rocsparse_direction_NS_24const_host_device_scalarIT1_EES1_PKS1_PKT2_SA_S7_PKT4_PKT5_S5_PT6_21rocsparse_index_base_b,comdat
.Lfunc_end93:
	.size	_ZN9rocsparseL18bsrxmvn_4x4_kernelILj128ELj32EfiiDF16_DF16_fEEvT3_20rocsparse_direction_NS_24const_host_device_scalarIT1_EES1_PKS1_PKT2_SA_S7_PKT4_PKT5_S5_PT6_21rocsparse_index_base_b, .Lfunc_end93-_ZN9rocsparseL18bsrxmvn_4x4_kernelILj128ELj32EfiiDF16_DF16_fEEvT3_20rocsparse_direction_NS_24const_host_device_scalarIT1_EES1_PKS1_PKT2_SA_S7_PKT4_PKT5_S5_PT6_21rocsparse_index_base_b
                                        ; -- End function
	.section	.AMDGPU.csdata,"",@progbits
; Kernel info:
; codeLenInByte = 4176
; NumSgprs: 22
; NumVgprs: 56
; ScratchSize: 0
; MemoryBound: 0
; FloatMode: 240
; IeeeMode: 1
; LDSByteSize: 0 bytes/workgroup (compile time only)
; SGPRBlocks: 2
; VGPRBlocks: 6
; NumSGPRsForWavesPerEU: 22
; NumVGPRsForWavesPerEU: 56
; Occupancy: 16
; WaveLimiterHint : 1
; COMPUTE_PGM_RSRC2:SCRATCH_EN: 0
; COMPUTE_PGM_RSRC2:USER_SGPR: 15
; COMPUTE_PGM_RSRC2:TRAP_HANDLER: 0
; COMPUTE_PGM_RSRC2:TGID_X_EN: 1
; COMPUTE_PGM_RSRC2:TGID_Y_EN: 0
; COMPUTE_PGM_RSRC2:TGID_Z_EN: 0
; COMPUTE_PGM_RSRC2:TIDIG_COMP_CNT: 0
	.section	.text._ZN9rocsparseL18bsrxmvn_4x4_kernelILj128ELj64EfiiDF16_DF16_fEEvT3_20rocsparse_direction_NS_24const_host_device_scalarIT1_EES1_PKS1_PKT2_SA_S7_PKT4_PKT5_S5_PT6_21rocsparse_index_base_b,"axG",@progbits,_ZN9rocsparseL18bsrxmvn_4x4_kernelILj128ELj64EfiiDF16_DF16_fEEvT3_20rocsparse_direction_NS_24const_host_device_scalarIT1_EES1_PKS1_PKT2_SA_S7_PKT4_PKT5_S5_PT6_21rocsparse_index_base_b,comdat
	.globl	_ZN9rocsparseL18bsrxmvn_4x4_kernelILj128ELj64EfiiDF16_DF16_fEEvT3_20rocsparse_direction_NS_24const_host_device_scalarIT1_EES1_PKS1_PKT2_SA_S7_PKT4_PKT5_S5_PT6_21rocsparse_index_base_b ; -- Begin function _ZN9rocsparseL18bsrxmvn_4x4_kernelILj128ELj64EfiiDF16_DF16_fEEvT3_20rocsparse_direction_NS_24const_host_device_scalarIT1_EES1_PKS1_PKT2_SA_S7_PKT4_PKT5_S5_PT6_21rocsparse_index_base_b
	.p2align	8
	.type	_ZN9rocsparseL18bsrxmvn_4x4_kernelILj128ELj64EfiiDF16_DF16_fEEvT3_20rocsparse_direction_NS_24const_host_device_scalarIT1_EES1_PKS1_PKT2_SA_S7_PKT4_PKT5_S5_PT6_21rocsparse_index_base_b,@function
_ZN9rocsparseL18bsrxmvn_4x4_kernelILj128ELj64EfiiDF16_DF16_fEEvT3_20rocsparse_direction_NS_24const_host_device_scalarIT1_EES1_PKS1_PKT2_SA_S7_PKT4_PKT5_S5_PT6_21rocsparse_index_base_b: ; @_ZN9rocsparseL18bsrxmvn_4x4_kernelILj128ELj64EfiiDF16_DF16_fEEvT3_20rocsparse_direction_NS_24const_host_device_scalarIT1_EES1_PKS1_PKT2_SA_S7_PKT4_PKT5_S5_PT6_21rocsparse_index_base_b
; %bb.0:
	s_clause 0x2
	s_load_b64 s[18:19], s[0:1], 0x58
	s_load_b64 s[16:17], s[0:1], 0x8
	;; [unrolled: 1-line block ×3, first 2 shown]
	s_waitcnt lgkmcnt(0)
	s_bitcmp1_b32 s19, 0
	s_cselect_b32 s2, -1, 0
	s_delay_alu instid0(SALU_CYCLE_1)
	s_and_b32 vcc_lo, exec_lo, s2
	s_xor_b32 s2, s2, -1
	s_cbranch_vccnz .LBB94_2
; %bb.1:
	s_load_b32 s16, s[16:17], 0x0
.LBB94_2:
	s_and_not1_b32 vcc_lo, exec_lo, s2
	s_cbranch_vccnz .LBB94_4
; %bb.3:
	s_load_b32 s12, s[12:13], 0x0
.LBB94_4:
	s_waitcnt lgkmcnt(0)
	v_cmp_neq_f32_e64 s2, s16, 0
	v_cmp_neq_f32_e64 s3, s12, 1.0
	s_mov_b32 s6, 0
	s_delay_alu instid0(VALU_DEP_1) | instskip(NEXT) | instid1(SALU_CYCLE_1)
	s_or_b32 s2, s2, s3
	s_and_not1_b32 vcc_lo, exec_lo, s2
	s_cbranch_vccnz .LBB94_10
; %bb.5:
	s_clause 0x1
	s_load_b64 s[4:5], s[0:1], 0x18
	s_load_b64 s[2:3], s[0:1], 0x0
	v_lshrrev_b32_e32 v1, 6, v0
	s_delay_alu instid0(VALU_DEP_1)
	v_lshl_or_b32 v4, s15, 1, v1
	s_waitcnt lgkmcnt(0)
	s_cmp_lg_u64 s[4:5], 0
	s_cbranch_scc0 .LBB94_11
; %bb.6:
	s_load_b32 s6, s[0:1], 0x10
	s_mov_b32 s7, 0
                                        ; implicit-def: $vgpr1
	s_waitcnt lgkmcnt(0)
	v_cmp_gt_i32_e32 vcc_lo, s6, v4
	s_mov_b32 s6, 0
	s_and_saveexec_b32 s8, vcc_lo
	s_delay_alu instid0(SALU_CYCLE_1)
	s_xor_b32 s8, exec_lo, s8
	s_cbranch_execz .LBB94_8
; %bb.7:
	v_ashrrev_i32_e32 v5, 31, v4
	s_mov_b32 s6, exec_lo
	s_delay_alu instid0(VALU_DEP_1) | instskip(NEXT) | instid1(VALU_DEP_1)
	v_lshlrev_b64 v[1:2], 2, v[4:5]
	v_add_co_u32 v1, vcc_lo, s4, v1
	s_delay_alu instid0(VALU_DEP_2)
	v_add_co_ci_u32_e32 v2, vcc_lo, s5, v2, vcc_lo
	global_load_b32 v1, v[1:2], off
	s_waitcnt vmcnt(0)
	v_subrev_nc_u32_e32 v1, s18, v1
.LBB94_8:
	s_or_b32 exec_lo, exec_lo, s8
	s_delay_alu instid0(SALU_CYCLE_1)
	s_and_b32 vcc_lo, exec_lo, s7
	s_cbranch_vccz .LBB94_12
.LBB94_9:
	v_cmp_gt_i32_e32 vcc_lo, s2, v4
	s_and_not1_b32 s2, s6, exec_lo
	s_and_b32 s4, vcc_lo, exec_lo
	s_delay_alu instid0(SALU_CYCLE_1) | instskip(NEXT) | instid1(SALU_CYCLE_1)
	s_or_b32 s6, s2, s4
	s_and_saveexec_b32 s2, s6
	s_cbranch_execnz .LBB94_13
.LBB94_10:
	s_nop 0
	s_sendmsg sendmsg(MSG_DEALLOC_VGPRS)
	s_endpgm
.LBB94_11:
                                        ; implicit-def: $vgpr1
	s_cbranch_execnz .LBB94_9
.LBB94_12:
	s_delay_alu instid0(VALU_DEP_1)
	v_mov_b32_e32 v4, v1
	s_and_saveexec_b32 s2, s6
	s_cbranch_execz .LBB94_10
.LBB94_13:
	s_load_b256 s[4:11], s[0:1], 0x20
	s_delay_alu instid0(VALU_DEP_1) | instskip(SKIP_1) | instid1(VALU_DEP_2)
	v_ashrrev_i32_e32 v5, 31, v4
	v_and_b32_e32 v9, 63, v0
	v_lshlrev_b64 v[1:2], 2, v[4:5]
	s_waitcnt lgkmcnt(0)
	s_delay_alu instid0(VALU_DEP_1) | instskip(NEXT) | instid1(VALU_DEP_2)
	v_add_co_u32 v5, vcc_lo, s4, v1
	v_add_co_ci_u32_e32 v6, vcc_lo, s5, v2, vcc_lo
	v_add_co_u32 v1, vcc_lo, s6, v1
	v_add_co_ci_u32_e32 v2, vcc_lo, s7, v2, vcc_lo
	global_load_b32 v15, v[5:6], off
	v_add_co_u32 v3, vcc_lo, v5, 4
	v_add_co_ci_u32_e32 v5, vcc_lo, 0, v6, vcc_lo
	s_cmp_eq_u64 s[6:7], 0
	s_load_b64 s[4:5], s[0:1], 0x40
	s_cselect_b32 vcc_lo, -1, 0
	s_cmp_eq_u32 s3, 1
	v_dual_cndmask_b32 v2, v2, v5 :: v_dual_cndmask_b32 v1, v1, v3
	global_load_b32 v5, v[1:2], off
	s_waitcnt vmcnt(1)
	v_subrev_nc_u32_e32 v0, s18, v15
	s_delay_alu instid0(VALU_DEP_1) | instskip(NEXT) | instid1(VALU_DEP_1)
	v_add_nc_u32_e32 v0, v0, v9
	v_ashrrev_i32_e32 v1, 31, v0
	s_waitcnt vmcnt(0)
	v_subrev_nc_u32_e32 v10, s18, v5
	s_delay_alu instid0(VALU_DEP_2) | instskip(NEXT) | instid1(VALU_DEP_2)
	v_lshlrev_b64 v[2:3], 5, v[0:1]
	v_cmp_lt_i32_e64 s2, v0, v10
	s_delay_alu instid0(VALU_DEP_2) | instskip(NEXT) | instid1(VALU_DEP_3)
	v_add_co_u32 v2, vcc_lo, s10, v2
	v_add_co_ci_u32_e32 v3, vcc_lo, s11, v3, vcc_lo
	s_cbranch_scc1 .LBB94_25
; %bb.14:
	v_dual_mov_b32 v11, 0 :: v_dual_mov_b32 v14, 0
	v_dual_mov_b32 v13, 0 :: v_dual_mov_b32 v12, 0
	s_mov_b32 s3, 0
	s_and_saveexec_b32 s6, s2
	s_cbranch_execz .LBB94_24
; %bb.15:
	v_dual_mov_b32 v12, 0 :: v_dual_add_nc_u32 v1, v15, v9
	v_not_b32_e32 v5, v15
	v_mov_b32_e32 v11, 0
	s_mov_b32 s10, 0
	s_delay_alu instid0(VALU_DEP_3) | instskip(SKIP_3) | instid1(VALU_DEP_3)
	v_subrev_nc_u32_e32 v1, s18, v1
	s_mov_b32 s7, exec_lo
	v_mov_b32_e32 v14, 0
	v_dual_mov_b32 v8, v3 :: v_dual_mov_b32 v7, v2
	v_add_nc_u32_e32 v1, 64, v1
	v_mov_b32_e32 v13, 0
	s_delay_alu instid0(VALU_DEP_2) | instskip(NEXT) | instid1(VALU_DEP_1)
	v_max_i32_e32 v1, v1, v10
	v_add3_u32 v1, v1, s18, v5
	s_delay_alu instid0(VALU_DEP_1) | instskip(NEXT) | instid1(VALU_DEP_1)
	v_sub_nc_u32_e32 v1, v1, v9
	v_lshrrev_b32_e32 v5, 6, v1
	s_delay_alu instid0(VALU_DEP_1) | instskip(NEXT) | instid1(VALU_DEP_1)
	v_add_nc_u32_e32 v5, 1, v5
	v_dual_mov_b32 v5, v0 :: v_dual_and_b32 v6, 3, v5
	s_delay_alu instid0(VALU_DEP_1)
	v_cmpx_ne_u32_e32 0, v6
	s_cbranch_execz .LBB94_19
; %bb.16:
	v_dual_mov_b32 v11, 0 :: v_dual_lshlrev_b32 v16, 5, v6
	v_dual_mov_b32 v8, v3 :: v_dual_mov_b32 v7, v2
	v_dual_mov_b32 v5, v0 :: v_dual_mov_b32 v14, 0
	;; [unrolled: 1-line block ×3, first 2 shown]
.LBB94_17:                              ; =>This Inner Loop Header: Depth=1
	s_delay_alu instid0(VALU_DEP_2) | instskip(SKIP_1) | instid1(VALU_DEP_2)
	v_ashrrev_i32_e32 v6, 31, v5
	v_subrev_nc_u32_e32 v16, 32, v16
	v_lshlrev_b64 v[17:18], 2, v[5:6]
	v_add_nc_u32_e32 v5, 64, v5
	s_delay_alu instid0(VALU_DEP_2) | instskip(NEXT) | instid1(VALU_DEP_3)
	v_add_co_u32 v17, vcc_lo, s8, v17
	v_add_co_ci_u32_e32 v18, vcc_lo, s9, v18, vcc_lo
	global_load_b32 v6, v[17:18], off
	global_load_b128 v[17:20], v[7:8], off
	s_waitcnt vmcnt(1)
	v_subrev_nc_u32_e32 v6, s18, v6
	s_delay_alu instid0(VALU_DEP_1) | instskip(NEXT) | instid1(VALU_DEP_1)
	v_lshlrev_b32_e32 v21, 2, v6
	v_ashrrev_i32_e32 v22, 31, v21
	s_delay_alu instid0(VALU_DEP_1) | instskip(SKIP_1) | instid1(VALU_DEP_1)
	v_lshlrev_b64 v[21:22], 1, v[21:22]
	s_waitcnt lgkmcnt(0)
	v_add_co_u32 v25, vcc_lo, s4, v21
	s_delay_alu instid0(VALU_DEP_2)
	v_add_co_ci_u32_e32 v26, vcc_lo, s5, v22, vcc_lo
	global_load_b128 v[21:24], v[7:8], off offset:16
	global_load_b64 v[25:26], v[25:26], off
	v_add_co_u32 v7, vcc_lo, 0x800, v7
	v_add_co_ci_u32_e32 v8, vcc_lo, 0, v8, vcc_lo
	v_cmp_eq_u32_e32 vcc_lo, 0, v16
	s_or_b32 s10, vcc_lo, s10
	s_waitcnt vmcnt(0)
	v_fma_mix_f32 v6, v17, v25, v12 op_sel_hi:[1,1,0]
	v_fma_mix_f32 v12, v19, v25, v14 op_sel_hi:[1,1,0]
	;; [unrolled: 1-line block ×4, first 2 shown]
	s_delay_alu instid0(VALU_DEP_4) | instskip(NEXT) | instid1(VALU_DEP_4)
	v_fma_mix_f32 v6, v17, v25, v6 op_sel:[1,1,0] op_sel_hi:[1,1,0]
	v_fma_mix_f32 v12, v19, v25, v12 op_sel:[1,1,0] op_sel_hi:[1,1,0]
	s_delay_alu instid0(VALU_DEP_4) | instskip(NEXT) | instid1(VALU_DEP_4)
	v_fma_mix_f32 v13, v21, v25, v13 op_sel:[1,1,0] op_sel_hi:[1,1,0]
	v_fma_mix_f32 v11, v23, v25, v11 op_sel:[1,1,0] op_sel_hi:[1,1,0]
	s_delay_alu instid0(VALU_DEP_4) | instskip(NEXT) | instid1(VALU_DEP_4)
	v_fma_mix_f32 v6, v18, v26, v6 op_sel_hi:[1,1,0]
	v_fma_mix_f32 v14, v20, v26, v12 op_sel_hi:[1,1,0]
	s_delay_alu instid0(VALU_DEP_4) | instskip(NEXT) | instid1(VALU_DEP_4)
	v_fma_mix_f32 v13, v22, v26, v13 op_sel_hi:[1,1,0]
	v_fma_mix_f32 v11, v24, v26, v11 op_sel_hi:[1,1,0]
	s_delay_alu instid0(VALU_DEP_4) | instskip(NEXT) | instid1(VALU_DEP_4)
	v_fma_mix_f32 v12, v18, v26, v6 op_sel:[1,1,0] op_sel_hi:[1,1,0]
	v_fma_mix_f32 v14, v20, v26, v14 op_sel:[1,1,0] op_sel_hi:[1,1,0]
	s_delay_alu instid0(VALU_DEP_4) | instskip(NEXT) | instid1(VALU_DEP_4)
	v_fma_mix_f32 v13, v22, v26, v13 op_sel:[1,1,0] op_sel_hi:[1,1,0]
	v_fma_mix_f32 v11, v24, v26, v11 op_sel:[1,1,0] op_sel_hi:[1,1,0]
	s_and_not1_b32 exec_lo, exec_lo, s10
	s_cbranch_execnz .LBB94_17
; %bb.18:
	s_or_b32 exec_lo, exec_lo, s10
.LBB94_19:
	s_delay_alu instid0(SALU_CYCLE_1) | instskip(NEXT) | instid1(SALU_CYCLE_1)
	s_or_b32 exec_lo, exec_lo, s7
	s_mov_b32 s7, exec_lo
	v_cmpx_lt_u32_e32 0xbf, v1
	s_cbranch_execz .LBB94_23
; %bb.20:
	s_mov_b32 s10, 0
.LBB94_21:                              ; =>This Inner Loop Header: Depth=1
	v_ashrrev_i32_e32 v6, 31, v5
	s_delay_alu instid0(VALU_DEP_1) | instskip(SKIP_1) | instid1(VALU_DEP_2)
	v_lshlrev_b64 v[16:17], 2, v[5:6]
	v_add_nc_u32_e32 v5, 0x100, v5
	v_add_co_u32 v16, vcc_lo, s8, v16
	s_delay_alu instid0(VALU_DEP_3)
	v_add_co_ci_u32_e32 v17, vcc_lo, s9, v17, vcc_lo
	v_add_co_u32 v44, vcc_lo, 0x1000, v7
	v_add_co_ci_u32_e32 v45, vcc_lo, 0, v8, vcc_lo
	s_clause 0x3
	global_load_b32 v1, v[16:17], off
	global_load_b32 v6, v[16:17], off offset:256
	global_load_b32 v48, v[16:17], off offset:512
	;; [unrolled: 1-line block ×3, first 2 shown]
	s_clause 0x7
	global_load_b128 v[16:19], v[7:8], off
	global_load_b128 v[20:23], v[7:8], off offset:16
	global_load_b128 v[24:27], v[7:8], off offset:2048
	;; [unrolled: 1-line block ×3, first 2 shown]
	global_load_b128 v[32:35], v[44:45], off
	global_load_b128 v[36:39], v[44:45], off offset:16
	global_load_b128 v[40:43], v[44:45], off offset:2048
	;; [unrolled: 1-line block ×3, first 2 shown]
	s_waitcnt vmcnt(11)
	v_subrev_nc_u32_e32 v1, s18, v1
	s_waitcnt vmcnt(10)
	v_subrev_nc_u32_e32 v6, s18, v6
	s_waitcnt vmcnt(9)
	v_subrev_nc_u32_e32 v51, s18, v48
	s_waitcnt vmcnt(8)
	v_subrev_nc_u32_e32 v49, s18, v49
	v_lshlrev_b32_e32 v48, 2, v1
	v_lshlrev_b32_e32 v50, 2, v6
	;; [unrolled: 1-line block ×3, first 2 shown]
	s_delay_alu instid0(VALU_DEP_4) | instskip(NEXT) | instid1(VALU_DEP_4)
	v_lshlrev_b32_e32 v54, 2, v49
	v_ashrrev_i32_e32 v49, 31, v48
	s_delay_alu instid0(VALU_DEP_4) | instskip(NEXT) | instid1(VALU_DEP_4)
	v_ashrrev_i32_e32 v51, 31, v50
	v_ashrrev_i32_e32 v53, 31, v52
	s_delay_alu instid0(VALU_DEP_4) | instskip(NEXT) | instid1(VALU_DEP_4)
	v_ashrrev_i32_e32 v55, 31, v54
	v_lshlrev_b64 v[48:49], 1, v[48:49]
	s_delay_alu instid0(VALU_DEP_4) | instskip(NEXT) | instid1(VALU_DEP_4)
	v_lshlrev_b64 v[50:51], 1, v[50:51]
	v_lshlrev_b64 v[52:53], 1, v[52:53]
	s_delay_alu instid0(VALU_DEP_4) | instskip(SKIP_1) | instid1(VALU_DEP_4)
	v_lshlrev_b64 v[54:55], 1, v[54:55]
	s_waitcnt lgkmcnt(0)
	v_add_co_u32 v48, vcc_lo, s4, v48
	v_add_co_ci_u32_e32 v49, vcc_lo, s5, v49, vcc_lo
	v_add_co_u32 v50, vcc_lo, s4, v50
	v_add_co_ci_u32_e32 v51, vcc_lo, s5, v51, vcc_lo
	global_load_b64 v[48:49], v[48:49], off
	v_add_co_u32 v52, vcc_lo, s4, v52
	global_load_b64 v[50:51], v[50:51], off
	v_add_co_ci_u32_e32 v53, vcc_lo, s5, v53, vcc_lo
	v_add_co_u32 v54, vcc_lo, s4, v54
	v_add_co_ci_u32_e32 v55, vcc_lo, s5, v55, vcc_lo
	global_load_b64 v[52:53], v[52:53], off
	v_add_co_u32 v7, vcc_lo, 0x2000, v7
	global_load_b64 v[54:55], v[54:55], off
	v_add_co_ci_u32_e32 v8, vcc_lo, 0, v8, vcc_lo
	v_cmp_ge_i32_e32 vcc_lo, v5, v10
	s_or_b32 s10, vcc_lo, s10
	s_waitcnt vmcnt(3)
	v_fma_mix_f32 v1, v16, v48, v12 op_sel_hi:[1,1,0]
	v_fma_mix_f32 v6, v18, v48, v14 op_sel_hi:[1,1,0]
	v_fma_mix_f32 v12, v20, v48, v13 op_sel_hi:[1,1,0]
	v_fma_mix_f32 v11, v22, v48, v11 op_sel_hi:[1,1,0]
	s_delay_alu instid0(VALU_DEP_4) | instskip(NEXT) | instid1(VALU_DEP_4)
	v_fma_mix_f32 v1, v16, v48, v1 op_sel:[1,1,0] op_sel_hi:[1,1,0]
	v_fma_mix_f32 v6, v18, v48, v6 op_sel:[1,1,0] op_sel_hi:[1,1,0]
	s_delay_alu instid0(VALU_DEP_4) | instskip(NEXT) | instid1(VALU_DEP_4)
	v_fma_mix_f32 v12, v20, v48, v12 op_sel:[1,1,0] op_sel_hi:[1,1,0]
	v_fma_mix_f32 v11, v22, v48, v11 op_sel:[1,1,0] op_sel_hi:[1,1,0]
	s_delay_alu instid0(VALU_DEP_4) | instskip(NEXT) | instid1(VALU_DEP_4)
	v_fma_mix_f32 v1, v17, v49, v1 op_sel_hi:[1,1,0]
	v_fma_mix_f32 v6, v19, v49, v6 op_sel_hi:[1,1,0]
	s_delay_alu instid0(VALU_DEP_4) | instskip(NEXT) | instid1(VALU_DEP_4)
	v_fma_mix_f32 v12, v21, v49, v12 op_sel_hi:[1,1,0]
	v_fma_mix_f32 v11, v23, v49, v11 op_sel_hi:[1,1,0]
	s_delay_alu instid0(VALU_DEP_4) | instskip(NEXT) | instid1(VALU_DEP_4)
	v_fma_mix_f32 v1, v17, v49, v1 op_sel:[1,1,0] op_sel_hi:[1,1,0]
	v_fma_mix_f32 v6, v19, v49, v6 op_sel:[1,1,0] op_sel_hi:[1,1,0]
	s_delay_alu instid0(VALU_DEP_4) | instskip(NEXT) | instid1(VALU_DEP_4)
	v_fma_mix_f32 v12, v21, v49, v12 op_sel:[1,1,0] op_sel_hi:[1,1,0]
	v_fma_mix_f32 v11, v23, v49, v11 op_sel:[1,1,0] op_sel_hi:[1,1,0]
	s_waitcnt vmcnt(2)
	v_fma_mix_f32 v1, v24, v50, v1 op_sel_hi:[1,1,0]
	v_fma_mix_f32 v6, v26, v50, v6 op_sel_hi:[1,1,0]
	v_fma_mix_f32 v12, v28, v50, v12 op_sel_hi:[1,1,0]
	v_fma_mix_f32 v11, v30, v50, v11 op_sel_hi:[1,1,0]
	s_delay_alu instid0(VALU_DEP_4) | instskip(NEXT) | instid1(VALU_DEP_4)
	v_fma_mix_f32 v1, v24, v50, v1 op_sel:[1,1,0] op_sel_hi:[1,1,0]
	v_fma_mix_f32 v6, v26, v50, v6 op_sel:[1,1,0] op_sel_hi:[1,1,0]
	s_delay_alu instid0(VALU_DEP_4) | instskip(NEXT) | instid1(VALU_DEP_4)
	v_fma_mix_f32 v12, v28, v50, v12 op_sel:[1,1,0] op_sel_hi:[1,1,0]
	v_fma_mix_f32 v11, v30, v50, v11 op_sel:[1,1,0] op_sel_hi:[1,1,0]
	s_delay_alu instid0(VALU_DEP_4) | instskip(NEXT) | instid1(VALU_DEP_4)
	v_fma_mix_f32 v1, v25, v51, v1 op_sel_hi:[1,1,0]
	v_fma_mix_f32 v6, v27, v51, v6 op_sel_hi:[1,1,0]
	s_delay_alu instid0(VALU_DEP_4) | instskip(NEXT) | instid1(VALU_DEP_4)
	v_fma_mix_f32 v12, v29, v51, v12 op_sel_hi:[1,1,0]
	v_fma_mix_f32 v11, v31, v51, v11 op_sel_hi:[1,1,0]
	s_delay_alu instid0(VALU_DEP_4) | instskip(NEXT) | instid1(VALU_DEP_4)
	v_fma_mix_f32 v1, v25, v51, v1 op_sel:[1,1,0] op_sel_hi:[1,1,0]
	v_fma_mix_f32 v6, v27, v51, v6 op_sel:[1,1,0] op_sel_hi:[1,1,0]
	s_delay_alu instid0(VALU_DEP_4) | instskip(NEXT) | instid1(VALU_DEP_4)
	v_fma_mix_f32 v12, v29, v51, v12 op_sel:[1,1,0] op_sel_hi:[1,1,0]
	v_fma_mix_f32 v11, v31, v51, v11 op_sel:[1,1,0] op_sel_hi:[1,1,0]
	;; [unrolled: 23-line block ×4, first 2 shown]
	s_and_not1_b32 exec_lo, exec_lo, s10
	s_cbranch_execnz .LBB94_21
; %bb.22:
	s_or_b32 exec_lo, exec_lo, s10
.LBB94_23:
	s_delay_alu instid0(SALU_CYCLE_1)
	s_or_b32 exec_lo, exec_lo, s7
.LBB94_24:
	s_delay_alu instid0(SALU_CYCLE_1) | instskip(NEXT) | instid1(SALU_CYCLE_1)
	s_or_b32 exec_lo, exec_lo, s6
	s_and_not1_b32 vcc_lo, exec_lo, s3
	s_cbranch_vccz .LBB94_26
	s_branch .LBB94_37
.LBB94_25:
                                        ; implicit-def: $vgpr11
                                        ; implicit-def: $vgpr13
                                        ; implicit-def: $vgpr14
                                        ; implicit-def: $vgpr12
.LBB94_26:
	v_dual_mov_b32 v11, 0 :: v_dual_mov_b32 v14, 0
	v_dual_mov_b32 v13, 0 :: v_dual_mov_b32 v12, 0
	s_and_saveexec_b32 s3, s2
	s_cbranch_execz .LBB94_36
; %bb.27:
	v_dual_mov_b32 v12, 0 :: v_dual_add_nc_u32 v1, v15, v9
	v_not_b32_e32 v5, v15
	v_mov_b32_e32 v13, 0
	v_mov_b32_e32 v11, 0
	s_delay_alu instid0(VALU_DEP_4) | instskip(SKIP_2) | instid1(VALU_DEP_1)
	v_subrev_nc_u32_e32 v1, s18, v1
	s_mov_b32 s6, 0
	s_mov_b32 s2, exec_lo
	v_dual_mov_b32 v14, 0 :: v_dual_add_nc_u32 v1, 64, v1
	s_delay_alu instid0(VALU_DEP_1) | instskip(NEXT) | instid1(VALU_DEP_1)
	v_max_i32_e32 v1, v1, v10
	v_add3_u32 v1, v1, s18, v5
	s_delay_alu instid0(VALU_DEP_1) | instskip(NEXT) | instid1(VALU_DEP_1)
	v_sub_nc_u32_e32 v5, v1, v9
	v_lshrrev_b32_e32 v1, 6, v5
	s_delay_alu instid0(VALU_DEP_1) | instskip(NEXT) | instid1(VALU_DEP_1)
	v_add_nc_u32_e32 v1, 1, v1
	v_and_b32_e32 v1, 3, v1
	s_delay_alu instid0(VALU_DEP_1)
	v_cmpx_ne_u32_e32 0, v1
	s_cbranch_execz .LBB94_31
; %bb.28:
	v_dual_mov_b32 v11, 0 :: v_dual_lshlrev_b32 v6, 5, v1
	v_dual_mov_b32 v13, 0 :: v_dual_mov_b32 v14, 0
	v_mov_b32_e32 v12, 0
.LBB94_29:                              ; =>This Inner Loop Header: Depth=1
	v_ashrrev_i32_e32 v1, 31, v0
	s_delay_alu instid0(VALU_DEP_4) | instskip(NEXT) | instid1(VALU_DEP_2)
	v_subrev_nc_u32_e32 v6, 32, v6
	v_lshlrev_b64 v[7:8], 2, v[0:1]
	v_add_nc_u32_e32 v0, 64, v0
	s_delay_alu instid0(VALU_DEP_2) | instskip(NEXT) | instid1(VALU_DEP_3)
	v_add_co_u32 v7, vcc_lo, s8, v7
	v_add_co_ci_u32_e32 v8, vcc_lo, s9, v8, vcc_lo
	global_load_b32 v1, v[7:8], off
	s_waitcnt vmcnt(0)
	v_subrev_nc_u32_e32 v1, s18, v1
	s_delay_alu instid0(VALU_DEP_1) | instskip(NEXT) | instid1(VALU_DEP_1)
	v_lshlrev_b32_e32 v7, 2, v1
	v_ashrrev_i32_e32 v8, 31, v7
	s_delay_alu instid0(VALU_DEP_1) | instskip(SKIP_1) | instid1(VALU_DEP_1)
	v_lshlrev_b64 v[7:8], 1, v[7:8]
	s_waitcnt lgkmcnt(0)
	v_add_co_u32 v7, vcc_lo, s4, v7
	s_delay_alu instid0(VALU_DEP_2)
	v_add_co_ci_u32_e32 v8, vcc_lo, s5, v8, vcc_lo
	global_load_b128 v[15:18], v[2:3], off
	global_load_b64 v[7:8], v[7:8], off
	global_load_b128 v[19:22], v[2:3], off offset:16
	v_add_co_u32 v2, vcc_lo, 0x800, v2
	v_add_co_ci_u32_e32 v3, vcc_lo, 0, v3, vcc_lo
	v_cmp_eq_u32_e32 vcc_lo, 0, v6
	s_or_b32 s6, vcc_lo, s6
	s_waitcnt vmcnt(1)
	v_fma_mix_f32 v1, v15, v7, v12 op_sel_hi:[1,1,0]
	v_fma_mix_f32 v12, v15, v7, v14 op_sel:[1,0,0] op_sel_hi:[1,1,0]
	v_fma_mix_f32 v13, v16, v7, v13 op_sel_hi:[1,1,0]
	v_fma_mix_f32 v11, v16, v7, v11 op_sel:[1,0,0] op_sel_hi:[1,1,0]
	s_delay_alu instid0(VALU_DEP_4) | instskip(NEXT) | instid1(VALU_DEP_4)
	v_fma_mix_f32 v1, v17, v7, v1 op_sel:[0,1,0] op_sel_hi:[1,1,0]
	v_fma_mix_f32 v12, v17, v7, v12 op_sel:[1,1,0] op_sel_hi:[1,1,0]
	s_delay_alu instid0(VALU_DEP_4) | instskip(NEXT) | instid1(VALU_DEP_4)
	v_fma_mix_f32 v13, v18, v7, v13 op_sel:[0,1,0] op_sel_hi:[1,1,0]
	v_fma_mix_f32 v7, v18, v7, v11 op_sel:[1,1,0] op_sel_hi:[1,1,0]
	s_waitcnt vmcnt(0)
	v_fma_mix_f32 v1, v19, v8, v1 op_sel_hi:[1,1,0]
	v_fma_mix_f32 v11, v19, v8, v12 op_sel:[1,0,0] op_sel_hi:[1,1,0]
	v_fma_mix_f32 v13, v20, v8, v13 op_sel_hi:[1,1,0]
	v_fma_mix_f32 v7, v20, v8, v7 op_sel:[1,0,0] op_sel_hi:[1,1,0]
	s_delay_alu instid0(VALU_DEP_4) | instskip(NEXT) | instid1(VALU_DEP_4)
	v_fma_mix_f32 v12, v21, v8, v1 op_sel:[0,1,0] op_sel_hi:[1,1,0]
	v_fma_mix_f32 v14, v21, v8, v11 op_sel:[1,1,0] op_sel_hi:[1,1,0]
	s_delay_alu instid0(VALU_DEP_4) | instskip(NEXT) | instid1(VALU_DEP_4)
	v_fma_mix_f32 v13, v22, v8, v13 op_sel:[0,1,0] op_sel_hi:[1,1,0]
	v_fma_mix_f32 v11, v22, v8, v7 op_sel:[1,1,0] op_sel_hi:[1,1,0]
	s_and_not1_b32 exec_lo, exec_lo, s6
	s_cbranch_execnz .LBB94_29
; %bb.30:
	s_or_b32 exec_lo, exec_lo, s6
.LBB94_31:
	s_delay_alu instid0(SALU_CYCLE_1) | instskip(NEXT) | instid1(SALU_CYCLE_1)
	s_or_b32 exec_lo, exec_lo, s2
	s_mov_b32 s2, exec_lo
	v_cmpx_lt_u32_e32 0xbf, v5
	s_cbranch_execz .LBB94_35
; %bb.32:
	s_mov_b32 s6, 0
.LBB94_33:                              ; =>This Inner Loop Header: Depth=1
	v_ashrrev_i32_e32 v1, 31, v0
	s_delay_alu instid0(VALU_DEP_1) | instskip(SKIP_1) | instid1(VALU_DEP_2)
	v_lshlrev_b64 v[5:6], 2, v[0:1]
	v_add_nc_u32_e32 v0, 0x100, v0
	v_add_co_u32 v5, vcc_lo, s8, v5
	s_delay_alu instid0(VALU_DEP_3)
	v_add_co_ci_u32_e32 v6, vcc_lo, s9, v6, vcc_lo
	v_add_co_u32 v39, vcc_lo, 0x1000, v2
	v_add_co_ci_u32_e32 v40, vcc_lo, 0, v3, vcc_lo
	s_clause 0x3
	global_load_b32 v1, v[5:6], off
	global_load_b32 v41, v[5:6], off offset:256
	global_load_b32 v42, v[5:6], off offset:512
	;; [unrolled: 1-line block ×3, first 2 shown]
	s_clause 0x6
	global_load_b128 v[5:8], v[2:3], off
	global_load_b128 v[15:18], v[2:3], off offset:16
	global_load_b128 v[19:22], v[2:3], off offset:2048
	;; [unrolled: 1-line block ×3, first 2 shown]
	global_load_b128 v[27:30], v[39:40], off
	global_load_b128 v[31:34], v[39:40], off offset:16
	global_load_b128 v[35:38], v[39:40], off offset:2048
	s_waitcnt vmcnt(10)
	v_subrev_nc_u32_e32 v1, s18, v1
	s_waitcnt vmcnt(9)
	v_subrev_nc_u32_e32 v44, s18, v41
	;; [unrolled: 2-line block ×4, first 2 shown]
	v_lshlrev_b32_e32 v41, 2, v1
	v_lshlrev_b32_e32 v43, 2, v44
	;; [unrolled: 1-line block ×3, first 2 shown]
	s_delay_alu instid0(VALU_DEP_4) | instskip(NEXT) | instid1(VALU_DEP_4)
	v_lshlrev_b32_e32 v47, 2, v46
	v_ashrrev_i32_e32 v42, 31, v41
	s_delay_alu instid0(VALU_DEP_4) | instskip(NEXT) | instid1(VALU_DEP_4)
	v_ashrrev_i32_e32 v44, 31, v43
	v_ashrrev_i32_e32 v46, 31, v45
	s_delay_alu instid0(VALU_DEP_4) | instskip(NEXT) | instid1(VALU_DEP_4)
	v_ashrrev_i32_e32 v48, 31, v47
	v_lshlrev_b64 v[41:42], 1, v[41:42]
	s_waitcnt lgkmcnt(0)
	s_delay_alu instid0(VALU_DEP_1) | instskip(NEXT) | instid1(VALU_DEP_2)
	v_add_co_u32 v41, vcc_lo, s4, v41
	v_add_co_ci_u32_e32 v42, vcc_lo, s5, v42, vcc_lo
	global_load_b64 v[49:50], v[41:42], off
	v_lshlrev_b64 v[41:42], 1, v[43:44]
	s_delay_alu instid0(VALU_DEP_1) | instskip(NEXT) | instid1(VALU_DEP_2)
	v_add_co_u32 v41, vcc_lo, s4, v41
	v_add_co_ci_u32_e32 v42, vcc_lo, s5, v42, vcc_lo
	global_load_b64 v[43:44], v[41:42], off
	v_lshlrev_b64 v[41:42], 1, v[45:46]
	;; [unrolled: 5-line block ×3, first 2 shown]
	s_delay_alu instid0(VALU_DEP_1) | instskip(NEXT) | instid1(VALU_DEP_2)
	v_add_co_u32 v41, vcc_lo, s4, v41
	v_add_co_ci_u32_e32 v42, vcc_lo, s5, v42, vcc_lo
	global_load_b64 v[47:48], v[41:42], off
	global_load_b128 v[39:42], v[39:40], off offset:2064
	v_add_co_u32 v2, vcc_lo, 0x2000, v2
	v_add_co_ci_u32_e32 v3, vcc_lo, 0, v3, vcc_lo
	v_cmp_ge_i32_e32 vcc_lo, v0, v10
	s_or_b32 s6, vcc_lo, s6
	s_waitcnt vmcnt(4)
	v_fma_mix_f32 v1, v5, v49, v12 op_sel_hi:[1,1,0]
	v_fma_mix_f32 v5, v5, v49, v14 op_sel:[1,0,0] op_sel_hi:[1,1,0]
	v_fma_mix_f32 v12, v6, v49, v13 op_sel_hi:[1,1,0]
	v_fma_mix_f32 v6, v6, v49, v11 op_sel:[1,0,0] op_sel_hi:[1,1,0]
	s_delay_alu instid0(VALU_DEP_4) | instskip(NEXT) | instid1(VALU_DEP_4)
	v_fma_mix_f32 v1, v7, v49, v1 op_sel:[0,1,0] op_sel_hi:[1,1,0]
	v_fma_mix_f32 v5, v7, v49, v5 op_sel:[1,1,0] op_sel_hi:[1,1,0]
	s_delay_alu instid0(VALU_DEP_4) | instskip(NEXT) | instid1(VALU_DEP_4)
	v_fma_mix_f32 v7, v8, v49, v12 op_sel:[0,1,0] op_sel_hi:[1,1,0]
	v_fma_mix_f32 v6, v8, v49, v6 op_sel:[1,1,0] op_sel_hi:[1,1,0]
	s_delay_alu instid0(VALU_DEP_4) | instskip(NEXT) | instid1(VALU_DEP_4)
	v_fma_mix_f32 v1, v15, v50, v1 op_sel_hi:[1,1,0]
	v_fma_mix_f32 v5, v15, v50, v5 op_sel:[1,0,0] op_sel_hi:[1,1,0]
	s_delay_alu instid0(VALU_DEP_4) | instskip(NEXT) | instid1(VALU_DEP_4)
	v_fma_mix_f32 v7, v16, v50, v7 op_sel_hi:[1,1,0]
	v_fma_mix_f32 v6, v16, v50, v6 op_sel:[1,0,0] op_sel_hi:[1,1,0]
	s_delay_alu instid0(VALU_DEP_4) | instskip(NEXT) | instid1(VALU_DEP_4)
	v_fma_mix_f32 v1, v17, v50, v1 op_sel:[0,1,0] op_sel_hi:[1,1,0]
	v_fma_mix_f32 v5, v17, v50, v5 op_sel:[1,1,0] op_sel_hi:[1,1,0]
	s_delay_alu instid0(VALU_DEP_4) | instskip(NEXT) | instid1(VALU_DEP_4)
	v_fma_mix_f32 v7, v18, v50, v7 op_sel:[0,1,0] op_sel_hi:[1,1,0]
	v_fma_mix_f32 v6, v18, v50, v6 op_sel:[1,1,0] op_sel_hi:[1,1,0]
	s_waitcnt vmcnt(3)
	v_fma_mix_f32 v1, v19, v43, v1 op_sel_hi:[1,1,0]
	v_fma_mix_f32 v5, v19, v43, v5 op_sel:[1,0,0] op_sel_hi:[1,1,0]
	v_fma_mix_f32 v7, v20, v43, v7 op_sel_hi:[1,1,0]
	v_fma_mix_f32 v6, v20, v43, v6 op_sel:[1,0,0] op_sel_hi:[1,1,0]
	s_delay_alu instid0(VALU_DEP_4) | instskip(NEXT) | instid1(VALU_DEP_4)
	v_fma_mix_f32 v1, v21, v43, v1 op_sel:[0,1,0] op_sel_hi:[1,1,0]
	v_fma_mix_f32 v5, v21, v43, v5 op_sel:[1,1,0] op_sel_hi:[1,1,0]
	s_delay_alu instid0(VALU_DEP_4) | instskip(NEXT) | instid1(VALU_DEP_4)
	v_fma_mix_f32 v7, v22, v43, v7 op_sel:[0,1,0] op_sel_hi:[1,1,0]
	v_fma_mix_f32 v6, v22, v43, v6 op_sel:[1,1,0] op_sel_hi:[1,1,0]
	s_delay_alu instid0(VALU_DEP_4) | instskip(NEXT) | instid1(VALU_DEP_4)
	v_fma_mix_f32 v1, v23, v44, v1 op_sel_hi:[1,1,0]
	v_fma_mix_f32 v5, v23, v44, v5 op_sel:[1,0,0] op_sel_hi:[1,1,0]
	s_delay_alu instid0(VALU_DEP_4) | instskip(NEXT) | instid1(VALU_DEP_4)
	v_fma_mix_f32 v7, v24, v44, v7 op_sel_hi:[1,1,0]
	v_fma_mix_f32 v6, v24, v44, v6 op_sel:[1,0,0] op_sel_hi:[1,1,0]
	s_delay_alu instid0(VALU_DEP_4) | instskip(NEXT) | instid1(VALU_DEP_4)
	v_fma_mix_f32 v1, v25, v44, v1 op_sel:[0,1,0] op_sel_hi:[1,1,0]
	v_fma_mix_f32 v5, v25, v44, v5 op_sel:[1,1,0] op_sel_hi:[1,1,0]
	s_delay_alu instid0(VALU_DEP_4) | instskip(NEXT) | instid1(VALU_DEP_4)
	v_fma_mix_f32 v7, v26, v44, v7 op_sel:[0,1,0] op_sel_hi:[1,1,0]
	v_fma_mix_f32 v6, v26, v44, v6 op_sel:[1,1,0] op_sel_hi:[1,1,0]
	;; [unrolled: 23-line block ×3, first 2 shown]
	s_waitcnt vmcnt(1)
	v_fma_mix_f32 v1, v35, v47, v1 op_sel_hi:[1,1,0]
	v_fma_mix_f32 v5, v35, v47, v5 op_sel:[1,0,0] op_sel_hi:[1,1,0]
	v_fma_mix_f32 v7, v36, v47, v7 op_sel_hi:[1,1,0]
	v_fma_mix_f32 v6, v36, v47, v6 op_sel:[1,0,0] op_sel_hi:[1,1,0]
	s_delay_alu instid0(VALU_DEP_4) | instskip(NEXT) | instid1(VALU_DEP_4)
	v_fma_mix_f32 v1, v37, v47, v1 op_sel:[0,1,0] op_sel_hi:[1,1,0]
	v_fma_mix_f32 v5, v37, v47, v5 op_sel:[1,1,0] op_sel_hi:[1,1,0]
	s_delay_alu instid0(VALU_DEP_4) | instskip(NEXT) | instid1(VALU_DEP_4)
	v_fma_mix_f32 v7, v38, v47, v7 op_sel:[0,1,0] op_sel_hi:[1,1,0]
	v_fma_mix_f32 v6, v38, v47, v6 op_sel:[1,1,0] op_sel_hi:[1,1,0]
	s_waitcnt vmcnt(0)
	v_fma_mix_f32 v1, v39, v48, v1 op_sel_hi:[1,1,0]
	v_fma_mix_f32 v5, v39, v48, v5 op_sel:[1,0,0] op_sel_hi:[1,1,0]
	v_fma_mix_f32 v7, v40, v48, v7 op_sel_hi:[1,1,0]
	v_fma_mix_f32 v6, v40, v48, v6 op_sel:[1,0,0] op_sel_hi:[1,1,0]
	s_delay_alu instid0(VALU_DEP_4) | instskip(NEXT) | instid1(VALU_DEP_4)
	v_fma_mix_f32 v12, v41, v48, v1 op_sel:[0,1,0] op_sel_hi:[1,1,0]
	v_fma_mix_f32 v14, v41, v48, v5 op_sel:[1,1,0] op_sel_hi:[1,1,0]
	s_delay_alu instid0(VALU_DEP_4) | instskip(NEXT) | instid1(VALU_DEP_4)
	v_fma_mix_f32 v13, v42, v48, v7 op_sel:[0,1,0] op_sel_hi:[1,1,0]
	v_fma_mix_f32 v11, v42, v48, v6 op_sel:[1,1,0] op_sel_hi:[1,1,0]
	s_and_not1_b32 exec_lo, exec_lo, s6
	s_cbranch_execnz .LBB94_33
; %bb.34:
	s_or_b32 exec_lo, exec_lo, s6
.LBB94_35:
	s_delay_alu instid0(SALU_CYCLE_1)
	s_or_b32 exec_lo, exec_lo, s2
.LBB94_36:
	s_delay_alu instid0(SALU_CYCLE_1)
	s_or_b32 exec_lo, exec_lo, s3
.LBB94_37:
	v_mbcnt_lo_u32_b32 v0, -1, 0
	s_mov_b32 s2, -1
	s_delay_alu instid0(VALU_DEP_1) | instskip(SKIP_1) | instid1(VALU_DEP_2)
	v_or_b32_e32 v1, 32, v0
	v_xor_b32_e32 v6, 16, v0
	v_cmp_gt_i32_e32 vcc_lo, 32, v1
	v_cndmask_b32_e32 v1, v0, v1, vcc_lo
	s_delay_alu instid0(VALU_DEP_3) | instskip(SKIP_1) | instid1(VALU_DEP_1)
	v_cmp_gt_i32_e32 vcc_lo, 32, v6
	v_cndmask_b32_e32 v6, v0, v6, vcc_lo
	v_lshlrev_b32_e32 v6, 2, v6
	s_delay_alu instid0(VALU_DEP_4)
	v_lshlrev_b32_e32 v1, 2, v1
	ds_bpermute_b32 v2, v1, v12
	s_waitcnt lgkmcnt(0)
	v_add_f32_e32 v2, v12, v2
	ds_bpermute_b32 v3, v1, v14
	ds_bpermute_b32 v5, v1, v13
	;; [unrolled: 1-line block ×4, first 2 shown]
	s_waitcnt lgkmcnt(3)
	v_add_f32_e32 v3, v14, v3
	s_waitcnt lgkmcnt(0)
	v_dual_add_f32 v5, v13, v5 :: v_dual_add_f32 v2, v2, v7
	v_add_f32_e32 v1, v11, v1
	ds_bpermute_b32 v8, v6, v3
	ds_bpermute_b32 v10, v6, v5
	v_xor_b32_e32 v11, 8, v0
	ds_bpermute_b32 v6, v6, v1
	v_cmp_gt_i32_e32 vcc_lo, 32, v11
	v_cndmask_b32_e32 v11, v0, v11, vcc_lo
	s_delay_alu instid0(VALU_DEP_1)
	v_lshlrev_b32_e32 v11, 2, v11
	s_waitcnt lgkmcnt(2)
	v_add_f32_e32 v3, v3, v8
	s_waitcnt lgkmcnt(1)
	v_add_f32_e32 v5, v5, v10
	;; [unrolled: 2-line block ×3, first 2 shown]
	ds_bpermute_b32 v6, v11, v2
	ds_bpermute_b32 v7, v11, v3
	;; [unrolled: 1-line block ×4, first 2 shown]
	v_xor_b32_e32 v11, 4, v0
	s_delay_alu instid0(VALU_DEP_1) | instskip(SKIP_2) | instid1(VALU_DEP_1)
	v_cmp_gt_i32_e32 vcc_lo, 32, v11
	v_cndmask_b32_e32 v11, v0, v11, vcc_lo
	s_waitcnt lgkmcnt(3)
	v_dual_add_f32 v2, v2, v6 :: v_dual_lshlrev_b32 v11, 2, v11
	s_waitcnt lgkmcnt(2)
	v_add_f32_e32 v3, v3, v7
	s_waitcnt lgkmcnt(1)
	v_add_f32_e32 v5, v5, v8
	;; [unrolled: 2-line block ×3, first 2 shown]
	ds_bpermute_b32 v6, v11, v2
	ds_bpermute_b32 v7, v11, v3
	;; [unrolled: 1-line block ×4, first 2 shown]
	v_xor_b32_e32 v11, 2, v0
	s_delay_alu instid0(VALU_DEP_1) | instskip(SKIP_2) | instid1(VALU_DEP_1)
	v_cmp_gt_i32_e32 vcc_lo, 32, v11
	v_cndmask_b32_e32 v11, v0, v11, vcc_lo
	s_waitcnt lgkmcnt(3)
	v_dual_add_f32 v2, v2, v6 :: v_dual_lshlrev_b32 v11, 2, v11
	s_waitcnt lgkmcnt(2)
	v_add_f32_e32 v3, v3, v7
	s_waitcnt lgkmcnt(1)
	v_add_f32_e32 v5, v5, v8
	;; [unrolled: 2-line block ×3, first 2 shown]
	ds_bpermute_b32 v1, v11, v2
	ds_bpermute_b32 v7, v11, v3
	;; [unrolled: 1-line block ×4, first 2 shown]
	v_xor_b32_e32 v11, 1, v0
	s_delay_alu instid0(VALU_DEP_1) | instskip(SKIP_3) | instid1(VALU_DEP_2)
	v_cmp_gt_i32_e32 vcc_lo, 32, v11
	v_cndmask_b32_e32 v0, v0, v11, vcc_lo
	v_cmp_eq_u32_e32 vcc_lo, 63, v9
	s_waitcnt lgkmcnt(3)
	v_dual_add_f32 v0, v2, v1 :: v_dual_lshlrev_b32 v11, 2, v0
	s_waitcnt lgkmcnt(1)
	v_dual_add_f32 v1, v3, v7 :: v_dual_add_f32 v2, v5, v8
	s_waitcnt lgkmcnt(0)
	v_add_f32_e32 v3, v6, v10
	ds_bpermute_b32 v5, v11, v0
	ds_bpermute_b32 v6, v11, v1
	;; [unrolled: 1-line block ×4, first 2 shown]
	s_and_b32 exec_lo, exec_lo, vcc_lo
	s_cbranch_execz .LBB94_10
; %bb.38:
	s_load_b64 s[0:1], s[0:1], 0x50
	s_waitcnt lgkmcnt(0)
	v_dual_add_f32 v0, v0, v5 :: v_dual_add_f32 v1, v1, v6
	v_dual_add_f32 v2, v2, v7 :: v_dual_add_f32 v3, v3, v8
	v_cmp_eq_f32_e64 s3, s12, 0
	s_delay_alu instid0(VALU_DEP_3) | instskip(NEXT) | instid1(VALU_DEP_3)
	v_dual_mul_f32 v0, s16, v0 :: v_dual_mul_f32 v1, s16, v1
	v_dual_mul_f32 v2, s16, v2 :: v_dual_mul_f32 v3, s16, v3
	v_lshlrev_b32_e32 v4, 2, v4
	s_delay_alu instid0(VALU_DEP_4)
	s_and_b32 vcc_lo, exec_lo, s3
	s_cbranch_vccz .LBB94_40
; %bb.39:
	s_delay_alu instid0(VALU_DEP_1) | instskip(SKIP_1) | instid1(VALU_DEP_1)
	v_ashrrev_i32_e32 v5, 31, v4
	s_mov_b32 s2, 0
	v_lshlrev_b64 v[5:6], 2, v[4:5]
	s_delay_alu instid0(VALU_DEP_1) | instskip(NEXT) | instid1(VALU_DEP_2)
	v_add_co_u32 v5, vcc_lo, s0, v5
	v_add_co_ci_u32_e32 v6, vcc_lo, s1, v6, vcc_lo
	global_store_b128 v[5:6], v[0:3], off
.LBB94_40:
	s_and_not1_b32 vcc_lo, exec_lo, s2
	s_cbranch_vccnz .LBB94_10
; %bb.41:
	v_ashrrev_i32_e32 v5, 31, v4
	s_delay_alu instid0(VALU_DEP_1) | instskip(NEXT) | instid1(VALU_DEP_1)
	v_lshlrev_b64 v[4:5], 2, v[4:5]
	v_add_co_u32 v8, vcc_lo, s0, v4
	s_delay_alu instid0(VALU_DEP_2)
	v_add_co_ci_u32_e32 v9, vcc_lo, s1, v5, vcc_lo
	global_load_b128 v[4:7], v[8:9], off
	s_waitcnt vmcnt(0)
	v_dual_fmac_f32 v0, s12, v4 :: v_dual_fmac_f32 v1, s12, v5
	v_dual_fmac_f32 v2, s12, v6 :: v_dual_fmac_f32 v3, s12, v7
	global_store_b128 v[8:9], v[0:3], off
	s_nop 0
	s_sendmsg sendmsg(MSG_DEALLOC_VGPRS)
	s_endpgm
	.section	.rodata,"a",@progbits
	.p2align	6, 0x0
	.amdhsa_kernel _ZN9rocsparseL18bsrxmvn_4x4_kernelILj128ELj64EfiiDF16_DF16_fEEvT3_20rocsparse_direction_NS_24const_host_device_scalarIT1_EES1_PKS1_PKT2_SA_S7_PKT4_PKT5_S5_PT6_21rocsparse_index_base_b
		.amdhsa_group_segment_fixed_size 0
		.amdhsa_private_segment_fixed_size 0
		.amdhsa_kernarg_size 96
		.amdhsa_user_sgpr_count 15
		.amdhsa_user_sgpr_dispatch_ptr 0
		.amdhsa_user_sgpr_queue_ptr 0
		.amdhsa_user_sgpr_kernarg_segment_ptr 1
		.amdhsa_user_sgpr_dispatch_id 0
		.amdhsa_user_sgpr_private_segment_size 0
		.amdhsa_wavefront_size32 1
		.amdhsa_uses_dynamic_stack 0
		.amdhsa_enable_private_segment 0
		.amdhsa_system_sgpr_workgroup_id_x 1
		.amdhsa_system_sgpr_workgroup_id_y 0
		.amdhsa_system_sgpr_workgroup_id_z 0
		.amdhsa_system_sgpr_workgroup_info 0
		.amdhsa_system_vgpr_workitem_id 0
		.amdhsa_next_free_vgpr 56
		.amdhsa_next_free_sgpr 20
		.amdhsa_reserve_vcc 1
		.amdhsa_float_round_mode_32 0
		.amdhsa_float_round_mode_16_64 0
		.amdhsa_float_denorm_mode_32 3
		.amdhsa_float_denorm_mode_16_64 3
		.amdhsa_dx10_clamp 1
		.amdhsa_ieee_mode 1
		.amdhsa_fp16_overflow 0
		.amdhsa_workgroup_processor_mode 1
		.amdhsa_memory_ordered 1
		.amdhsa_forward_progress 0
		.amdhsa_shared_vgpr_count 0
		.amdhsa_exception_fp_ieee_invalid_op 0
		.amdhsa_exception_fp_denorm_src 0
		.amdhsa_exception_fp_ieee_div_zero 0
		.amdhsa_exception_fp_ieee_overflow 0
		.amdhsa_exception_fp_ieee_underflow 0
		.amdhsa_exception_fp_ieee_inexact 0
		.amdhsa_exception_int_div_zero 0
	.end_amdhsa_kernel
	.section	.text._ZN9rocsparseL18bsrxmvn_4x4_kernelILj128ELj64EfiiDF16_DF16_fEEvT3_20rocsparse_direction_NS_24const_host_device_scalarIT1_EES1_PKS1_PKT2_SA_S7_PKT4_PKT5_S5_PT6_21rocsparse_index_base_b,"axG",@progbits,_ZN9rocsparseL18bsrxmvn_4x4_kernelILj128ELj64EfiiDF16_DF16_fEEvT3_20rocsparse_direction_NS_24const_host_device_scalarIT1_EES1_PKS1_PKT2_SA_S7_PKT4_PKT5_S5_PT6_21rocsparse_index_base_b,comdat
.Lfunc_end94:
	.size	_ZN9rocsparseL18bsrxmvn_4x4_kernelILj128ELj64EfiiDF16_DF16_fEEvT3_20rocsparse_direction_NS_24const_host_device_scalarIT1_EES1_PKS1_PKT2_SA_S7_PKT4_PKT5_S5_PT6_21rocsparse_index_base_b, .Lfunc_end94-_ZN9rocsparseL18bsrxmvn_4x4_kernelILj128ELj64EfiiDF16_DF16_fEEvT3_20rocsparse_direction_NS_24const_host_device_scalarIT1_EES1_PKS1_PKT2_SA_S7_PKT4_PKT5_S5_PT6_21rocsparse_index_base_b
                                        ; -- End function
	.section	.AMDGPU.csdata,"",@progbits
; Kernel info:
; codeLenInByte = 4292
; NumSgprs: 22
; NumVgprs: 56
; ScratchSize: 0
; MemoryBound: 0
; FloatMode: 240
; IeeeMode: 1
; LDSByteSize: 0 bytes/workgroup (compile time only)
; SGPRBlocks: 2
; VGPRBlocks: 6
; NumSGPRsForWavesPerEU: 22
; NumVGPRsForWavesPerEU: 56
; Occupancy: 16
; WaveLimiterHint : 1
; COMPUTE_PGM_RSRC2:SCRATCH_EN: 0
; COMPUTE_PGM_RSRC2:USER_SGPR: 15
; COMPUTE_PGM_RSRC2:TRAP_HANDLER: 0
; COMPUTE_PGM_RSRC2:TGID_X_EN: 1
; COMPUTE_PGM_RSRC2:TGID_Y_EN: 0
; COMPUTE_PGM_RSRC2:TGID_Z_EN: 0
; COMPUTE_PGM_RSRC2:TIDIG_COMP_CNT: 0
	.section	.text._ZN9rocsparseL18bsrxmvn_4x4_kernelILj128ELj4EfliDF16_DF16_fEEvT3_20rocsparse_direction_NS_24const_host_device_scalarIT1_EES1_PKS1_PKT2_SA_S7_PKT4_PKT5_S5_PT6_21rocsparse_index_base_b,"axG",@progbits,_ZN9rocsparseL18bsrxmvn_4x4_kernelILj128ELj4EfliDF16_DF16_fEEvT3_20rocsparse_direction_NS_24const_host_device_scalarIT1_EES1_PKS1_PKT2_SA_S7_PKT4_PKT5_S5_PT6_21rocsparse_index_base_b,comdat
	.globl	_ZN9rocsparseL18bsrxmvn_4x4_kernelILj128ELj4EfliDF16_DF16_fEEvT3_20rocsparse_direction_NS_24const_host_device_scalarIT1_EES1_PKS1_PKT2_SA_S7_PKT4_PKT5_S5_PT6_21rocsparse_index_base_b ; -- Begin function _ZN9rocsparseL18bsrxmvn_4x4_kernelILj128ELj4EfliDF16_DF16_fEEvT3_20rocsparse_direction_NS_24const_host_device_scalarIT1_EES1_PKS1_PKT2_SA_S7_PKT4_PKT5_S5_PT6_21rocsparse_index_base_b
	.p2align	8
	.type	_ZN9rocsparseL18bsrxmvn_4x4_kernelILj128ELj4EfliDF16_DF16_fEEvT3_20rocsparse_direction_NS_24const_host_device_scalarIT1_EES1_PKS1_PKT2_SA_S7_PKT4_PKT5_S5_PT6_21rocsparse_index_base_b,@function
_ZN9rocsparseL18bsrxmvn_4x4_kernelILj128ELj4EfliDF16_DF16_fEEvT3_20rocsparse_direction_NS_24const_host_device_scalarIT1_EES1_PKS1_PKT2_SA_S7_PKT4_PKT5_S5_PT6_21rocsparse_index_base_b: ; @_ZN9rocsparseL18bsrxmvn_4x4_kernelILj128ELj4EfliDF16_DF16_fEEvT3_20rocsparse_direction_NS_24const_host_device_scalarIT1_EES1_PKS1_PKT2_SA_S7_PKT4_PKT5_S5_PT6_21rocsparse_index_base_b
; %bb.0:
	s_clause 0x2
	s_load_b64 s[18:19], s[0:1], 0x58
	s_load_b64 s[16:17], s[0:1], 0x8
	s_load_b64 s[12:13], s[0:1], 0x48
	s_waitcnt lgkmcnt(0)
	s_bitcmp1_b32 s19, 0
	s_cselect_b32 s2, -1, 0
	s_delay_alu instid0(SALU_CYCLE_1)
	s_and_b32 vcc_lo, exec_lo, s2
	s_xor_b32 s2, s2, -1
	s_cbranch_vccnz .LBB95_2
; %bb.1:
	s_load_b32 s16, s[16:17], 0x0
.LBB95_2:
	s_and_not1_b32 vcc_lo, exec_lo, s2
	s_cbranch_vccnz .LBB95_4
; %bb.3:
	s_load_b32 s12, s[12:13], 0x0
.LBB95_4:
	s_waitcnt lgkmcnt(0)
	v_cmp_neq_f32_e64 s2, s16, 0
	v_cmp_neq_f32_e64 s3, s12, 1.0
	s_mov_b32 s6, 0
	s_delay_alu instid0(VALU_DEP_1) | instskip(NEXT) | instid1(SALU_CYCLE_1)
	s_or_b32 s2, s2, s3
	s_and_not1_b32 vcc_lo, exec_lo, s2
	s_cbranch_vccnz .LBB95_10
; %bb.5:
	s_clause 0x1
	s_load_b64 s[4:5], s[0:1], 0x18
	s_load_b64 s[2:3], s[0:1], 0x0
	v_lshrrev_b32_e32 v1, 2, v0
	s_delay_alu instid0(VALU_DEP_1)
	v_lshl_or_b32 v4, s15, 5, v1
	s_waitcnt lgkmcnt(0)
	s_cmp_lg_u64 s[4:5], 0
	s_cbranch_scc0 .LBB95_11
; %bb.6:
	s_load_b32 s6, s[0:1], 0x10
	s_mov_b32 s7, 0
                                        ; implicit-def: $vgpr1
	s_waitcnt lgkmcnt(0)
	v_cmp_gt_i32_e32 vcc_lo, s6, v4
	s_mov_b32 s6, 0
	s_and_saveexec_b32 s8, vcc_lo
	s_delay_alu instid0(SALU_CYCLE_1)
	s_xor_b32 s8, exec_lo, s8
	s_cbranch_execz .LBB95_8
; %bb.7:
	v_ashrrev_i32_e32 v5, 31, v4
	s_mov_b32 s6, exec_lo
	s_delay_alu instid0(VALU_DEP_1) | instskip(NEXT) | instid1(VALU_DEP_1)
	v_lshlrev_b64 v[1:2], 2, v[4:5]
	v_add_co_u32 v1, vcc_lo, s4, v1
	s_delay_alu instid0(VALU_DEP_2)
	v_add_co_ci_u32_e32 v2, vcc_lo, s5, v2, vcc_lo
	global_load_b32 v1, v[1:2], off
	s_waitcnt vmcnt(0)
	v_subrev_nc_u32_e32 v1, s18, v1
.LBB95_8:
	s_or_b32 exec_lo, exec_lo, s8
	s_delay_alu instid0(SALU_CYCLE_1)
	s_and_b32 vcc_lo, exec_lo, s7
	s_cbranch_vccz .LBB95_12
.LBB95_9:
	v_cmp_gt_i32_e32 vcc_lo, s2, v4
	s_and_not1_b32 s2, s6, exec_lo
	s_and_b32 s4, vcc_lo, exec_lo
	s_delay_alu instid0(SALU_CYCLE_1) | instskip(NEXT) | instid1(SALU_CYCLE_1)
	s_or_b32 s6, s2, s4
	s_and_saveexec_b32 s2, s6
	s_cbranch_execnz .LBB95_13
.LBB95_10:
	s_nop 0
	s_sendmsg sendmsg(MSG_DEALLOC_VGPRS)
	s_endpgm
.LBB95_11:
                                        ; implicit-def: $vgpr1
	s_cbranch_execnz .LBB95_9
.LBB95_12:
	s_delay_alu instid0(VALU_DEP_1)
	v_mov_b32_e32 v4, v1
	s_and_saveexec_b32 s2, s6
	s_cbranch_execz .LBB95_10
.LBB95_13:
	s_load_b256 s[4:11], s[0:1], 0x20
	s_delay_alu instid0(VALU_DEP_1) | instskip(SKIP_1) | instid1(VALU_DEP_2)
	v_ashrrev_i32_e32 v5, 31, v4
	v_dual_mov_b32 v20, 0 :: v_dual_and_b32 v19, 3, v0
	v_lshlrev_b64 v[1:2], 3, v[4:5]
	s_waitcnt lgkmcnt(0)
	s_delay_alu instid0(VALU_DEP_1) | instskip(NEXT) | instid1(VALU_DEP_2)
	v_add_co_u32 v5, vcc_lo, s4, v1
	v_add_co_ci_u32_e32 v6, vcc_lo, s5, v2, vcc_lo
	v_add_co_u32 v1, vcc_lo, s6, v1
	v_add_co_ci_u32_e32 v2, vcc_lo, s7, v2, vcc_lo
	s_delay_alu instid0(VALU_DEP_4)
	v_add_co_u32 v3, vcc_lo, v5, 8
	global_load_b64 v[7:8], v[5:6], off
	v_add_co_ci_u32_e32 v9, vcc_lo, 0, v6, vcc_lo
	s_cmp_eq_u64 s[6:7], 0
	s_load_b64 s[4:5], s[0:1], 0x40
	s_cselect_b32 vcc_lo, -1, 0
	s_cmp_eq_u32 s3, 1
	v_dual_cndmask_b32 v2, v2, v9 :: v_dual_cndmask_b32 v1, v1, v3
	s_mov_b32 s3, 0
	global_load_b64 v[2:3], v[1:2], off
	s_waitcnt vmcnt(1)
	v_sub_co_u32 v0, vcc_lo, v7, s18
	v_subrev_co_ci_u32_e32 v1, vcc_lo, 0, v8, vcc_lo
	s_delay_alu instid0(VALU_DEP_2) | instskip(NEXT) | instid1(VALU_DEP_2)
	v_add_co_u32 v0, vcc_lo, v0, v19
	v_add_co_ci_u32_e32 v1, vcc_lo, 0, v1, vcc_lo
	s_delay_alu instid0(VALU_DEP_1) | instskip(SKIP_3) | instid1(VALU_DEP_3)
	v_lshlrev_b64 v[5:6], 5, v[0:1]
	s_waitcnt vmcnt(0)
	v_sub_co_u32 v2, vcc_lo, v2, s18
	v_subrev_co_ci_u32_e32 v3, vcc_lo, 0, v3, vcc_lo
	v_add_co_u32 v5, vcc_lo, s10, v5
	s_delay_alu instid0(VALU_DEP_2)
	v_cmp_lt_i64_e64 s2, v[0:1], v[2:3]
	v_add_co_ci_u32_e32 v6, vcc_lo, s11, v6, vcc_lo
	s_cbranch_scc1 .LBB95_25
; %bb.14:
	v_dual_mov_b32 v22, 0 :: v_dual_mov_b32 v23, 0
	v_mov_b32_e32 v21, 0
	s_delay_alu instid0(VALU_DEP_4)
	s_and_saveexec_b32 s6, s2
	s_cbranch_execz .LBB95_24
; %bb.15:
	v_or_b32_e32 v9, 4, v19
	v_not_b32_e32 v12, v7
	v_not_b32_e32 v11, v8
	v_mov_b32_e32 v23, 0
	v_dual_mov_b32 v21, 0 :: v_dual_mov_b32 v20, 0
	v_sub_co_u32 v9, s7, v9, s18
	s_delay_alu instid0(VALU_DEP_1) | instskip(SKIP_1) | instid1(VALU_DEP_3)
	v_sub_co_ci_u32_e64 v10, null, 0, 0, s7
	v_sub_co_u32 v13, s7, s18, v19
	v_add_co_u32 v9, vcc_lo, v9, v7
	s_delay_alu instid0(VALU_DEP_3) | instskip(SKIP_2) | instid1(VALU_DEP_2)
	v_add_co_ci_u32_e32 v10, vcc_lo, v10, v8, vcc_lo
	v_sub_co_ci_u32_e64 v14, null, 0, 0, s7
	s_mov_b32 s7, exec_lo
	v_cmp_gt_i64_e32 vcc_lo, v[9:10], v[2:3]
	v_mov_b32_e32 v22, 0
	v_dual_cndmask_b32 v10, v3, v10 :: v_dual_cndmask_b32 v9, v2, v9
	v_add_co_u32 v12, vcc_lo, v13, v12
	v_add_co_ci_u32_e32 v11, vcc_lo, v14, v11, vcc_lo
	s_delay_alu instid0(VALU_DEP_2) | instskip(NEXT) | instid1(VALU_DEP_2)
	v_add_co_u32 v13, vcc_lo, v12, v9
	v_add_co_ci_u32_e32 v14, vcc_lo, v11, v10, vcc_lo
	v_mov_b32_e32 v12, v6
	s_delay_alu instid0(VALU_DEP_3) | instskip(SKIP_1) | instid1(VALU_DEP_2)
	v_lshrrev_b32_e32 v9, 2, v13
	v_mov_b32_e32 v11, v5
	v_add_nc_u32_e32 v9, 1, v9
	s_delay_alu instid0(VALU_DEP_1) | instskip(SKIP_1) | instid1(VALU_DEP_2)
	v_dual_mov_b32 v10, v1 :: v_dual_and_b32 v15, 3, v9
	v_mov_b32_e32 v9, v0
	v_cmpx_ne_u32_e32 0, v15
	s_cbranch_execz .LBB95_19
; %bb.16:
	v_lshlrev_b64 v[9:10], 2, v[0:1]
	v_dual_mov_b32 v16, 0 :: v_dual_lshlrev_b32 v15, 3, v15
	v_dual_mov_b32 v12, v6 :: v_dual_mov_b32 v11, v5
	s_mov_b32 s10, 0
	s_delay_alu instid0(VALU_DEP_3) | instskip(NEXT) | instid1(VALU_DEP_4)
	v_add_co_u32 v17, vcc_lo, s8, v9
	v_add_co_ci_u32_e32 v18, vcc_lo, s9, v10, vcc_lo
	v_dual_mov_b32 v10, v1 :: v_dual_mov_b32 v9, v0
	v_mov_b32_e32 v20, v16
	v_mov_b32_e32 v22, v16
	;; [unrolled: 1-line block ×4, first 2 shown]
.LBB95_17:                              ; =>This Inner Loop Header: Depth=1
	global_load_b32 v32, v[17:18], off
	s_clause 0x1
	global_load_b128 v[24:27], v[11:12], off
	global_load_b128 v[28:31], v[11:12], off offset:16
	s_waitcnt vmcnt(2)
	v_subrev_nc_u32_e32 v32, s18, v32
	s_delay_alu instid0(VALU_DEP_1) | instskip(NEXT) | instid1(VALU_DEP_1)
	v_lshlrev_b32_e32 v32, 2, v32
	v_ashrrev_i32_e32 v33, 31, v32
	s_delay_alu instid0(VALU_DEP_1) | instskip(SKIP_1) | instid1(VALU_DEP_1)
	v_lshlrev_b64 v[32:33], 1, v[32:33]
	s_waitcnt lgkmcnt(0)
	v_add_co_u32 v32, vcc_lo, s4, v32
	s_delay_alu instid0(VALU_DEP_2)
	v_add_co_ci_u32_e32 v33, vcc_lo, s5, v33, vcc_lo
	v_add_co_u32 v11, vcc_lo, 0x80, v11
	v_add_co_ci_u32_e32 v12, vcc_lo, 0, v12, vcc_lo
	global_load_b64 v[32:33], v[32:33], off
	v_add_co_u32 v9, vcc_lo, v9, 4
	v_add_co_ci_u32_e32 v10, vcc_lo, 0, v10, vcc_lo
	v_add_co_u32 v17, vcc_lo, v17, 16
	v_add_co_ci_u32_e32 v18, vcc_lo, 0, v18, vcc_lo
	v_add_co_u32 v15, vcc_lo, v15, -8
	v_add_co_ci_u32_e32 v16, vcc_lo, -1, v16, vcc_lo
	s_delay_alu instid0(VALU_DEP_1)
	v_cmp_eq_u64_e32 vcc_lo, 0, v[15:16]
	s_or_b32 s10, vcc_lo, s10
	s_waitcnt vmcnt(0)
	v_fma_mix_f32 v21, v24, v32, v21 op_sel_hi:[1,1,0]
	v_fma_mix_f32 v23, v26, v32, v23 op_sel_hi:[1,1,0]
	;; [unrolled: 1-line block ×4, first 2 shown]
	s_delay_alu instid0(VALU_DEP_4) | instskip(NEXT) | instid1(VALU_DEP_4)
	v_fma_mix_f32 v21, v24, v32, v21 op_sel:[1,1,0] op_sel_hi:[1,1,0]
	v_fma_mix_f32 v23, v26, v32, v23 op_sel:[1,1,0] op_sel_hi:[1,1,0]
	s_delay_alu instid0(VALU_DEP_4) | instskip(NEXT) | instid1(VALU_DEP_4)
	v_fma_mix_f32 v22, v28, v32, v22 op_sel:[1,1,0] op_sel_hi:[1,1,0]
	v_fma_mix_f32 v20, v30, v32, v20 op_sel:[1,1,0] op_sel_hi:[1,1,0]
	s_delay_alu instid0(VALU_DEP_4) | instskip(NEXT) | instid1(VALU_DEP_4)
	v_fma_mix_f32 v21, v25, v33, v21 op_sel_hi:[1,1,0]
	v_fma_mix_f32 v23, v27, v33, v23 op_sel_hi:[1,1,0]
	s_delay_alu instid0(VALU_DEP_4) | instskip(NEXT) | instid1(VALU_DEP_4)
	v_fma_mix_f32 v22, v29, v33, v22 op_sel_hi:[1,1,0]
	v_fma_mix_f32 v20, v31, v33, v20 op_sel_hi:[1,1,0]
	s_delay_alu instid0(VALU_DEP_4) | instskip(NEXT) | instid1(VALU_DEP_4)
	v_fma_mix_f32 v21, v25, v33, v21 op_sel:[1,1,0] op_sel_hi:[1,1,0]
	v_fma_mix_f32 v23, v27, v33, v23 op_sel:[1,1,0] op_sel_hi:[1,1,0]
	s_delay_alu instid0(VALU_DEP_4) | instskip(NEXT) | instid1(VALU_DEP_4)
	v_fma_mix_f32 v22, v29, v33, v22 op_sel:[1,1,0] op_sel_hi:[1,1,0]
	v_fma_mix_f32 v20, v31, v33, v20 op_sel:[1,1,0] op_sel_hi:[1,1,0]
	s_and_not1_b32 exec_lo, exec_lo, s10
	s_cbranch_execnz .LBB95_17
; %bb.18:
	s_or_b32 exec_lo, exec_lo, s10
.LBB95_19:
	s_delay_alu instid0(SALU_CYCLE_1) | instskip(NEXT) | instid1(SALU_CYCLE_1)
	s_or_b32 exec_lo, exec_lo, s7
	s_mov_b32 s7, exec_lo
	v_cmpx_lt_u64_e32 11, v[13:14]
	s_cbranch_execz .LBB95_23
; %bb.20:
	v_lshlrev_b64 v[13:14], 2, v[9:10]
	s_mov_b32 s10, 0
	s_delay_alu instid0(VALU_DEP_1) | instskip(NEXT) | instid1(VALU_DEP_2)
	v_add_co_u32 v13, vcc_lo, v13, s8
	v_add_co_ci_u32_e32 v14, vcc_lo, s9, v14, vcc_lo
	s_delay_alu instid0(VALU_DEP_2) | instskip(NEXT) | instid1(VALU_DEP_2)
	v_add_co_u32 v13, vcc_lo, v13, 32
	v_add_co_ci_u32_e32 v14, vcc_lo, 0, v14, vcc_lo
.LBB95_21:                              ; =>This Inner Loop Header: Depth=1
	s_clause 0x3
	global_load_b32 v52, v[13:14], off offset:-32
	global_load_b32 v53, v[13:14], off offset:-16
	global_load_b32 v54, v[13:14], off
	global_load_b32 v55, v[13:14], off offset:16
	s_clause 0x7
	global_load_b128 v[15:18], v[11:12], off
	global_load_b128 v[24:27], v[11:12], off offset:16
	global_load_b128 v[28:31], v[11:12], off offset:128
	global_load_b128 v[32:35], v[11:12], off offset:144
	global_load_b128 v[36:39], v[11:12], off offset:256
	global_load_b128 v[40:43], v[11:12], off offset:272
	global_load_b128 v[44:47], v[11:12], off offset:384
	global_load_b128 v[48:51], v[11:12], off offset:400
	s_waitcnt vmcnt(11)
	v_subrev_nc_u32_e32 v52, s18, v52
	s_waitcnt vmcnt(10)
	v_subrev_nc_u32_e32 v53, s18, v53
	;; [unrolled: 2-line block ×4, first 2 shown]
	v_lshlrev_b32_e32 v52, 2, v52
	v_lshlrev_b32_e32 v54, 2, v53
	v_lshlrev_b32_e32 v56, 2, v56
	s_delay_alu instid0(VALU_DEP_4) | instskip(NEXT) | instid1(VALU_DEP_4)
	v_lshlrev_b32_e32 v58, 2, v55
	v_ashrrev_i32_e32 v53, 31, v52
	s_delay_alu instid0(VALU_DEP_4) | instskip(NEXT) | instid1(VALU_DEP_4)
	v_ashrrev_i32_e32 v55, 31, v54
	v_ashrrev_i32_e32 v57, 31, v56
	s_delay_alu instid0(VALU_DEP_4) | instskip(NEXT) | instid1(VALU_DEP_4)
	v_ashrrev_i32_e32 v59, 31, v58
	v_lshlrev_b64 v[52:53], 1, v[52:53]
	s_delay_alu instid0(VALU_DEP_4) | instskip(NEXT) | instid1(VALU_DEP_4)
	v_lshlrev_b64 v[54:55], 1, v[54:55]
	v_lshlrev_b64 v[56:57], 1, v[56:57]
	s_delay_alu instid0(VALU_DEP_4) | instskip(SKIP_1) | instid1(VALU_DEP_4)
	v_lshlrev_b64 v[58:59], 1, v[58:59]
	s_waitcnt lgkmcnt(0)
	v_add_co_u32 v52, vcc_lo, s4, v52
	v_add_co_ci_u32_e32 v53, vcc_lo, s5, v53, vcc_lo
	v_add_co_u32 v54, vcc_lo, s4, v54
	v_add_co_ci_u32_e32 v55, vcc_lo, s5, v55, vcc_lo
	global_load_b64 v[52:53], v[52:53], off
	v_add_co_u32 v56, vcc_lo, s4, v56
	global_load_b64 v[54:55], v[54:55], off
	v_add_co_ci_u32_e32 v57, vcc_lo, s5, v57, vcc_lo
	v_add_co_u32 v58, vcc_lo, s4, v58
	v_add_co_ci_u32_e32 v59, vcc_lo, s5, v59, vcc_lo
	global_load_b64 v[56:57], v[56:57], off
	v_add_co_u32 v11, vcc_lo, 0x200, v11
	global_load_b64 v[58:59], v[58:59], off
	v_add_co_ci_u32_e32 v12, vcc_lo, 0, v12, vcc_lo
	v_add_co_u32 v9, vcc_lo, v9, 16
	v_add_co_ci_u32_e32 v10, vcc_lo, 0, v10, vcc_lo
	v_add_co_u32 v13, vcc_lo, v13, 64
	v_add_co_ci_u32_e32 v14, vcc_lo, 0, v14, vcc_lo
	s_delay_alu instid0(VALU_DEP_3)
	v_cmp_ge_i64_e32 vcc_lo, v[9:10], v[2:3]
	s_or_b32 s10, vcc_lo, s10
	s_waitcnt vmcnt(3)
	v_fma_mix_f32 v21, v15, v52, v21 op_sel_hi:[1,1,0]
	v_fma_mix_f32 v23, v17, v52, v23 op_sel_hi:[1,1,0]
	v_fma_mix_f32 v22, v24, v52, v22 op_sel_hi:[1,1,0]
	v_fma_mix_f32 v20, v26, v52, v20 op_sel_hi:[1,1,0]
	s_delay_alu instid0(VALU_DEP_4) | instskip(NEXT) | instid1(VALU_DEP_4)
	v_fma_mix_f32 v15, v15, v52, v21 op_sel:[1,1,0] op_sel_hi:[1,1,0]
	v_fma_mix_f32 v17, v17, v52, v23 op_sel:[1,1,0] op_sel_hi:[1,1,0]
	s_delay_alu instid0(VALU_DEP_4) | instskip(NEXT) | instid1(VALU_DEP_4)
	v_fma_mix_f32 v21, v24, v52, v22 op_sel:[1,1,0] op_sel_hi:[1,1,0]
	v_fma_mix_f32 v20, v26, v52, v20 op_sel:[1,1,0] op_sel_hi:[1,1,0]
	s_delay_alu instid0(VALU_DEP_4) | instskip(NEXT) | instid1(VALU_DEP_4)
	v_fma_mix_f32 v15, v16, v53, v15 op_sel_hi:[1,1,0]
	v_fma_mix_f32 v17, v18, v53, v17 op_sel_hi:[1,1,0]
	s_delay_alu instid0(VALU_DEP_4) | instskip(NEXT) | instid1(VALU_DEP_4)
	v_fma_mix_f32 v21, v25, v53, v21 op_sel_hi:[1,1,0]
	v_fma_mix_f32 v20, v27, v53, v20 op_sel_hi:[1,1,0]
	s_delay_alu instid0(VALU_DEP_4) | instskip(NEXT) | instid1(VALU_DEP_4)
	v_fma_mix_f32 v15, v16, v53, v15 op_sel:[1,1,0] op_sel_hi:[1,1,0]
	v_fma_mix_f32 v16, v18, v53, v17 op_sel:[1,1,0] op_sel_hi:[1,1,0]
	s_delay_alu instid0(VALU_DEP_4) | instskip(NEXT) | instid1(VALU_DEP_4)
	v_fma_mix_f32 v17, v25, v53, v21 op_sel:[1,1,0] op_sel_hi:[1,1,0]
	v_fma_mix_f32 v18, v27, v53, v20 op_sel:[1,1,0] op_sel_hi:[1,1,0]
	s_waitcnt vmcnt(2)
	v_fma_mix_f32 v15, v28, v54, v15 op_sel_hi:[1,1,0]
	v_fma_mix_f32 v16, v30, v54, v16 op_sel_hi:[1,1,0]
	v_fma_mix_f32 v17, v32, v54, v17 op_sel_hi:[1,1,0]
	v_fma_mix_f32 v18, v34, v54, v18 op_sel_hi:[1,1,0]
	s_delay_alu instid0(VALU_DEP_4) | instskip(NEXT) | instid1(VALU_DEP_4)
	v_fma_mix_f32 v15, v28, v54, v15 op_sel:[1,1,0] op_sel_hi:[1,1,0]
	v_fma_mix_f32 v16, v30, v54, v16 op_sel:[1,1,0] op_sel_hi:[1,1,0]
	s_delay_alu instid0(VALU_DEP_4) | instskip(NEXT) | instid1(VALU_DEP_4)
	v_fma_mix_f32 v17, v32, v54, v17 op_sel:[1,1,0] op_sel_hi:[1,1,0]
	v_fma_mix_f32 v18, v34, v54, v18 op_sel:[1,1,0] op_sel_hi:[1,1,0]
	s_delay_alu instid0(VALU_DEP_4) | instskip(NEXT) | instid1(VALU_DEP_4)
	v_fma_mix_f32 v15, v29, v55, v15 op_sel_hi:[1,1,0]
	v_fma_mix_f32 v16, v31, v55, v16 op_sel_hi:[1,1,0]
	s_delay_alu instid0(VALU_DEP_4) | instskip(NEXT) | instid1(VALU_DEP_4)
	v_fma_mix_f32 v17, v33, v55, v17 op_sel_hi:[1,1,0]
	v_fma_mix_f32 v18, v35, v55, v18 op_sel_hi:[1,1,0]
	s_delay_alu instid0(VALU_DEP_4) | instskip(NEXT) | instid1(VALU_DEP_4)
	v_fma_mix_f32 v15, v29, v55, v15 op_sel:[1,1,0] op_sel_hi:[1,1,0]
	v_fma_mix_f32 v16, v31, v55, v16 op_sel:[1,1,0] op_sel_hi:[1,1,0]
	s_delay_alu instid0(VALU_DEP_4) | instskip(NEXT) | instid1(VALU_DEP_4)
	v_fma_mix_f32 v17, v33, v55, v17 op_sel:[1,1,0] op_sel_hi:[1,1,0]
	v_fma_mix_f32 v18, v35, v55, v18 op_sel:[1,1,0] op_sel_hi:[1,1,0]
	;; [unrolled: 23-line block ×4, first 2 shown]
	s_and_not1_b32 exec_lo, exec_lo, s10
	s_cbranch_execnz .LBB95_21
; %bb.22:
	s_or_b32 exec_lo, exec_lo, s10
.LBB95_23:
	s_delay_alu instid0(SALU_CYCLE_1)
	s_or_b32 exec_lo, exec_lo, s7
.LBB95_24:
	s_delay_alu instid0(SALU_CYCLE_1) | instskip(NEXT) | instid1(SALU_CYCLE_1)
	s_or_b32 exec_lo, exec_lo, s6
	s_and_not1_b32 vcc_lo, exec_lo, s3
	s_cbranch_vccz .LBB95_26
	s_branch .LBB95_37
.LBB95_25:
                                        ; implicit-def: $vgpr20
                                        ; implicit-def: $vgpr22
                                        ; implicit-def: $vgpr23
                                        ; implicit-def: $vgpr21
.LBB95_26:
	v_dual_mov_b32 v20, 0 :: v_dual_mov_b32 v23, 0
	v_dual_mov_b32 v22, 0 :: v_dual_mov_b32 v21, 0
	s_delay_alu instid0(VALU_DEP_4)
	s_and_saveexec_b32 s3, s2
	s_cbranch_execz .LBB95_36
; %bb.27:
	v_or_b32_e32 v9, 4, v19
	v_mov_b32_e32 v21, 0
	v_dual_mov_b32 v23, 0 :: v_dual_mov_b32 v22, 0
	v_mov_b32_e32 v20, 0
	s_delay_alu instid0(VALU_DEP_4) | instskip(NEXT) | instid1(VALU_DEP_1)
	v_sub_co_u32 v9, s2, v9, s18
	v_sub_co_ci_u32_e64 v10, null, 0, 0, s2
	v_sub_co_u32 v11, s2, s18, v19
	s_delay_alu instid0(VALU_DEP_3) | instskip(NEXT) | instid1(VALU_DEP_3)
	v_add_co_u32 v9, vcc_lo, v9, v7
	v_add_co_ci_u32_e32 v10, vcc_lo, v10, v8, vcc_lo
	v_not_b32_e32 v7, v7
	v_not_b32_e32 v8, v8
	v_sub_co_ci_u32_e64 v12, null, 0, 0, s2
	s_delay_alu instid0(VALU_DEP_4) | instskip(SKIP_4) | instid1(VALU_DEP_2)
	v_cmp_gt_i64_e32 vcc_lo, v[9:10], v[2:3]
	s_mov_b32 s2, exec_lo
	v_dual_cndmask_b32 v10, v3, v10 :: v_dual_cndmask_b32 v9, v2, v9
	v_add_co_u32 v7, vcc_lo, v11, v7
	v_add_co_ci_u32_e32 v8, vcc_lo, v12, v8, vcc_lo
	v_add_co_u32 v7, vcc_lo, v7, v9
	s_delay_alu instid0(VALU_DEP_2) | instskip(NEXT) | instid1(VALU_DEP_2)
	v_add_co_ci_u32_e32 v8, vcc_lo, v8, v10, vcc_lo
	v_lshrrev_b32_e32 v9, 2, v7
	s_delay_alu instid0(VALU_DEP_1) | instskip(NEXT) | instid1(VALU_DEP_1)
	v_add_nc_u32_e32 v9, 1, v9
	v_and_b32_e32 v9, 3, v9
	s_delay_alu instid0(VALU_DEP_1)
	v_cmpx_ne_u32_e32 0, v9
	s_cbranch_execz .LBB95_31
; %bb.28:
	v_lshlrev_b64 v[11:12], 2, v[0:1]
	v_dual_mov_b32 v10, 0 :: v_dual_lshlrev_b32 v9, 3, v9
	s_mov_b32 s6, 0
	s_delay_alu instid0(VALU_DEP_1) | instskip(NEXT) | instid1(VALU_DEP_3)
	v_mov_b32_e32 v20, v10
	v_add_co_u32 v11, vcc_lo, s8, v11
	s_delay_alu instid0(VALU_DEP_4)
	v_add_co_ci_u32_e32 v12, vcc_lo, s9, v12, vcc_lo
	v_mov_b32_e32 v22, v10
	v_mov_b32_e32 v23, v10
	;; [unrolled: 1-line block ×3, first 2 shown]
.LBB95_29:                              ; =>This Inner Loop Header: Depth=1
	global_load_b32 v17, v[11:12], off
	global_load_b128 v[13:16], v[5:6], off
	s_waitcnt vmcnt(1)
	v_subrev_nc_u32_e32 v17, s18, v17
	s_delay_alu instid0(VALU_DEP_1) | instskip(NEXT) | instid1(VALU_DEP_1)
	v_lshlrev_b32_e32 v17, 2, v17
	v_ashrrev_i32_e32 v18, 31, v17
	s_delay_alu instid0(VALU_DEP_1) | instskip(SKIP_1) | instid1(VALU_DEP_1)
	v_lshlrev_b64 v[17:18], 1, v[17:18]
	s_waitcnt lgkmcnt(0)
	v_add_co_u32 v17, vcc_lo, s4, v17
	s_delay_alu instid0(VALU_DEP_2)
	v_add_co_ci_u32_e32 v18, vcc_lo, s5, v18, vcc_lo
	global_load_b64 v[17:18], v[17:18], off
	global_load_b128 v[24:27], v[5:6], off offset:16
	v_add_co_u32 v5, vcc_lo, 0x80, v5
	v_add_co_ci_u32_e32 v6, vcc_lo, 0, v6, vcc_lo
	v_add_co_u32 v0, vcc_lo, v0, 4
	v_add_co_ci_u32_e32 v1, vcc_lo, 0, v1, vcc_lo
	;; [unrolled: 2-line block ×3, first 2 shown]
	v_add_co_u32 v9, vcc_lo, v9, -8
	v_add_co_ci_u32_e32 v10, vcc_lo, -1, v10, vcc_lo
	s_delay_alu instid0(VALU_DEP_1)
	v_cmp_eq_u64_e32 vcc_lo, 0, v[9:10]
	s_or_b32 s6, vcc_lo, s6
	s_waitcnt vmcnt(1)
	v_fma_mix_f32 v21, v13, v17, v21 op_sel_hi:[1,1,0]
	v_fma_mix_f32 v13, v13, v17, v23 op_sel:[1,0,0] op_sel_hi:[1,1,0]
	v_fma_mix_f32 v22, v14, v17, v22 op_sel_hi:[1,1,0]
	v_fma_mix_f32 v14, v14, v17, v20 op_sel:[1,0,0] op_sel_hi:[1,1,0]
	s_delay_alu instid0(VALU_DEP_4) | instskip(NEXT) | instid1(VALU_DEP_4)
	v_fma_mix_f32 v20, v15, v17, v21 op_sel:[0,1,0] op_sel_hi:[1,1,0]
	v_fma_mix_f32 v13, v15, v17, v13 op_sel:[1,1,0] op_sel_hi:[1,1,0]
	s_delay_alu instid0(VALU_DEP_4) | instskip(NEXT) | instid1(VALU_DEP_4)
	v_fma_mix_f32 v15, v16, v17, v22 op_sel:[0,1,0] op_sel_hi:[1,1,0]
	v_fma_mix_f32 v14, v16, v17, v14 op_sel:[1,1,0] op_sel_hi:[1,1,0]
	s_waitcnt vmcnt(0)
	v_fma_mix_f32 v16, v24, v18, v20 op_sel_hi:[1,1,0]
	v_fma_mix_f32 v13, v24, v18, v13 op_sel:[1,0,0] op_sel_hi:[1,1,0]
	v_fma_mix_f32 v15, v25, v18, v15 op_sel_hi:[1,1,0]
	v_fma_mix_f32 v14, v25, v18, v14 op_sel:[1,0,0] op_sel_hi:[1,1,0]
	s_delay_alu instid0(VALU_DEP_4) | instskip(NEXT) | instid1(VALU_DEP_4)
	v_fma_mix_f32 v21, v26, v18, v16 op_sel:[0,1,0] op_sel_hi:[1,1,0]
	v_fma_mix_f32 v23, v26, v18, v13 op_sel:[1,1,0] op_sel_hi:[1,1,0]
	s_delay_alu instid0(VALU_DEP_4) | instskip(NEXT) | instid1(VALU_DEP_4)
	v_fma_mix_f32 v22, v27, v18, v15 op_sel:[0,1,0] op_sel_hi:[1,1,0]
	v_fma_mix_f32 v20, v27, v18, v14 op_sel:[1,1,0] op_sel_hi:[1,1,0]
	s_and_not1_b32 exec_lo, exec_lo, s6
	s_cbranch_execnz .LBB95_29
; %bb.30:
	s_or_b32 exec_lo, exec_lo, s6
.LBB95_31:
	s_delay_alu instid0(SALU_CYCLE_1) | instskip(NEXT) | instid1(SALU_CYCLE_1)
	s_or_b32 exec_lo, exec_lo, s2
	s_mov_b32 s2, exec_lo
	v_cmpx_lt_u64_e32 11, v[7:8]
	s_cbranch_execz .LBB95_35
; %bb.32:
	v_lshlrev_b64 v[7:8], 2, v[0:1]
	s_mov_b32 s6, 0
	s_delay_alu instid0(VALU_DEP_1) | instskip(NEXT) | instid1(VALU_DEP_2)
	v_add_co_u32 v7, vcc_lo, v7, s8
	v_add_co_ci_u32_e32 v8, vcc_lo, s9, v8, vcc_lo
	s_delay_alu instid0(VALU_DEP_2) | instskip(NEXT) | instid1(VALU_DEP_2)
	v_add_co_u32 v7, vcc_lo, v7, 32
	v_add_co_ci_u32_e32 v8, vcc_lo, 0, v8, vcc_lo
.LBB95_33:                              ; =>This Inner Loop Header: Depth=1
	s_clause 0x3
	global_load_b32 v17, v[7:8], off offset:-32
	global_load_b32 v18, v[7:8], off offset:-16
	global_load_b32 v44, v[7:8], off
	global_load_b32 v45, v[7:8], off offset:16
	s_clause 0x6
	global_load_b128 v[9:12], v[5:6], off
	global_load_b128 v[13:16], v[5:6], off offset:16
	global_load_b128 v[24:27], v[5:6], off offset:128
	;; [unrolled: 1-line block ×6, first 2 shown]
	s_waitcnt vmcnt(10)
	v_subrev_nc_u32_e32 v17, s18, v17
	s_waitcnt vmcnt(9)
	v_subrev_nc_u32_e32 v18, s18, v18
	s_waitcnt vmcnt(8)
	v_subrev_nc_u32_e32 v46, s18, v44
	s_waitcnt vmcnt(7)
	v_subrev_nc_u32_e32 v45, s18, v45
	v_lshlrev_b32_e32 v17, 2, v17
	v_lshlrev_b32_e32 v44, 2, v18
	;; [unrolled: 1-line block ×3, first 2 shown]
	s_delay_alu instid0(VALU_DEP_4) | instskip(NEXT) | instid1(VALU_DEP_4)
	v_lshlrev_b32_e32 v48, 2, v45
	v_ashrrev_i32_e32 v18, 31, v17
	s_delay_alu instid0(VALU_DEP_4) | instskip(NEXT) | instid1(VALU_DEP_4)
	v_ashrrev_i32_e32 v45, 31, v44
	v_ashrrev_i32_e32 v47, 31, v46
	s_delay_alu instid0(VALU_DEP_4) | instskip(NEXT) | instid1(VALU_DEP_4)
	v_ashrrev_i32_e32 v49, 31, v48
	v_lshlrev_b64 v[17:18], 1, v[17:18]
	s_delay_alu instid0(VALU_DEP_4) | instskip(SKIP_1) | instid1(VALU_DEP_2)
	v_lshlrev_b64 v[44:45], 1, v[44:45]
	s_waitcnt lgkmcnt(0)
	v_add_co_u32 v17, vcc_lo, s4, v17
	s_delay_alu instid0(VALU_DEP_3) | instskip(NEXT) | instid1(VALU_DEP_3)
	v_add_co_ci_u32_e32 v18, vcc_lo, s5, v18, vcc_lo
	v_add_co_u32 v44, vcc_lo, s4, v44
	s_delay_alu instid0(VALU_DEP_4) | instskip(SKIP_4) | instid1(VALU_DEP_1)
	v_add_co_ci_u32_e32 v45, vcc_lo, s5, v45, vcc_lo
	s_clause 0x1
	global_load_b64 v[17:18], v[17:18], off
	global_load_b64 v[50:51], v[44:45], off
	v_lshlrev_b64 v[44:45], 1, v[46:47]
	v_add_co_u32 v44, vcc_lo, s4, v44
	s_delay_alu instid0(VALU_DEP_2) | instskip(SKIP_2) | instid1(VALU_DEP_1)
	v_add_co_ci_u32_e32 v45, vcc_lo, s5, v45, vcc_lo
	global_load_b64 v[52:53], v[44:45], off
	v_lshlrev_b64 v[44:45], 1, v[48:49]
	v_add_co_u32 v44, vcc_lo, s4, v44
	s_delay_alu instid0(VALU_DEP_2)
	v_add_co_ci_u32_e32 v45, vcc_lo, s5, v45, vcc_lo
	global_load_b64 v[48:49], v[44:45], off
	global_load_b128 v[44:47], v[5:6], off offset:400
	v_add_co_u32 v5, vcc_lo, 0x200, v5
	v_add_co_ci_u32_e32 v6, vcc_lo, 0, v6, vcc_lo
	v_add_co_u32 v0, vcc_lo, v0, 16
	v_add_co_ci_u32_e32 v1, vcc_lo, 0, v1, vcc_lo
	;; [unrolled: 2-line block ×3, first 2 shown]
	s_delay_alu instid0(VALU_DEP_3)
	v_cmp_ge_i64_e32 vcc_lo, v[0:1], v[2:3]
	s_or_b32 s6, vcc_lo, s6
	s_waitcnt vmcnt(4)
	v_fma_mix_f32 v21, v9, v17, v21 op_sel_hi:[1,1,0]
	v_fma_mix_f32 v9, v9, v17, v23 op_sel:[1,0,0] op_sel_hi:[1,1,0]
	v_fma_mix_f32 v22, v10, v17, v22 op_sel_hi:[1,1,0]
	v_fma_mix_f32 v10, v10, v17, v20 op_sel:[1,0,0] op_sel_hi:[1,1,0]
	s_delay_alu instid0(VALU_DEP_4) | instskip(NEXT) | instid1(VALU_DEP_4)
	v_fma_mix_f32 v20, v11, v17, v21 op_sel:[0,1,0] op_sel_hi:[1,1,0]
	v_fma_mix_f32 v9, v11, v17, v9 op_sel:[1,1,0] op_sel_hi:[1,1,0]
	s_delay_alu instid0(VALU_DEP_4) | instskip(NEXT) | instid1(VALU_DEP_4)
	v_fma_mix_f32 v11, v12, v17, v22 op_sel:[0,1,0] op_sel_hi:[1,1,0]
	v_fma_mix_f32 v10, v12, v17, v10 op_sel:[1,1,0] op_sel_hi:[1,1,0]
	s_delay_alu instid0(VALU_DEP_4) | instskip(NEXT) | instid1(VALU_DEP_4)
	v_fma_mix_f32 v12, v13, v18, v20 op_sel_hi:[1,1,0]
	v_fma_mix_f32 v9, v13, v18, v9 op_sel:[1,0,0] op_sel_hi:[1,1,0]
	s_delay_alu instid0(VALU_DEP_4) | instskip(NEXT) | instid1(VALU_DEP_4)
	v_fma_mix_f32 v11, v14, v18, v11 op_sel_hi:[1,1,0]
	v_fma_mix_f32 v10, v14, v18, v10 op_sel:[1,0,0] op_sel_hi:[1,1,0]
	s_delay_alu instid0(VALU_DEP_4) | instskip(NEXT) | instid1(VALU_DEP_4)
	v_fma_mix_f32 v12, v15, v18, v12 op_sel:[0,1,0] op_sel_hi:[1,1,0]
	v_fma_mix_f32 v9, v15, v18, v9 op_sel:[1,1,0] op_sel_hi:[1,1,0]
	s_delay_alu instid0(VALU_DEP_4) | instskip(NEXT) | instid1(VALU_DEP_4)
	v_fma_mix_f32 v11, v16, v18, v11 op_sel:[0,1,0] op_sel_hi:[1,1,0]
	v_fma_mix_f32 v10, v16, v18, v10 op_sel:[1,1,0] op_sel_hi:[1,1,0]
	s_waitcnt vmcnt(3)
	v_fma_mix_f32 v12, v24, v50, v12 op_sel_hi:[1,1,0]
	v_fma_mix_f32 v9, v24, v50, v9 op_sel:[1,0,0] op_sel_hi:[1,1,0]
	v_fma_mix_f32 v11, v25, v50, v11 op_sel_hi:[1,1,0]
	v_fma_mix_f32 v10, v25, v50, v10 op_sel:[1,0,0] op_sel_hi:[1,1,0]
	s_delay_alu instid0(VALU_DEP_4) | instskip(NEXT) | instid1(VALU_DEP_4)
	v_fma_mix_f32 v12, v26, v50, v12 op_sel:[0,1,0] op_sel_hi:[1,1,0]
	v_fma_mix_f32 v9, v26, v50, v9 op_sel:[1,1,0] op_sel_hi:[1,1,0]
	s_delay_alu instid0(VALU_DEP_4) | instskip(NEXT) | instid1(VALU_DEP_4)
	v_fma_mix_f32 v11, v27, v50, v11 op_sel:[0,1,0] op_sel_hi:[1,1,0]
	v_fma_mix_f32 v10, v27, v50, v10 op_sel:[1,1,0] op_sel_hi:[1,1,0]
	s_delay_alu instid0(VALU_DEP_4) | instskip(NEXT) | instid1(VALU_DEP_4)
	v_fma_mix_f32 v12, v28, v51, v12 op_sel_hi:[1,1,0]
	v_fma_mix_f32 v9, v28, v51, v9 op_sel:[1,0,0] op_sel_hi:[1,1,0]
	s_delay_alu instid0(VALU_DEP_4) | instskip(NEXT) | instid1(VALU_DEP_4)
	v_fma_mix_f32 v11, v29, v51, v11 op_sel_hi:[1,1,0]
	v_fma_mix_f32 v10, v29, v51, v10 op_sel:[1,0,0] op_sel_hi:[1,1,0]
	s_delay_alu instid0(VALU_DEP_4) | instskip(NEXT) | instid1(VALU_DEP_4)
	v_fma_mix_f32 v12, v30, v51, v12 op_sel:[0,1,0] op_sel_hi:[1,1,0]
	v_fma_mix_f32 v9, v30, v51, v9 op_sel:[1,1,0] op_sel_hi:[1,1,0]
	s_delay_alu instid0(VALU_DEP_4) | instskip(NEXT) | instid1(VALU_DEP_4)
	v_fma_mix_f32 v11, v31, v51, v11 op_sel:[0,1,0] op_sel_hi:[1,1,0]
	v_fma_mix_f32 v10, v31, v51, v10 op_sel:[1,1,0] op_sel_hi:[1,1,0]
	s_waitcnt vmcnt(2)
	v_fma_mix_f32 v12, v32, v52, v12 op_sel_hi:[1,1,0]
	v_fma_mix_f32 v9, v32, v52, v9 op_sel:[1,0,0] op_sel_hi:[1,1,0]
	v_fma_mix_f32 v11, v33, v52, v11 op_sel_hi:[1,1,0]
	v_fma_mix_f32 v10, v33, v52, v10 op_sel:[1,0,0] op_sel_hi:[1,1,0]
	s_delay_alu instid0(VALU_DEP_4) | instskip(NEXT) | instid1(VALU_DEP_4)
	v_fma_mix_f32 v12, v34, v52, v12 op_sel:[0,1,0] op_sel_hi:[1,1,0]
	v_fma_mix_f32 v9, v34, v52, v9 op_sel:[1,1,0] op_sel_hi:[1,1,0]
	s_delay_alu instid0(VALU_DEP_4) | instskip(NEXT) | instid1(VALU_DEP_4)
	v_fma_mix_f32 v11, v35, v52, v11 op_sel:[0,1,0] op_sel_hi:[1,1,0]
	v_fma_mix_f32 v10, v35, v52, v10 op_sel:[1,1,0] op_sel_hi:[1,1,0]
	s_delay_alu instid0(VALU_DEP_4) | instskip(NEXT) | instid1(VALU_DEP_4)
	v_fma_mix_f32 v12, v36, v53, v12 op_sel_hi:[1,1,0]
	v_fma_mix_f32 v9, v36, v53, v9 op_sel:[1,0,0] op_sel_hi:[1,1,0]
	s_delay_alu instid0(VALU_DEP_4) | instskip(NEXT) | instid1(VALU_DEP_4)
	v_fma_mix_f32 v11, v37, v53, v11 op_sel_hi:[1,1,0]
	v_fma_mix_f32 v10, v37, v53, v10 op_sel:[1,0,0] op_sel_hi:[1,1,0]
	s_delay_alu instid0(VALU_DEP_4) | instskip(NEXT) | instid1(VALU_DEP_4)
	v_fma_mix_f32 v12, v38, v53, v12 op_sel:[0,1,0] op_sel_hi:[1,1,0]
	v_fma_mix_f32 v9, v38, v53, v9 op_sel:[1,1,0] op_sel_hi:[1,1,0]
	s_delay_alu instid0(VALU_DEP_4) | instskip(NEXT) | instid1(VALU_DEP_4)
	v_fma_mix_f32 v11, v39, v53, v11 op_sel:[0,1,0] op_sel_hi:[1,1,0]
	v_fma_mix_f32 v10, v39, v53, v10 op_sel:[1,1,0] op_sel_hi:[1,1,0]
	s_waitcnt vmcnt(1)
	v_fma_mix_f32 v12, v40, v48, v12 op_sel_hi:[1,1,0]
	v_fma_mix_f32 v9, v40, v48, v9 op_sel:[1,0,0] op_sel_hi:[1,1,0]
	v_fma_mix_f32 v11, v41, v48, v11 op_sel_hi:[1,1,0]
	v_fma_mix_f32 v10, v41, v48, v10 op_sel:[1,0,0] op_sel_hi:[1,1,0]
	s_delay_alu instid0(VALU_DEP_4) | instskip(NEXT) | instid1(VALU_DEP_4)
	v_fma_mix_f32 v12, v42, v48, v12 op_sel:[0,1,0] op_sel_hi:[1,1,0]
	v_fma_mix_f32 v9, v42, v48, v9 op_sel:[1,1,0] op_sel_hi:[1,1,0]
	s_delay_alu instid0(VALU_DEP_4) | instskip(NEXT) | instid1(VALU_DEP_4)
	v_fma_mix_f32 v11, v43, v48, v11 op_sel:[0,1,0] op_sel_hi:[1,1,0]
	v_fma_mix_f32 v10, v43, v48, v10 op_sel:[1,1,0] op_sel_hi:[1,1,0]
	s_waitcnt vmcnt(0)
	v_fma_mix_f32 v12, v44, v49, v12 op_sel_hi:[1,1,0]
	v_fma_mix_f32 v9, v44, v49, v9 op_sel:[1,0,0] op_sel_hi:[1,1,0]
	v_fma_mix_f32 v11, v45, v49, v11 op_sel_hi:[1,1,0]
	v_fma_mix_f32 v10, v45, v49, v10 op_sel:[1,0,0] op_sel_hi:[1,1,0]
	s_delay_alu instid0(VALU_DEP_4) | instskip(NEXT) | instid1(VALU_DEP_4)
	v_fma_mix_f32 v21, v46, v49, v12 op_sel:[0,1,0] op_sel_hi:[1,1,0]
	v_fma_mix_f32 v23, v46, v49, v9 op_sel:[1,1,0] op_sel_hi:[1,1,0]
	s_delay_alu instid0(VALU_DEP_4) | instskip(NEXT) | instid1(VALU_DEP_4)
	v_fma_mix_f32 v22, v47, v49, v11 op_sel:[0,1,0] op_sel_hi:[1,1,0]
	v_fma_mix_f32 v20, v47, v49, v10 op_sel:[1,1,0] op_sel_hi:[1,1,0]
	s_and_not1_b32 exec_lo, exec_lo, s6
	s_cbranch_execnz .LBB95_33
; %bb.34:
	s_or_b32 exec_lo, exec_lo, s6
.LBB95_35:
	s_delay_alu instid0(SALU_CYCLE_1)
	s_or_b32 exec_lo, exec_lo, s2
.LBB95_36:
	s_delay_alu instid0(SALU_CYCLE_1)
	s_or_b32 exec_lo, exec_lo, s3
.LBB95_37:
	v_mbcnt_lo_u32_b32 v0, -1, 0
	s_mov_b32 s2, -1
	s_delay_alu instid0(VALU_DEP_1) | instskip(NEXT) | instid1(VALU_DEP_1)
	v_xor_b32_e32 v1, 2, v0
	v_cmp_gt_i32_e32 vcc_lo, 32, v1
	v_cndmask_b32_e32 v1, v0, v1, vcc_lo
	s_delay_alu instid0(VALU_DEP_1)
	v_lshlrev_b32_e32 v1, 2, v1
	ds_bpermute_b32 v2, v1, v21
	ds_bpermute_b32 v3, v1, v23
	;; [unrolled: 1-line block ×4, first 2 shown]
	v_xor_b32_e32 v1, 1, v0
	s_delay_alu instid0(VALU_DEP_1) | instskip(SKIP_3) | instid1(VALU_DEP_2)
	v_cmp_gt_i32_e32 vcc_lo, 32, v1
	v_cndmask_b32_e32 v0, v0, v1, vcc_lo
	v_cmp_eq_u32_e32 vcc_lo, 3, v19
	s_waitcnt lgkmcnt(0)
	v_dual_add_f32 v1, v23, v3 :: v_dual_lshlrev_b32 v8, 2, v0
	v_add_f32_e32 v0, v21, v2
	v_dual_add_f32 v2, v22, v5 :: v_dual_add_f32 v3, v20, v6
	ds_bpermute_b32 v6, v8, v1
	ds_bpermute_b32 v5, v8, v0
	;; [unrolled: 1-line block ×4, first 2 shown]
	s_and_b32 exec_lo, exec_lo, vcc_lo
	s_cbranch_execz .LBB95_10
; %bb.38:
	s_load_b64 s[0:1], s[0:1], 0x50
	s_waitcnt lgkmcnt(0)
	v_dual_add_f32 v0, v0, v5 :: v_dual_add_f32 v1, v1, v6
	v_dual_add_f32 v2, v2, v7 :: v_dual_add_f32 v3, v3, v8
	v_cmp_eq_f32_e64 s3, s12, 0
	s_delay_alu instid0(VALU_DEP_3) | instskip(NEXT) | instid1(VALU_DEP_3)
	v_dual_mul_f32 v0, s16, v0 :: v_dual_mul_f32 v1, s16, v1
	v_dual_mul_f32 v2, s16, v2 :: v_dual_mul_f32 v3, s16, v3
	v_lshlrev_b32_e32 v4, 2, v4
	s_delay_alu instid0(VALU_DEP_4)
	s_and_b32 vcc_lo, exec_lo, s3
	s_cbranch_vccz .LBB95_40
; %bb.39:
	s_delay_alu instid0(VALU_DEP_1) | instskip(SKIP_1) | instid1(VALU_DEP_1)
	v_ashrrev_i32_e32 v5, 31, v4
	s_mov_b32 s2, 0
	v_lshlrev_b64 v[5:6], 2, v[4:5]
	s_delay_alu instid0(VALU_DEP_1) | instskip(NEXT) | instid1(VALU_DEP_2)
	v_add_co_u32 v5, vcc_lo, s0, v5
	v_add_co_ci_u32_e32 v6, vcc_lo, s1, v6, vcc_lo
	global_store_b128 v[5:6], v[0:3], off
.LBB95_40:
	s_and_not1_b32 vcc_lo, exec_lo, s2
	s_cbranch_vccnz .LBB95_10
; %bb.41:
	v_ashrrev_i32_e32 v5, 31, v4
	s_delay_alu instid0(VALU_DEP_1) | instskip(NEXT) | instid1(VALU_DEP_1)
	v_lshlrev_b64 v[4:5], 2, v[4:5]
	v_add_co_u32 v8, vcc_lo, s0, v4
	s_delay_alu instid0(VALU_DEP_2)
	v_add_co_ci_u32_e32 v9, vcc_lo, s1, v5, vcc_lo
	global_load_b128 v[4:7], v[8:9], off
	s_waitcnt vmcnt(0)
	v_dual_fmac_f32 v0, s12, v4 :: v_dual_fmac_f32 v1, s12, v5
	v_dual_fmac_f32 v2, s12, v6 :: v_dual_fmac_f32 v3, s12, v7
	global_store_b128 v[8:9], v[0:3], off
	s_nop 0
	s_sendmsg sendmsg(MSG_DEALLOC_VGPRS)
	s_endpgm
	.section	.rodata,"a",@progbits
	.p2align	6, 0x0
	.amdhsa_kernel _ZN9rocsparseL18bsrxmvn_4x4_kernelILj128ELj4EfliDF16_DF16_fEEvT3_20rocsparse_direction_NS_24const_host_device_scalarIT1_EES1_PKS1_PKT2_SA_S7_PKT4_PKT5_S5_PT6_21rocsparse_index_base_b
		.amdhsa_group_segment_fixed_size 0
		.amdhsa_private_segment_fixed_size 0
		.amdhsa_kernarg_size 96
		.amdhsa_user_sgpr_count 15
		.amdhsa_user_sgpr_dispatch_ptr 0
		.amdhsa_user_sgpr_queue_ptr 0
		.amdhsa_user_sgpr_kernarg_segment_ptr 1
		.amdhsa_user_sgpr_dispatch_id 0
		.amdhsa_user_sgpr_private_segment_size 0
		.amdhsa_wavefront_size32 1
		.amdhsa_uses_dynamic_stack 0
		.amdhsa_enable_private_segment 0
		.amdhsa_system_sgpr_workgroup_id_x 1
		.amdhsa_system_sgpr_workgroup_id_y 0
		.amdhsa_system_sgpr_workgroup_id_z 0
		.amdhsa_system_sgpr_workgroup_info 0
		.amdhsa_system_vgpr_workitem_id 0
		.amdhsa_next_free_vgpr 60
		.amdhsa_next_free_sgpr 20
		.amdhsa_reserve_vcc 1
		.amdhsa_float_round_mode_32 0
		.amdhsa_float_round_mode_16_64 0
		.amdhsa_float_denorm_mode_32 3
		.amdhsa_float_denorm_mode_16_64 3
		.amdhsa_dx10_clamp 1
		.amdhsa_ieee_mode 1
		.amdhsa_fp16_overflow 0
		.amdhsa_workgroup_processor_mode 1
		.amdhsa_memory_ordered 1
		.amdhsa_forward_progress 0
		.amdhsa_shared_vgpr_count 0
		.amdhsa_exception_fp_ieee_invalid_op 0
		.amdhsa_exception_fp_denorm_src 0
		.amdhsa_exception_fp_ieee_div_zero 0
		.amdhsa_exception_fp_ieee_overflow 0
		.amdhsa_exception_fp_ieee_underflow 0
		.amdhsa_exception_fp_ieee_inexact 0
		.amdhsa_exception_int_div_zero 0
	.end_amdhsa_kernel
	.section	.text._ZN9rocsparseL18bsrxmvn_4x4_kernelILj128ELj4EfliDF16_DF16_fEEvT3_20rocsparse_direction_NS_24const_host_device_scalarIT1_EES1_PKS1_PKT2_SA_S7_PKT4_PKT5_S5_PT6_21rocsparse_index_base_b,"axG",@progbits,_ZN9rocsparseL18bsrxmvn_4x4_kernelILj128ELj4EfliDF16_DF16_fEEvT3_20rocsparse_direction_NS_24const_host_device_scalarIT1_EES1_PKS1_PKT2_SA_S7_PKT4_PKT5_S5_PT6_21rocsparse_index_base_b,comdat
.Lfunc_end95:
	.size	_ZN9rocsparseL18bsrxmvn_4x4_kernelILj128ELj4EfliDF16_DF16_fEEvT3_20rocsparse_direction_NS_24const_host_device_scalarIT1_EES1_PKS1_PKT2_SA_S7_PKT4_PKT5_S5_PT6_21rocsparse_index_base_b, .Lfunc_end95-_ZN9rocsparseL18bsrxmvn_4x4_kernelILj128ELj4EfliDF16_DF16_fEEvT3_20rocsparse_direction_NS_24const_host_device_scalarIT1_EES1_PKS1_PKT2_SA_S7_PKT4_PKT5_S5_PT6_21rocsparse_index_base_b
                                        ; -- End function
	.section	.AMDGPU.csdata,"",@progbits
; Kernel info:
; codeLenInByte = 4208
; NumSgprs: 22
; NumVgprs: 60
; ScratchSize: 0
; MemoryBound: 0
; FloatMode: 240
; IeeeMode: 1
; LDSByteSize: 0 bytes/workgroup (compile time only)
; SGPRBlocks: 2
; VGPRBlocks: 7
; NumSGPRsForWavesPerEU: 22
; NumVGPRsForWavesPerEU: 60
; Occupancy: 16
; WaveLimiterHint : 1
; COMPUTE_PGM_RSRC2:SCRATCH_EN: 0
; COMPUTE_PGM_RSRC2:USER_SGPR: 15
; COMPUTE_PGM_RSRC2:TRAP_HANDLER: 0
; COMPUTE_PGM_RSRC2:TGID_X_EN: 1
; COMPUTE_PGM_RSRC2:TGID_Y_EN: 0
; COMPUTE_PGM_RSRC2:TGID_Z_EN: 0
; COMPUTE_PGM_RSRC2:TIDIG_COMP_CNT: 0
	.section	.text._ZN9rocsparseL18bsrxmvn_4x4_kernelILj128ELj8EfliDF16_DF16_fEEvT3_20rocsparse_direction_NS_24const_host_device_scalarIT1_EES1_PKS1_PKT2_SA_S7_PKT4_PKT5_S5_PT6_21rocsparse_index_base_b,"axG",@progbits,_ZN9rocsparseL18bsrxmvn_4x4_kernelILj128ELj8EfliDF16_DF16_fEEvT3_20rocsparse_direction_NS_24const_host_device_scalarIT1_EES1_PKS1_PKT2_SA_S7_PKT4_PKT5_S5_PT6_21rocsparse_index_base_b,comdat
	.globl	_ZN9rocsparseL18bsrxmvn_4x4_kernelILj128ELj8EfliDF16_DF16_fEEvT3_20rocsparse_direction_NS_24const_host_device_scalarIT1_EES1_PKS1_PKT2_SA_S7_PKT4_PKT5_S5_PT6_21rocsparse_index_base_b ; -- Begin function _ZN9rocsparseL18bsrxmvn_4x4_kernelILj128ELj8EfliDF16_DF16_fEEvT3_20rocsparse_direction_NS_24const_host_device_scalarIT1_EES1_PKS1_PKT2_SA_S7_PKT4_PKT5_S5_PT6_21rocsparse_index_base_b
	.p2align	8
	.type	_ZN9rocsparseL18bsrxmvn_4x4_kernelILj128ELj8EfliDF16_DF16_fEEvT3_20rocsparse_direction_NS_24const_host_device_scalarIT1_EES1_PKS1_PKT2_SA_S7_PKT4_PKT5_S5_PT6_21rocsparse_index_base_b,@function
_ZN9rocsparseL18bsrxmvn_4x4_kernelILj128ELj8EfliDF16_DF16_fEEvT3_20rocsparse_direction_NS_24const_host_device_scalarIT1_EES1_PKS1_PKT2_SA_S7_PKT4_PKT5_S5_PT6_21rocsparse_index_base_b: ; @_ZN9rocsparseL18bsrxmvn_4x4_kernelILj128ELj8EfliDF16_DF16_fEEvT3_20rocsparse_direction_NS_24const_host_device_scalarIT1_EES1_PKS1_PKT2_SA_S7_PKT4_PKT5_S5_PT6_21rocsparse_index_base_b
; %bb.0:
	s_clause 0x2
	s_load_b64 s[18:19], s[0:1], 0x58
	s_load_b64 s[16:17], s[0:1], 0x8
	s_load_b64 s[12:13], s[0:1], 0x48
	s_waitcnt lgkmcnt(0)
	s_bitcmp1_b32 s19, 0
	s_cselect_b32 s2, -1, 0
	s_delay_alu instid0(SALU_CYCLE_1)
	s_and_b32 vcc_lo, exec_lo, s2
	s_xor_b32 s2, s2, -1
	s_cbranch_vccnz .LBB96_2
; %bb.1:
	s_load_b32 s16, s[16:17], 0x0
.LBB96_2:
	s_and_not1_b32 vcc_lo, exec_lo, s2
	s_cbranch_vccnz .LBB96_4
; %bb.3:
	s_load_b32 s12, s[12:13], 0x0
.LBB96_4:
	s_waitcnt lgkmcnt(0)
	v_cmp_neq_f32_e64 s2, s16, 0
	v_cmp_neq_f32_e64 s3, s12, 1.0
	s_mov_b32 s6, 0
	s_delay_alu instid0(VALU_DEP_1) | instskip(NEXT) | instid1(SALU_CYCLE_1)
	s_or_b32 s2, s2, s3
	s_and_not1_b32 vcc_lo, exec_lo, s2
	s_cbranch_vccnz .LBB96_10
; %bb.5:
	s_clause 0x1
	s_load_b64 s[4:5], s[0:1], 0x18
	s_load_b64 s[2:3], s[0:1], 0x0
	v_lshrrev_b32_e32 v1, 3, v0
	s_delay_alu instid0(VALU_DEP_1)
	v_lshl_or_b32 v4, s15, 4, v1
	s_waitcnt lgkmcnt(0)
	s_cmp_lg_u64 s[4:5], 0
	s_cbranch_scc0 .LBB96_11
; %bb.6:
	s_load_b32 s6, s[0:1], 0x10
	s_mov_b32 s7, 0
                                        ; implicit-def: $vgpr1
	s_waitcnt lgkmcnt(0)
	v_cmp_gt_i32_e32 vcc_lo, s6, v4
	s_mov_b32 s6, 0
	s_and_saveexec_b32 s8, vcc_lo
	s_delay_alu instid0(SALU_CYCLE_1)
	s_xor_b32 s8, exec_lo, s8
	s_cbranch_execz .LBB96_8
; %bb.7:
	v_ashrrev_i32_e32 v5, 31, v4
	s_mov_b32 s6, exec_lo
	s_delay_alu instid0(VALU_DEP_1) | instskip(NEXT) | instid1(VALU_DEP_1)
	v_lshlrev_b64 v[1:2], 2, v[4:5]
	v_add_co_u32 v1, vcc_lo, s4, v1
	s_delay_alu instid0(VALU_DEP_2)
	v_add_co_ci_u32_e32 v2, vcc_lo, s5, v2, vcc_lo
	global_load_b32 v1, v[1:2], off
	s_waitcnt vmcnt(0)
	v_subrev_nc_u32_e32 v1, s18, v1
.LBB96_8:
	s_or_b32 exec_lo, exec_lo, s8
	s_delay_alu instid0(SALU_CYCLE_1)
	s_and_b32 vcc_lo, exec_lo, s7
	s_cbranch_vccz .LBB96_12
.LBB96_9:
	v_cmp_gt_i32_e32 vcc_lo, s2, v4
	s_and_not1_b32 s2, s6, exec_lo
	s_and_b32 s4, vcc_lo, exec_lo
	s_delay_alu instid0(SALU_CYCLE_1) | instskip(NEXT) | instid1(SALU_CYCLE_1)
	s_or_b32 s6, s2, s4
	s_and_saveexec_b32 s2, s6
	s_cbranch_execnz .LBB96_13
.LBB96_10:
	s_nop 0
	s_sendmsg sendmsg(MSG_DEALLOC_VGPRS)
	s_endpgm
.LBB96_11:
                                        ; implicit-def: $vgpr1
	s_cbranch_execnz .LBB96_9
.LBB96_12:
	s_delay_alu instid0(VALU_DEP_1)
	v_mov_b32_e32 v4, v1
	s_and_saveexec_b32 s2, s6
	s_cbranch_execz .LBB96_10
.LBB96_13:
	s_load_b256 s[4:11], s[0:1], 0x20
	s_delay_alu instid0(VALU_DEP_1) | instskip(SKIP_1) | instid1(VALU_DEP_2)
	v_ashrrev_i32_e32 v5, 31, v4
	v_dual_mov_b32 v20, 0 :: v_dual_and_b32 v19, 7, v0
	v_lshlrev_b64 v[1:2], 3, v[4:5]
	s_waitcnt lgkmcnt(0)
	s_delay_alu instid0(VALU_DEP_1) | instskip(NEXT) | instid1(VALU_DEP_2)
	v_add_co_u32 v5, vcc_lo, s4, v1
	v_add_co_ci_u32_e32 v6, vcc_lo, s5, v2, vcc_lo
	v_add_co_u32 v1, vcc_lo, s6, v1
	v_add_co_ci_u32_e32 v2, vcc_lo, s7, v2, vcc_lo
	s_delay_alu instid0(VALU_DEP_4)
	v_add_co_u32 v3, vcc_lo, v5, 8
	global_load_b64 v[7:8], v[5:6], off
	v_add_co_ci_u32_e32 v9, vcc_lo, 0, v6, vcc_lo
	s_cmp_eq_u64 s[6:7], 0
	s_load_b64 s[4:5], s[0:1], 0x40
	s_cselect_b32 vcc_lo, -1, 0
	s_cmp_eq_u32 s3, 1
	v_dual_cndmask_b32 v2, v2, v9 :: v_dual_cndmask_b32 v1, v1, v3
	s_mov_b32 s3, 0
	global_load_b64 v[2:3], v[1:2], off
	s_waitcnt vmcnt(1)
	v_sub_co_u32 v0, vcc_lo, v7, s18
	v_subrev_co_ci_u32_e32 v1, vcc_lo, 0, v8, vcc_lo
	s_delay_alu instid0(VALU_DEP_2) | instskip(NEXT) | instid1(VALU_DEP_2)
	v_add_co_u32 v0, vcc_lo, v0, v19
	v_add_co_ci_u32_e32 v1, vcc_lo, 0, v1, vcc_lo
	s_delay_alu instid0(VALU_DEP_1) | instskip(SKIP_3) | instid1(VALU_DEP_3)
	v_lshlrev_b64 v[5:6], 5, v[0:1]
	s_waitcnt vmcnt(0)
	v_sub_co_u32 v2, vcc_lo, v2, s18
	v_subrev_co_ci_u32_e32 v3, vcc_lo, 0, v3, vcc_lo
	v_add_co_u32 v5, vcc_lo, s10, v5
	s_delay_alu instid0(VALU_DEP_2)
	v_cmp_lt_i64_e64 s2, v[0:1], v[2:3]
	v_add_co_ci_u32_e32 v6, vcc_lo, s11, v6, vcc_lo
	s_cbranch_scc1 .LBB96_25
; %bb.14:
	v_dual_mov_b32 v22, 0 :: v_dual_mov_b32 v23, 0
	v_mov_b32_e32 v21, 0
	s_delay_alu instid0(VALU_DEP_4)
	s_and_saveexec_b32 s6, s2
	s_cbranch_execz .LBB96_24
; %bb.15:
	v_or_b32_e32 v9, 8, v19
	v_not_b32_e32 v12, v7
	v_not_b32_e32 v11, v8
	v_mov_b32_e32 v23, 0
	v_dual_mov_b32 v21, 0 :: v_dual_mov_b32 v20, 0
	v_sub_co_u32 v9, s7, v9, s18
	s_delay_alu instid0(VALU_DEP_1) | instskip(SKIP_1) | instid1(VALU_DEP_3)
	v_sub_co_ci_u32_e64 v10, null, 0, 0, s7
	v_sub_co_u32 v13, s7, s18, v19
	v_add_co_u32 v9, vcc_lo, v9, v7
	s_delay_alu instid0(VALU_DEP_3) | instskip(SKIP_2) | instid1(VALU_DEP_2)
	v_add_co_ci_u32_e32 v10, vcc_lo, v10, v8, vcc_lo
	v_sub_co_ci_u32_e64 v14, null, 0, 0, s7
	s_mov_b32 s7, exec_lo
	v_cmp_gt_i64_e32 vcc_lo, v[9:10], v[2:3]
	v_mov_b32_e32 v22, 0
	v_dual_cndmask_b32 v10, v3, v10 :: v_dual_cndmask_b32 v9, v2, v9
	v_add_co_u32 v12, vcc_lo, v13, v12
	v_add_co_ci_u32_e32 v11, vcc_lo, v14, v11, vcc_lo
	s_delay_alu instid0(VALU_DEP_2) | instskip(NEXT) | instid1(VALU_DEP_2)
	v_add_co_u32 v13, vcc_lo, v12, v9
	v_add_co_ci_u32_e32 v14, vcc_lo, v11, v10, vcc_lo
	v_mov_b32_e32 v12, v6
	s_delay_alu instid0(VALU_DEP_3) | instskip(SKIP_1) | instid1(VALU_DEP_2)
	v_lshrrev_b32_e32 v9, 3, v13
	v_mov_b32_e32 v11, v5
	v_add_nc_u32_e32 v9, 1, v9
	s_delay_alu instid0(VALU_DEP_1) | instskip(SKIP_1) | instid1(VALU_DEP_2)
	v_dual_mov_b32 v10, v1 :: v_dual_and_b32 v15, 3, v9
	v_mov_b32_e32 v9, v0
	v_cmpx_ne_u32_e32 0, v15
	s_cbranch_execz .LBB96_19
; %bb.16:
	v_lshlrev_b64 v[9:10], 2, v[0:1]
	v_dual_mov_b32 v16, 0 :: v_dual_lshlrev_b32 v15, 3, v15
	v_dual_mov_b32 v12, v6 :: v_dual_mov_b32 v11, v5
	s_mov_b32 s10, 0
	s_delay_alu instid0(VALU_DEP_3) | instskip(NEXT) | instid1(VALU_DEP_4)
	v_add_co_u32 v17, vcc_lo, s8, v9
	v_add_co_ci_u32_e32 v18, vcc_lo, s9, v10, vcc_lo
	v_dual_mov_b32 v10, v1 :: v_dual_mov_b32 v9, v0
	v_mov_b32_e32 v20, v16
	v_mov_b32_e32 v22, v16
	;; [unrolled: 1-line block ×4, first 2 shown]
.LBB96_17:                              ; =>This Inner Loop Header: Depth=1
	global_load_b32 v32, v[17:18], off
	s_clause 0x1
	global_load_b128 v[24:27], v[11:12], off
	global_load_b128 v[28:31], v[11:12], off offset:16
	s_waitcnt vmcnt(2)
	v_subrev_nc_u32_e32 v32, s18, v32
	s_delay_alu instid0(VALU_DEP_1) | instskip(NEXT) | instid1(VALU_DEP_1)
	v_lshlrev_b32_e32 v32, 2, v32
	v_ashrrev_i32_e32 v33, 31, v32
	s_delay_alu instid0(VALU_DEP_1) | instskip(SKIP_1) | instid1(VALU_DEP_1)
	v_lshlrev_b64 v[32:33], 1, v[32:33]
	s_waitcnt lgkmcnt(0)
	v_add_co_u32 v32, vcc_lo, s4, v32
	s_delay_alu instid0(VALU_DEP_2)
	v_add_co_ci_u32_e32 v33, vcc_lo, s5, v33, vcc_lo
	v_add_co_u32 v11, vcc_lo, 0x100, v11
	v_add_co_ci_u32_e32 v12, vcc_lo, 0, v12, vcc_lo
	global_load_b64 v[32:33], v[32:33], off
	v_add_co_u32 v9, vcc_lo, v9, 8
	v_add_co_ci_u32_e32 v10, vcc_lo, 0, v10, vcc_lo
	v_add_co_u32 v17, vcc_lo, v17, 32
	v_add_co_ci_u32_e32 v18, vcc_lo, 0, v18, vcc_lo
	v_add_co_u32 v15, vcc_lo, v15, -8
	v_add_co_ci_u32_e32 v16, vcc_lo, -1, v16, vcc_lo
	s_delay_alu instid0(VALU_DEP_1)
	v_cmp_eq_u64_e32 vcc_lo, 0, v[15:16]
	s_or_b32 s10, vcc_lo, s10
	s_waitcnt vmcnt(0)
	v_fma_mix_f32 v21, v24, v32, v21 op_sel_hi:[1,1,0]
	v_fma_mix_f32 v23, v26, v32, v23 op_sel_hi:[1,1,0]
	;; [unrolled: 1-line block ×4, first 2 shown]
	s_delay_alu instid0(VALU_DEP_4) | instskip(NEXT) | instid1(VALU_DEP_4)
	v_fma_mix_f32 v21, v24, v32, v21 op_sel:[1,1,0] op_sel_hi:[1,1,0]
	v_fma_mix_f32 v23, v26, v32, v23 op_sel:[1,1,0] op_sel_hi:[1,1,0]
	s_delay_alu instid0(VALU_DEP_4) | instskip(NEXT) | instid1(VALU_DEP_4)
	v_fma_mix_f32 v22, v28, v32, v22 op_sel:[1,1,0] op_sel_hi:[1,1,0]
	v_fma_mix_f32 v20, v30, v32, v20 op_sel:[1,1,0] op_sel_hi:[1,1,0]
	s_delay_alu instid0(VALU_DEP_4) | instskip(NEXT) | instid1(VALU_DEP_4)
	v_fma_mix_f32 v21, v25, v33, v21 op_sel_hi:[1,1,0]
	v_fma_mix_f32 v23, v27, v33, v23 op_sel_hi:[1,1,0]
	s_delay_alu instid0(VALU_DEP_4) | instskip(NEXT) | instid1(VALU_DEP_4)
	v_fma_mix_f32 v22, v29, v33, v22 op_sel_hi:[1,1,0]
	v_fma_mix_f32 v20, v31, v33, v20 op_sel_hi:[1,1,0]
	s_delay_alu instid0(VALU_DEP_4) | instskip(NEXT) | instid1(VALU_DEP_4)
	v_fma_mix_f32 v21, v25, v33, v21 op_sel:[1,1,0] op_sel_hi:[1,1,0]
	v_fma_mix_f32 v23, v27, v33, v23 op_sel:[1,1,0] op_sel_hi:[1,1,0]
	s_delay_alu instid0(VALU_DEP_4) | instskip(NEXT) | instid1(VALU_DEP_4)
	v_fma_mix_f32 v22, v29, v33, v22 op_sel:[1,1,0] op_sel_hi:[1,1,0]
	v_fma_mix_f32 v20, v31, v33, v20 op_sel:[1,1,0] op_sel_hi:[1,1,0]
	s_and_not1_b32 exec_lo, exec_lo, s10
	s_cbranch_execnz .LBB96_17
; %bb.18:
	s_or_b32 exec_lo, exec_lo, s10
.LBB96_19:
	s_delay_alu instid0(SALU_CYCLE_1) | instskip(NEXT) | instid1(SALU_CYCLE_1)
	s_or_b32 exec_lo, exec_lo, s7
	s_mov_b32 s7, exec_lo
	v_cmpx_lt_u64_e32 23, v[13:14]
	s_cbranch_execz .LBB96_23
; %bb.20:
	v_lshlrev_b64 v[13:14], 2, v[9:10]
	s_mov_b32 s10, 0
	s_delay_alu instid0(VALU_DEP_1) | instskip(NEXT) | instid1(VALU_DEP_2)
	v_add_co_u32 v13, vcc_lo, v13, s8
	v_add_co_ci_u32_e32 v14, vcc_lo, s9, v14, vcc_lo
	s_delay_alu instid0(VALU_DEP_2) | instskip(NEXT) | instid1(VALU_DEP_2)
	v_add_co_u32 v13, vcc_lo, v13, 64
	v_add_co_ci_u32_e32 v14, vcc_lo, 0, v14, vcc_lo
.LBB96_21:                              ; =>This Inner Loop Header: Depth=1
	s_clause 0x3
	global_load_b32 v52, v[13:14], off offset:-64
	global_load_b32 v53, v[13:14], off offset:-32
	global_load_b32 v54, v[13:14], off
	global_load_b32 v55, v[13:14], off offset:32
	s_clause 0x7
	global_load_b128 v[15:18], v[11:12], off
	global_load_b128 v[24:27], v[11:12], off offset:16
	global_load_b128 v[28:31], v[11:12], off offset:256
	;; [unrolled: 1-line block ×7, first 2 shown]
	s_waitcnt vmcnt(11)
	v_subrev_nc_u32_e32 v52, s18, v52
	s_waitcnt vmcnt(10)
	v_subrev_nc_u32_e32 v53, s18, v53
	;; [unrolled: 2-line block ×4, first 2 shown]
	v_lshlrev_b32_e32 v52, 2, v52
	v_lshlrev_b32_e32 v54, 2, v53
	;; [unrolled: 1-line block ×3, first 2 shown]
	s_delay_alu instid0(VALU_DEP_4) | instskip(NEXT) | instid1(VALU_DEP_4)
	v_lshlrev_b32_e32 v58, 2, v55
	v_ashrrev_i32_e32 v53, 31, v52
	s_delay_alu instid0(VALU_DEP_4) | instskip(NEXT) | instid1(VALU_DEP_4)
	v_ashrrev_i32_e32 v55, 31, v54
	v_ashrrev_i32_e32 v57, 31, v56
	s_delay_alu instid0(VALU_DEP_4) | instskip(NEXT) | instid1(VALU_DEP_4)
	v_ashrrev_i32_e32 v59, 31, v58
	v_lshlrev_b64 v[52:53], 1, v[52:53]
	s_delay_alu instid0(VALU_DEP_4) | instskip(NEXT) | instid1(VALU_DEP_4)
	v_lshlrev_b64 v[54:55], 1, v[54:55]
	v_lshlrev_b64 v[56:57], 1, v[56:57]
	s_delay_alu instid0(VALU_DEP_4) | instskip(SKIP_1) | instid1(VALU_DEP_4)
	v_lshlrev_b64 v[58:59], 1, v[58:59]
	s_waitcnt lgkmcnt(0)
	v_add_co_u32 v52, vcc_lo, s4, v52
	v_add_co_ci_u32_e32 v53, vcc_lo, s5, v53, vcc_lo
	v_add_co_u32 v54, vcc_lo, s4, v54
	v_add_co_ci_u32_e32 v55, vcc_lo, s5, v55, vcc_lo
	global_load_b64 v[52:53], v[52:53], off
	v_add_co_u32 v56, vcc_lo, s4, v56
	global_load_b64 v[54:55], v[54:55], off
	v_add_co_ci_u32_e32 v57, vcc_lo, s5, v57, vcc_lo
	v_add_co_u32 v58, vcc_lo, s4, v58
	v_add_co_ci_u32_e32 v59, vcc_lo, s5, v59, vcc_lo
	global_load_b64 v[56:57], v[56:57], off
	v_add_co_u32 v11, vcc_lo, 0x400, v11
	global_load_b64 v[58:59], v[58:59], off
	v_add_co_ci_u32_e32 v12, vcc_lo, 0, v12, vcc_lo
	v_add_co_u32 v9, vcc_lo, v9, 32
	v_add_co_ci_u32_e32 v10, vcc_lo, 0, v10, vcc_lo
	v_add_co_u32 v13, vcc_lo, 0x80, v13
	v_add_co_ci_u32_e32 v14, vcc_lo, 0, v14, vcc_lo
	s_delay_alu instid0(VALU_DEP_3)
	v_cmp_ge_i64_e32 vcc_lo, v[9:10], v[2:3]
	s_or_b32 s10, vcc_lo, s10
	s_waitcnt vmcnt(3)
	v_fma_mix_f32 v21, v15, v52, v21 op_sel_hi:[1,1,0]
	v_fma_mix_f32 v23, v17, v52, v23 op_sel_hi:[1,1,0]
	v_fma_mix_f32 v22, v24, v52, v22 op_sel_hi:[1,1,0]
	v_fma_mix_f32 v20, v26, v52, v20 op_sel_hi:[1,1,0]
	s_delay_alu instid0(VALU_DEP_4) | instskip(NEXT) | instid1(VALU_DEP_4)
	v_fma_mix_f32 v15, v15, v52, v21 op_sel:[1,1,0] op_sel_hi:[1,1,0]
	v_fma_mix_f32 v17, v17, v52, v23 op_sel:[1,1,0] op_sel_hi:[1,1,0]
	s_delay_alu instid0(VALU_DEP_4) | instskip(NEXT) | instid1(VALU_DEP_4)
	v_fma_mix_f32 v21, v24, v52, v22 op_sel:[1,1,0] op_sel_hi:[1,1,0]
	v_fma_mix_f32 v20, v26, v52, v20 op_sel:[1,1,0] op_sel_hi:[1,1,0]
	s_delay_alu instid0(VALU_DEP_4) | instskip(NEXT) | instid1(VALU_DEP_4)
	v_fma_mix_f32 v15, v16, v53, v15 op_sel_hi:[1,1,0]
	v_fma_mix_f32 v17, v18, v53, v17 op_sel_hi:[1,1,0]
	s_delay_alu instid0(VALU_DEP_4) | instskip(NEXT) | instid1(VALU_DEP_4)
	v_fma_mix_f32 v21, v25, v53, v21 op_sel_hi:[1,1,0]
	v_fma_mix_f32 v20, v27, v53, v20 op_sel_hi:[1,1,0]
	s_delay_alu instid0(VALU_DEP_4) | instskip(NEXT) | instid1(VALU_DEP_4)
	v_fma_mix_f32 v15, v16, v53, v15 op_sel:[1,1,0] op_sel_hi:[1,1,0]
	v_fma_mix_f32 v16, v18, v53, v17 op_sel:[1,1,0] op_sel_hi:[1,1,0]
	s_delay_alu instid0(VALU_DEP_4) | instskip(NEXT) | instid1(VALU_DEP_4)
	v_fma_mix_f32 v17, v25, v53, v21 op_sel:[1,1,0] op_sel_hi:[1,1,0]
	v_fma_mix_f32 v18, v27, v53, v20 op_sel:[1,1,0] op_sel_hi:[1,1,0]
	s_waitcnt vmcnt(2)
	v_fma_mix_f32 v15, v28, v54, v15 op_sel_hi:[1,1,0]
	v_fma_mix_f32 v16, v30, v54, v16 op_sel_hi:[1,1,0]
	v_fma_mix_f32 v17, v32, v54, v17 op_sel_hi:[1,1,0]
	v_fma_mix_f32 v18, v34, v54, v18 op_sel_hi:[1,1,0]
	s_delay_alu instid0(VALU_DEP_4) | instskip(NEXT) | instid1(VALU_DEP_4)
	v_fma_mix_f32 v15, v28, v54, v15 op_sel:[1,1,0] op_sel_hi:[1,1,0]
	v_fma_mix_f32 v16, v30, v54, v16 op_sel:[1,1,0] op_sel_hi:[1,1,0]
	s_delay_alu instid0(VALU_DEP_4) | instskip(NEXT) | instid1(VALU_DEP_4)
	v_fma_mix_f32 v17, v32, v54, v17 op_sel:[1,1,0] op_sel_hi:[1,1,0]
	v_fma_mix_f32 v18, v34, v54, v18 op_sel:[1,1,0] op_sel_hi:[1,1,0]
	s_delay_alu instid0(VALU_DEP_4) | instskip(NEXT) | instid1(VALU_DEP_4)
	v_fma_mix_f32 v15, v29, v55, v15 op_sel_hi:[1,1,0]
	v_fma_mix_f32 v16, v31, v55, v16 op_sel_hi:[1,1,0]
	s_delay_alu instid0(VALU_DEP_4) | instskip(NEXT) | instid1(VALU_DEP_4)
	v_fma_mix_f32 v17, v33, v55, v17 op_sel_hi:[1,1,0]
	v_fma_mix_f32 v18, v35, v55, v18 op_sel_hi:[1,1,0]
	s_delay_alu instid0(VALU_DEP_4) | instskip(NEXT) | instid1(VALU_DEP_4)
	v_fma_mix_f32 v15, v29, v55, v15 op_sel:[1,1,0] op_sel_hi:[1,1,0]
	v_fma_mix_f32 v16, v31, v55, v16 op_sel:[1,1,0] op_sel_hi:[1,1,0]
	s_delay_alu instid0(VALU_DEP_4) | instskip(NEXT) | instid1(VALU_DEP_4)
	v_fma_mix_f32 v17, v33, v55, v17 op_sel:[1,1,0] op_sel_hi:[1,1,0]
	v_fma_mix_f32 v18, v35, v55, v18 op_sel:[1,1,0] op_sel_hi:[1,1,0]
	;; [unrolled: 23-line block ×4, first 2 shown]
	s_and_not1_b32 exec_lo, exec_lo, s10
	s_cbranch_execnz .LBB96_21
; %bb.22:
	s_or_b32 exec_lo, exec_lo, s10
.LBB96_23:
	s_delay_alu instid0(SALU_CYCLE_1)
	s_or_b32 exec_lo, exec_lo, s7
.LBB96_24:
	s_delay_alu instid0(SALU_CYCLE_1) | instskip(NEXT) | instid1(SALU_CYCLE_1)
	s_or_b32 exec_lo, exec_lo, s6
	s_and_not1_b32 vcc_lo, exec_lo, s3
	s_cbranch_vccz .LBB96_26
	s_branch .LBB96_37
.LBB96_25:
                                        ; implicit-def: $vgpr20
                                        ; implicit-def: $vgpr22
                                        ; implicit-def: $vgpr23
                                        ; implicit-def: $vgpr21
.LBB96_26:
	v_dual_mov_b32 v20, 0 :: v_dual_mov_b32 v23, 0
	v_dual_mov_b32 v22, 0 :: v_dual_mov_b32 v21, 0
	s_delay_alu instid0(VALU_DEP_4)
	s_and_saveexec_b32 s3, s2
	s_cbranch_execz .LBB96_36
; %bb.27:
	v_or_b32_e32 v9, 8, v19
	v_mov_b32_e32 v21, 0
	v_dual_mov_b32 v23, 0 :: v_dual_mov_b32 v22, 0
	v_mov_b32_e32 v20, 0
	s_delay_alu instid0(VALU_DEP_4) | instskip(NEXT) | instid1(VALU_DEP_1)
	v_sub_co_u32 v9, s2, v9, s18
	v_sub_co_ci_u32_e64 v10, null, 0, 0, s2
	v_sub_co_u32 v11, s2, s18, v19
	s_delay_alu instid0(VALU_DEP_3) | instskip(NEXT) | instid1(VALU_DEP_3)
	v_add_co_u32 v9, vcc_lo, v9, v7
	v_add_co_ci_u32_e32 v10, vcc_lo, v10, v8, vcc_lo
	v_not_b32_e32 v7, v7
	v_not_b32_e32 v8, v8
	v_sub_co_ci_u32_e64 v12, null, 0, 0, s2
	s_delay_alu instid0(VALU_DEP_4) | instskip(SKIP_4) | instid1(VALU_DEP_2)
	v_cmp_gt_i64_e32 vcc_lo, v[9:10], v[2:3]
	s_mov_b32 s2, exec_lo
	v_dual_cndmask_b32 v10, v3, v10 :: v_dual_cndmask_b32 v9, v2, v9
	v_add_co_u32 v7, vcc_lo, v11, v7
	v_add_co_ci_u32_e32 v8, vcc_lo, v12, v8, vcc_lo
	v_add_co_u32 v7, vcc_lo, v7, v9
	s_delay_alu instid0(VALU_DEP_2) | instskip(NEXT) | instid1(VALU_DEP_2)
	v_add_co_ci_u32_e32 v8, vcc_lo, v8, v10, vcc_lo
	v_lshrrev_b32_e32 v9, 3, v7
	s_delay_alu instid0(VALU_DEP_1) | instskip(NEXT) | instid1(VALU_DEP_1)
	v_add_nc_u32_e32 v9, 1, v9
	v_and_b32_e32 v9, 3, v9
	s_delay_alu instid0(VALU_DEP_1)
	v_cmpx_ne_u32_e32 0, v9
	s_cbranch_execz .LBB96_31
; %bb.28:
	v_lshlrev_b64 v[11:12], 2, v[0:1]
	v_dual_mov_b32 v10, 0 :: v_dual_lshlrev_b32 v9, 3, v9
	s_mov_b32 s6, 0
	s_delay_alu instid0(VALU_DEP_1) | instskip(NEXT) | instid1(VALU_DEP_3)
	v_mov_b32_e32 v20, v10
	v_add_co_u32 v11, vcc_lo, s8, v11
	s_delay_alu instid0(VALU_DEP_4)
	v_add_co_ci_u32_e32 v12, vcc_lo, s9, v12, vcc_lo
	v_mov_b32_e32 v22, v10
	v_mov_b32_e32 v23, v10
	;; [unrolled: 1-line block ×3, first 2 shown]
.LBB96_29:                              ; =>This Inner Loop Header: Depth=1
	global_load_b32 v17, v[11:12], off
	global_load_b128 v[13:16], v[5:6], off
	s_waitcnt vmcnt(1)
	v_subrev_nc_u32_e32 v17, s18, v17
	s_delay_alu instid0(VALU_DEP_1) | instskip(NEXT) | instid1(VALU_DEP_1)
	v_lshlrev_b32_e32 v17, 2, v17
	v_ashrrev_i32_e32 v18, 31, v17
	s_delay_alu instid0(VALU_DEP_1) | instskip(SKIP_1) | instid1(VALU_DEP_1)
	v_lshlrev_b64 v[17:18], 1, v[17:18]
	s_waitcnt lgkmcnt(0)
	v_add_co_u32 v17, vcc_lo, s4, v17
	s_delay_alu instid0(VALU_DEP_2)
	v_add_co_ci_u32_e32 v18, vcc_lo, s5, v18, vcc_lo
	global_load_b64 v[17:18], v[17:18], off
	global_load_b128 v[24:27], v[5:6], off offset:16
	v_add_co_u32 v5, vcc_lo, 0x100, v5
	v_add_co_ci_u32_e32 v6, vcc_lo, 0, v6, vcc_lo
	v_add_co_u32 v0, vcc_lo, v0, 8
	v_add_co_ci_u32_e32 v1, vcc_lo, 0, v1, vcc_lo
	;; [unrolled: 2-line block ×3, first 2 shown]
	v_add_co_u32 v9, vcc_lo, v9, -8
	v_add_co_ci_u32_e32 v10, vcc_lo, -1, v10, vcc_lo
	s_delay_alu instid0(VALU_DEP_1)
	v_cmp_eq_u64_e32 vcc_lo, 0, v[9:10]
	s_or_b32 s6, vcc_lo, s6
	s_waitcnt vmcnt(1)
	v_fma_mix_f32 v21, v13, v17, v21 op_sel_hi:[1,1,0]
	v_fma_mix_f32 v13, v13, v17, v23 op_sel:[1,0,0] op_sel_hi:[1,1,0]
	v_fma_mix_f32 v22, v14, v17, v22 op_sel_hi:[1,1,0]
	v_fma_mix_f32 v14, v14, v17, v20 op_sel:[1,0,0] op_sel_hi:[1,1,0]
	s_delay_alu instid0(VALU_DEP_4) | instskip(NEXT) | instid1(VALU_DEP_4)
	v_fma_mix_f32 v20, v15, v17, v21 op_sel:[0,1,0] op_sel_hi:[1,1,0]
	v_fma_mix_f32 v13, v15, v17, v13 op_sel:[1,1,0] op_sel_hi:[1,1,0]
	s_delay_alu instid0(VALU_DEP_4) | instskip(NEXT) | instid1(VALU_DEP_4)
	v_fma_mix_f32 v15, v16, v17, v22 op_sel:[0,1,0] op_sel_hi:[1,1,0]
	v_fma_mix_f32 v14, v16, v17, v14 op_sel:[1,1,0] op_sel_hi:[1,1,0]
	s_waitcnt vmcnt(0)
	v_fma_mix_f32 v16, v24, v18, v20 op_sel_hi:[1,1,0]
	v_fma_mix_f32 v13, v24, v18, v13 op_sel:[1,0,0] op_sel_hi:[1,1,0]
	v_fma_mix_f32 v15, v25, v18, v15 op_sel_hi:[1,1,0]
	v_fma_mix_f32 v14, v25, v18, v14 op_sel:[1,0,0] op_sel_hi:[1,1,0]
	s_delay_alu instid0(VALU_DEP_4) | instskip(NEXT) | instid1(VALU_DEP_4)
	v_fma_mix_f32 v21, v26, v18, v16 op_sel:[0,1,0] op_sel_hi:[1,1,0]
	v_fma_mix_f32 v23, v26, v18, v13 op_sel:[1,1,0] op_sel_hi:[1,1,0]
	s_delay_alu instid0(VALU_DEP_4) | instskip(NEXT) | instid1(VALU_DEP_4)
	v_fma_mix_f32 v22, v27, v18, v15 op_sel:[0,1,0] op_sel_hi:[1,1,0]
	v_fma_mix_f32 v20, v27, v18, v14 op_sel:[1,1,0] op_sel_hi:[1,1,0]
	s_and_not1_b32 exec_lo, exec_lo, s6
	s_cbranch_execnz .LBB96_29
; %bb.30:
	s_or_b32 exec_lo, exec_lo, s6
.LBB96_31:
	s_delay_alu instid0(SALU_CYCLE_1) | instskip(NEXT) | instid1(SALU_CYCLE_1)
	s_or_b32 exec_lo, exec_lo, s2
	s_mov_b32 s2, exec_lo
	v_cmpx_lt_u64_e32 23, v[7:8]
	s_cbranch_execz .LBB96_35
; %bb.32:
	v_lshlrev_b64 v[7:8], 2, v[0:1]
	s_mov_b32 s6, 0
	s_delay_alu instid0(VALU_DEP_1) | instskip(NEXT) | instid1(VALU_DEP_2)
	v_add_co_u32 v7, vcc_lo, v7, s8
	v_add_co_ci_u32_e32 v8, vcc_lo, s9, v8, vcc_lo
	s_delay_alu instid0(VALU_DEP_2) | instskip(NEXT) | instid1(VALU_DEP_2)
	v_add_co_u32 v7, vcc_lo, v7, 64
	v_add_co_ci_u32_e32 v8, vcc_lo, 0, v8, vcc_lo
.LBB96_33:                              ; =>This Inner Loop Header: Depth=1
	s_clause 0x3
	global_load_b32 v17, v[7:8], off offset:-64
	global_load_b32 v18, v[7:8], off offset:-32
	global_load_b32 v44, v[7:8], off
	global_load_b32 v45, v[7:8], off offset:32
	s_clause 0x6
	global_load_b128 v[9:12], v[5:6], off
	global_load_b128 v[13:16], v[5:6], off offset:16
	global_load_b128 v[24:27], v[5:6], off offset:256
	;; [unrolled: 1-line block ×6, first 2 shown]
	s_waitcnt vmcnt(10)
	v_subrev_nc_u32_e32 v17, s18, v17
	s_waitcnt vmcnt(9)
	v_subrev_nc_u32_e32 v18, s18, v18
	;; [unrolled: 2-line block ×4, first 2 shown]
	v_lshlrev_b32_e32 v17, 2, v17
	v_lshlrev_b32_e32 v44, 2, v18
	;; [unrolled: 1-line block ×3, first 2 shown]
	s_delay_alu instid0(VALU_DEP_4) | instskip(NEXT) | instid1(VALU_DEP_4)
	v_lshlrev_b32_e32 v48, 2, v45
	v_ashrrev_i32_e32 v18, 31, v17
	s_delay_alu instid0(VALU_DEP_4) | instskip(NEXT) | instid1(VALU_DEP_4)
	v_ashrrev_i32_e32 v45, 31, v44
	v_ashrrev_i32_e32 v47, 31, v46
	s_delay_alu instid0(VALU_DEP_4) | instskip(NEXT) | instid1(VALU_DEP_4)
	v_ashrrev_i32_e32 v49, 31, v48
	v_lshlrev_b64 v[17:18], 1, v[17:18]
	s_delay_alu instid0(VALU_DEP_4) | instskip(SKIP_1) | instid1(VALU_DEP_2)
	v_lshlrev_b64 v[44:45], 1, v[44:45]
	s_waitcnt lgkmcnt(0)
	v_add_co_u32 v17, vcc_lo, s4, v17
	s_delay_alu instid0(VALU_DEP_3) | instskip(NEXT) | instid1(VALU_DEP_3)
	v_add_co_ci_u32_e32 v18, vcc_lo, s5, v18, vcc_lo
	v_add_co_u32 v44, vcc_lo, s4, v44
	s_delay_alu instid0(VALU_DEP_4) | instskip(SKIP_4) | instid1(VALU_DEP_1)
	v_add_co_ci_u32_e32 v45, vcc_lo, s5, v45, vcc_lo
	s_clause 0x1
	global_load_b64 v[17:18], v[17:18], off
	global_load_b64 v[50:51], v[44:45], off
	v_lshlrev_b64 v[44:45], 1, v[46:47]
	v_add_co_u32 v44, vcc_lo, s4, v44
	s_delay_alu instid0(VALU_DEP_2) | instskip(SKIP_2) | instid1(VALU_DEP_1)
	v_add_co_ci_u32_e32 v45, vcc_lo, s5, v45, vcc_lo
	global_load_b64 v[52:53], v[44:45], off
	v_lshlrev_b64 v[44:45], 1, v[48:49]
	v_add_co_u32 v44, vcc_lo, s4, v44
	s_delay_alu instid0(VALU_DEP_2)
	v_add_co_ci_u32_e32 v45, vcc_lo, s5, v45, vcc_lo
	global_load_b64 v[48:49], v[44:45], off
	global_load_b128 v[44:47], v[5:6], off offset:784
	v_add_co_u32 v5, vcc_lo, 0x400, v5
	v_add_co_ci_u32_e32 v6, vcc_lo, 0, v6, vcc_lo
	v_add_co_u32 v0, vcc_lo, v0, 32
	v_add_co_ci_u32_e32 v1, vcc_lo, 0, v1, vcc_lo
	;; [unrolled: 2-line block ×3, first 2 shown]
	s_delay_alu instid0(VALU_DEP_3)
	v_cmp_ge_i64_e32 vcc_lo, v[0:1], v[2:3]
	s_or_b32 s6, vcc_lo, s6
	s_waitcnt vmcnt(4)
	v_fma_mix_f32 v21, v9, v17, v21 op_sel_hi:[1,1,0]
	v_fma_mix_f32 v9, v9, v17, v23 op_sel:[1,0,0] op_sel_hi:[1,1,0]
	v_fma_mix_f32 v22, v10, v17, v22 op_sel_hi:[1,1,0]
	v_fma_mix_f32 v10, v10, v17, v20 op_sel:[1,0,0] op_sel_hi:[1,1,0]
	s_delay_alu instid0(VALU_DEP_4) | instskip(NEXT) | instid1(VALU_DEP_4)
	v_fma_mix_f32 v20, v11, v17, v21 op_sel:[0,1,0] op_sel_hi:[1,1,0]
	v_fma_mix_f32 v9, v11, v17, v9 op_sel:[1,1,0] op_sel_hi:[1,1,0]
	s_delay_alu instid0(VALU_DEP_4) | instskip(NEXT) | instid1(VALU_DEP_4)
	v_fma_mix_f32 v11, v12, v17, v22 op_sel:[0,1,0] op_sel_hi:[1,1,0]
	v_fma_mix_f32 v10, v12, v17, v10 op_sel:[1,1,0] op_sel_hi:[1,1,0]
	s_delay_alu instid0(VALU_DEP_4) | instskip(NEXT) | instid1(VALU_DEP_4)
	v_fma_mix_f32 v12, v13, v18, v20 op_sel_hi:[1,1,0]
	v_fma_mix_f32 v9, v13, v18, v9 op_sel:[1,0,0] op_sel_hi:[1,1,0]
	s_delay_alu instid0(VALU_DEP_4) | instskip(NEXT) | instid1(VALU_DEP_4)
	v_fma_mix_f32 v11, v14, v18, v11 op_sel_hi:[1,1,0]
	v_fma_mix_f32 v10, v14, v18, v10 op_sel:[1,0,0] op_sel_hi:[1,1,0]
	s_delay_alu instid0(VALU_DEP_4) | instskip(NEXT) | instid1(VALU_DEP_4)
	v_fma_mix_f32 v12, v15, v18, v12 op_sel:[0,1,0] op_sel_hi:[1,1,0]
	v_fma_mix_f32 v9, v15, v18, v9 op_sel:[1,1,0] op_sel_hi:[1,1,0]
	s_delay_alu instid0(VALU_DEP_4) | instskip(NEXT) | instid1(VALU_DEP_4)
	v_fma_mix_f32 v11, v16, v18, v11 op_sel:[0,1,0] op_sel_hi:[1,1,0]
	v_fma_mix_f32 v10, v16, v18, v10 op_sel:[1,1,0] op_sel_hi:[1,1,0]
	s_waitcnt vmcnt(3)
	v_fma_mix_f32 v12, v24, v50, v12 op_sel_hi:[1,1,0]
	v_fma_mix_f32 v9, v24, v50, v9 op_sel:[1,0,0] op_sel_hi:[1,1,0]
	v_fma_mix_f32 v11, v25, v50, v11 op_sel_hi:[1,1,0]
	v_fma_mix_f32 v10, v25, v50, v10 op_sel:[1,0,0] op_sel_hi:[1,1,0]
	s_delay_alu instid0(VALU_DEP_4) | instskip(NEXT) | instid1(VALU_DEP_4)
	v_fma_mix_f32 v12, v26, v50, v12 op_sel:[0,1,0] op_sel_hi:[1,1,0]
	v_fma_mix_f32 v9, v26, v50, v9 op_sel:[1,1,0] op_sel_hi:[1,1,0]
	s_delay_alu instid0(VALU_DEP_4) | instskip(NEXT) | instid1(VALU_DEP_4)
	v_fma_mix_f32 v11, v27, v50, v11 op_sel:[0,1,0] op_sel_hi:[1,1,0]
	v_fma_mix_f32 v10, v27, v50, v10 op_sel:[1,1,0] op_sel_hi:[1,1,0]
	s_delay_alu instid0(VALU_DEP_4) | instskip(NEXT) | instid1(VALU_DEP_4)
	v_fma_mix_f32 v12, v28, v51, v12 op_sel_hi:[1,1,0]
	v_fma_mix_f32 v9, v28, v51, v9 op_sel:[1,0,0] op_sel_hi:[1,1,0]
	s_delay_alu instid0(VALU_DEP_4) | instskip(NEXT) | instid1(VALU_DEP_4)
	v_fma_mix_f32 v11, v29, v51, v11 op_sel_hi:[1,1,0]
	v_fma_mix_f32 v10, v29, v51, v10 op_sel:[1,0,0] op_sel_hi:[1,1,0]
	s_delay_alu instid0(VALU_DEP_4) | instskip(NEXT) | instid1(VALU_DEP_4)
	v_fma_mix_f32 v12, v30, v51, v12 op_sel:[0,1,0] op_sel_hi:[1,1,0]
	v_fma_mix_f32 v9, v30, v51, v9 op_sel:[1,1,0] op_sel_hi:[1,1,0]
	s_delay_alu instid0(VALU_DEP_4) | instskip(NEXT) | instid1(VALU_DEP_4)
	v_fma_mix_f32 v11, v31, v51, v11 op_sel:[0,1,0] op_sel_hi:[1,1,0]
	v_fma_mix_f32 v10, v31, v51, v10 op_sel:[1,1,0] op_sel_hi:[1,1,0]
	;; [unrolled: 23-line block ×3, first 2 shown]
	s_waitcnt vmcnt(1)
	v_fma_mix_f32 v12, v40, v48, v12 op_sel_hi:[1,1,0]
	v_fma_mix_f32 v9, v40, v48, v9 op_sel:[1,0,0] op_sel_hi:[1,1,0]
	v_fma_mix_f32 v11, v41, v48, v11 op_sel_hi:[1,1,0]
	v_fma_mix_f32 v10, v41, v48, v10 op_sel:[1,0,0] op_sel_hi:[1,1,0]
	s_delay_alu instid0(VALU_DEP_4) | instskip(NEXT) | instid1(VALU_DEP_4)
	v_fma_mix_f32 v12, v42, v48, v12 op_sel:[0,1,0] op_sel_hi:[1,1,0]
	v_fma_mix_f32 v9, v42, v48, v9 op_sel:[1,1,0] op_sel_hi:[1,1,0]
	s_delay_alu instid0(VALU_DEP_4) | instskip(NEXT) | instid1(VALU_DEP_4)
	v_fma_mix_f32 v11, v43, v48, v11 op_sel:[0,1,0] op_sel_hi:[1,1,0]
	v_fma_mix_f32 v10, v43, v48, v10 op_sel:[1,1,0] op_sel_hi:[1,1,0]
	s_waitcnt vmcnt(0)
	v_fma_mix_f32 v12, v44, v49, v12 op_sel_hi:[1,1,0]
	v_fma_mix_f32 v9, v44, v49, v9 op_sel:[1,0,0] op_sel_hi:[1,1,0]
	v_fma_mix_f32 v11, v45, v49, v11 op_sel_hi:[1,1,0]
	v_fma_mix_f32 v10, v45, v49, v10 op_sel:[1,0,0] op_sel_hi:[1,1,0]
	s_delay_alu instid0(VALU_DEP_4) | instskip(NEXT) | instid1(VALU_DEP_4)
	v_fma_mix_f32 v21, v46, v49, v12 op_sel:[0,1,0] op_sel_hi:[1,1,0]
	v_fma_mix_f32 v23, v46, v49, v9 op_sel:[1,1,0] op_sel_hi:[1,1,0]
	s_delay_alu instid0(VALU_DEP_4) | instskip(NEXT) | instid1(VALU_DEP_4)
	v_fma_mix_f32 v22, v47, v49, v11 op_sel:[0,1,0] op_sel_hi:[1,1,0]
	v_fma_mix_f32 v20, v47, v49, v10 op_sel:[1,1,0] op_sel_hi:[1,1,0]
	s_and_not1_b32 exec_lo, exec_lo, s6
	s_cbranch_execnz .LBB96_33
; %bb.34:
	s_or_b32 exec_lo, exec_lo, s6
.LBB96_35:
	s_delay_alu instid0(SALU_CYCLE_1)
	s_or_b32 exec_lo, exec_lo, s2
.LBB96_36:
	s_delay_alu instid0(SALU_CYCLE_1)
	s_or_b32 exec_lo, exec_lo, s3
.LBB96_37:
	v_mbcnt_lo_u32_b32 v0, -1, 0
	s_mov_b32 s2, -1
	s_delay_alu instid0(VALU_DEP_1) | instskip(SKIP_2) | instid1(VALU_DEP_3)
	v_xor_b32_e32 v1, 4, v0
	v_xor_b32_e32 v6, 2, v0
	;; [unrolled: 1-line block ×3, first 2 shown]
	v_cmp_gt_i32_e32 vcc_lo, 32, v1
	v_cndmask_b32_e32 v1, v0, v1, vcc_lo
	s_delay_alu instid0(VALU_DEP_4) | instskip(SKIP_2) | instid1(VALU_DEP_2)
	v_cmp_gt_i32_e32 vcc_lo, 32, v6
	v_cndmask_b32_e32 v6, v0, v6, vcc_lo
	v_cmp_gt_i32_e32 vcc_lo, 32, v10
	v_lshlrev_b32_e32 v6, 2, v6
	v_dual_cndmask_b32 v0, v0, v10 :: v_dual_lshlrev_b32 v1, 2, v1
	v_cmp_eq_u32_e32 vcc_lo, 7, v19
	ds_bpermute_b32 v2, v1, v21
	v_lshlrev_b32_e32 v10, 2, v0
	s_waitcnt lgkmcnt(0)
	v_add_f32_e32 v2, v21, v2
	ds_bpermute_b32 v3, v1, v23
	ds_bpermute_b32 v5, v1, v22
	;; [unrolled: 1-line block ×3, first 2 shown]
	s_waitcnt lgkmcnt(2)
	v_add_f32_e32 v3, v23, v3
	s_waitcnt lgkmcnt(1)
	v_add_f32_e32 v5, v22, v5
	;; [unrolled: 2-line block ×3, first 2 shown]
	ds_bpermute_b32 v1, v6, v2
	ds_bpermute_b32 v8, v6, v3
	;; [unrolled: 1-line block ×4, first 2 shown]
	s_waitcnt lgkmcnt(2)
	v_dual_add_f32 v0, v2, v1 :: v_dual_add_f32 v1, v3, v8
	s_waitcnt lgkmcnt(0)
	v_dual_add_f32 v2, v5, v9 :: v_dual_add_f32 v3, v7, v6
	ds_bpermute_b32 v5, v10, v0
	ds_bpermute_b32 v6, v10, v1
	;; [unrolled: 1-line block ×4, first 2 shown]
	s_and_b32 exec_lo, exec_lo, vcc_lo
	s_cbranch_execz .LBB96_10
; %bb.38:
	s_load_b64 s[0:1], s[0:1], 0x50
	s_waitcnt lgkmcnt(0)
	v_dual_add_f32 v0, v0, v5 :: v_dual_add_f32 v1, v1, v6
	v_dual_add_f32 v2, v2, v7 :: v_dual_add_f32 v3, v3, v8
	v_cmp_eq_f32_e64 s3, s12, 0
	s_delay_alu instid0(VALU_DEP_3) | instskip(NEXT) | instid1(VALU_DEP_3)
	v_dual_mul_f32 v0, s16, v0 :: v_dual_mul_f32 v1, s16, v1
	v_dual_mul_f32 v2, s16, v2 :: v_dual_mul_f32 v3, s16, v3
	v_lshlrev_b32_e32 v4, 2, v4
	s_delay_alu instid0(VALU_DEP_4)
	s_and_b32 vcc_lo, exec_lo, s3
	s_cbranch_vccz .LBB96_40
; %bb.39:
	s_delay_alu instid0(VALU_DEP_1) | instskip(SKIP_1) | instid1(VALU_DEP_1)
	v_ashrrev_i32_e32 v5, 31, v4
	s_mov_b32 s2, 0
	v_lshlrev_b64 v[5:6], 2, v[4:5]
	s_delay_alu instid0(VALU_DEP_1) | instskip(NEXT) | instid1(VALU_DEP_2)
	v_add_co_u32 v5, vcc_lo, s0, v5
	v_add_co_ci_u32_e32 v6, vcc_lo, s1, v6, vcc_lo
	global_store_b128 v[5:6], v[0:3], off
.LBB96_40:
	s_and_not1_b32 vcc_lo, exec_lo, s2
	s_cbranch_vccnz .LBB96_10
; %bb.41:
	v_ashrrev_i32_e32 v5, 31, v4
	s_delay_alu instid0(VALU_DEP_1) | instskip(NEXT) | instid1(VALU_DEP_1)
	v_lshlrev_b64 v[4:5], 2, v[4:5]
	v_add_co_u32 v8, vcc_lo, s0, v4
	s_delay_alu instid0(VALU_DEP_2)
	v_add_co_ci_u32_e32 v9, vcc_lo, s1, v5, vcc_lo
	global_load_b128 v[4:7], v[8:9], off
	s_waitcnt vmcnt(0)
	v_dual_fmac_f32 v0, s12, v4 :: v_dual_fmac_f32 v1, s12, v5
	v_dual_fmac_f32 v2, s12, v6 :: v_dual_fmac_f32 v3, s12, v7
	global_store_b128 v[8:9], v[0:3], off
	s_nop 0
	s_sendmsg sendmsg(MSG_DEALLOC_VGPRS)
	s_endpgm
	.section	.rodata,"a",@progbits
	.p2align	6, 0x0
	.amdhsa_kernel _ZN9rocsparseL18bsrxmvn_4x4_kernelILj128ELj8EfliDF16_DF16_fEEvT3_20rocsparse_direction_NS_24const_host_device_scalarIT1_EES1_PKS1_PKT2_SA_S7_PKT4_PKT5_S5_PT6_21rocsparse_index_base_b
		.amdhsa_group_segment_fixed_size 0
		.amdhsa_private_segment_fixed_size 0
		.amdhsa_kernarg_size 96
		.amdhsa_user_sgpr_count 15
		.amdhsa_user_sgpr_dispatch_ptr 0
		.amdhsa_user_sgpr_queue_ptr 0
		.amdhsa_user_sgpr_kernarg_segment_ptr 1
		.amdhsa_user_sgpr_dispatch_id 0
		.amdhsa_user_sgpr_private_segment_size 0
		.amdhsa_wavefront_size32 1
		.amdhsa_uses_dynamic_stack 0
		.amdhsa_enable_private_segment 0
		.amdhsa_system_sgpr_workgroup_id_x 1
		.amdhsa_system_sgpr_workgroup_id_y 0
		.amdhsa_system_sgpr_workgroup_id_z 0
		.amdhsa_system_sgpr_workgroup_info 0
		.amdhsa_system_vgpr_workitem_id 0
		.amdhsa_next_free_vgpr 60
		.amdhsa_next_free_sgpr 20
		.amdhsa_reserve_vcc 1
		.amdhsa_float_round_mode_32 0
		.amdhsa_float_round_mode_16_64 0
		.amdhsa_float_denorm_mode_32 3
		.amdhsa_float_denorm_mode_16_64 3
		.amdhsa_dx10_clamp 1
		.amdhsa_ieee_mode 1
		.amdhsa_fp16_overflow 0
		.amdhsa_workgroup_processor_mode 1
		.amdhsa_memory_ordered 1
		.amdhsa_forward_progress 0
		.amdhsa_shared_vgpr_count 0
		.amdhsa_exception_fp_ieee_invalid_op 0
		.amdhsa_exception_fp_denorm_src 0
		.amdhsa_exception_fp_ieee_div_zero 0
		.amdhsa_exception_fp_ieee_overflow 0
		.amdhsa_exception_fp_ieee_underflow 0
		.amdhsa_exception_fp_ieee_inexact 0
		.amdhsa_exception_int_div_zero 0
	.end_amdhsa_kernel
	.section	.text._ZN9rocsparseL18bsrxmvn_4x4_kernelILj128ELj8EfliDF16_DF16_fEEvT3_20rocsparse_direction_NS_24const_host_device_scalarIT1_EES1_PKS1_PKT2_SA_S7_PKT4_PKT5_S5_PT6_21rocsparse_index_base_b,"axG",@progbits,_ZN9rocsparseL18bsrxmvn_4x4_kernelILj128ELj8EfliDF16_DF16_fEEvT3_20rocsparse_direction_NS_24const_host_device_scalarIT1_EES1_PKS1_PKT2_SA_S7_PKT4_PKT5_S5_PT6_21rocsparse_index_base_b,comdat
.Lfunc_end96:
	.size	_ZN9rocsparseL18bsrxmvn_4x4_kernelILj128ELj8EfliDF16_DF16_fEEvT3_20rocsparse_direction_NS_24const_host_device_scalarIT1_EES1_PKS1_PKT2_SA_S7_PKT4_PKT5_S5_PT6_21rocsparse_index_base_b, .Lfunc_end96-_ZN9rocsparseL18bsrxmvn_4x4_kernelILj128ELj8EfliDF16_DF16_fEEvT3_20rocsparse_direction_NS_24const_host_device_scalarIT1_EES1_PKS1_PKT2_SA_S7_PKT4_PKT5_S5_PT6_21rocsparse_index_base_b
                                        ; -- End function
	.section	.AMDGPU.csdata,"",@progbits
; Kernel info:
; codeLenInByte = 4296
; NumSgprs: 22
; NumVgprs: 60
; ScratchSize: 0
; MemoryBound: 0
; FloatMode: 240
; IeeeMode: 1
; LDSByteSize: 0 bytes/workgroup (compile time only)
; SGPRBlocks: 2
; VGPRBlocks: 7
; NumSGPRsForWavesPerEU: 22
; NumVGPRsForWavesPerEU: 60
; Occupancy: 16
; WaveLimiterHint : 1
; COMPUTE_PGM_RSRC2:SCRATCH_EN: 0
; COMPUTE_PGM_RSRC2:USER_SGPR: 15
; COMPUTE_PGM_RSRC2:TRAP_HANDLER: 0
; COMPUTE_PGM_RSRC2:TGID_X_EN: 1
; COMPUTE_PGM_RSRC2:TGID_Y_EN: 0
; COMPUTE_PGM_RSRC2:TGID_Z_EN: 0
; COMPUTE_PGM_RSRC2:TIDIG_COMP_CNT: 0
	.section	.text._ZN9rocsparseL18bsrxmvn_4x4_kernelILj128ELj16EfliDF16_DF16_fEEvT3_20rocsparse_direction_NS_24const_host_device_scalarIT1_EES1_PKS1_PKT2_SA_S7_PKT4_PKT5_S5_PT6_21rocsparse_index_base_b,"axG",@progbits,_ZN9rocsparseL18bsrxmvn_4x4_kernelILj128ELj16EfliDF16_DF16_fEEvT3_20rocsparse_direction_NS_24const_host_device_scalarIT1_EES1_PKS1_PKT2_SA_S7_PKT4_PKT5_S5_PT6_21rocsparse_index_base_b,comdat
	.globl	_ZN9rocsparseL18bsrxmvn_4x4_kernelILj128ELj16EfliDF16_DF16_fEEvT3_20rocsparse_direction_NS_24const_host_device_scalarIT1_EES1_PKS1_PKT2_SA_S7_PKT4_PKT5_S5_PT6_21rocsparse_index_base_b ; -- Begin function _ZN9rocsparseL18bsrxmvn_4x4_kernelILj128ELj16EfliDF16_DF16_fEEvT3_20rocsparse_direction_NS_24const_host_device_scalarIT1_EES1_PKS1_PKT2_SA_S7_PKT4_PKT5_S5_PT6_21rocsparse_index_base_b
	.p2align	8
	.type	_ZN9rocsparseL18bsrxmvn_4x4_kernelILj128ELj16EfliDF16_DF16_fEEvT3_20rocsparse_direction_NS_24const_host_device_scalarIT1_EES1_PKS1_PKT2_SA_S7_PKT4_PKT5_S5_PT6_21rocsparse_index_base_b,@function
_ZN9rocsparseL18bsrxmvn_4x4_kernelILj128ELj16EfliDF16_DF16_fEEvT3_20rocsparse_direction_NS_24const_host_device_scalarIT1_EES1_PKS1_PKT2_SA_S7_PKT4_PKT5_S5_PT6_21rocsparse_index_base_b: ; @_ZN9rocsparseL18bsrxmvn_4x4_kernelILj128ELj16EfliDF16_DF16_fEEvT3_20rocsparse_direction_NS_24const_host_device_scalarIT1_EES1_PKS1_PKT2_SA_S7_PKT4_PKT5_S5_PT6_21rocsparse_index_base_b
; %bb.0:
	s_clause 0x2
	s_load_b64 s[18:19], s[0:1], 0x58
	s_load_b64 s[16:17], s[0:1], 0x8
	s_load_b64 s[12:13], s[0:1], 0x48
	s_waitcnt lgkmcnt(0)
	s_bitcmp1_b32 s19, 0
	s_cselect_b32 s2, -1, 0
	s_delay_alu instid0(SALU_CYCLE_1)
	s_and_b32 vcc_lo, exec_lo, s2
	s_xor_b32 s2, s2, -1
	s_cbranch_vccnz .LBB97_2
; %bb.1:
	s_load_b32 s16, s[16:17], 0x0
.LBB97_2:
	s_and_not1_b32 vcc_lo, exec_lo, s2
	s_cbranch_vccnz .LBB97_4
; %bb.3:
	s_load_b32 s12, s[12:13], 0x0
.LBB97_4:
	s_waitcnt lgkmcnt(0)
	v_cmp_neq_f32_e64 s2, s16, 0
	v_cmp_neq_f32_e64 s3, s12, 1.0
	s_mov_b32 s6, 0
	s_delay_alu instid0(VALU_DEP_1) | instskip(NEXT) | instid1(SALU_CYCLE_1)
	s_or_b32 s2, s2, s3
	s_and_not1_b32 vcc_lo, exec_lo, s2
	s_cbranch_vccnz .LBB97_10
; %bb.5:
	s_clause 0x1
	s_load_b64 s[4:5], s[0:1], 0x18
	s_load_b64 s[2:3], s[0:1], 0x0
	v_lshrrev_b32_e32 v1, 4, v0
	s_delay_alu instid0(VALU_DEP_1)
	v_lshl_or_b32 v4, s15, 3, v1
	s_waitcnt lgkmcnt(0)
	s_cmp_lg_u64 s[4:5], 0
	s_cbranch_scc0 .LBB97_11
; %bb.6:
	s_load_b32 s6, s[0:1], 0x10
	s_mov_b32 s7, 0
                                        ; implicit-def: $vgpr1
	s_waitcnt lgkmcnt(0)
	v_cmp_gt_i32_e32 vcc_lo, s6, v4
	s_mov_b32 s6, 0
	s_and_saveexec_b32 s8, vcc_lo
	s_delay_alu instid0(SALU_CYCLE_1)
	s_xor_b32 s8, exec_lo, s8
	s_cbranch_execz .LBB97_8
; %bb.7:
	v_ashrrev_i32_e32 v5, 31, v4
	s_mov_b32 s6, exec_lo
	s_delay_alu instid0(VALU_DEP_1) | instskip(NEXT) | instid1(VALU_DEP_1)
	v_lshlrev_b64 v[1:2], 2, v[4:5]
	v_add_co_u32 v1, vcc_lo, s4, v1
	s_delay_alu instid0(VALU_DEP_2)
	v_add_co_ci_u32_e32 v2, vcc_lo, s5, v2, vcc_lo
	global_load_b32 v1, v[1:2], off
	s_waitcnt vmcnt(0)
	v_subrev_nc_u32_e32 v1, s18, v1
.LBB97_8:
	s_or_b32 exec_lo, exec_lo, s8
	s_delay_alu instid0(SALU_CYCLE_1)
	s_and_b32 vcc_lo, exec_lo, s7
	s_cbranch_vccz .LBB97_12
.LBB97_9:
	v_cmp_gt_i32_e32 vcc_lo, s2, v4
	s_and_not1_b32 s2, s6, exec_lo
	s_and_b32 s4, vcc_lo, exec_lo
	s_delay_alu instid0(SALU_CYCLE_1) | instskip(NEXT) | instid1(SALU_CYCLE_1)
	s_or_b32 s6, s2, s4
	s_and_saveexec_b32 s2, s6
	s_cbranch_execnz .LBB97_13
.LBB97_10:
	s_nop 0
	s_sendmsg sendmsg(MSG_DEALLOC_VGPRS)
	s_endpgm
.LBB97_11:
                                        ; implicit-def: $vgpr1
	s_cbranch_execnz .LBB97_9
.LBB97_12:
	s_delay_alu instid0(VALU_DEP_1)
	v_mov_b32_e32 v4, v1
	s_and_saveexec_b32 s2, s6
	s_cbranch_execz .LBB97_10
.LBB97_13:
	s_load_b256 s[4:11], s[0:1], 0x20
	s_delay_alu instid0(VALU_DEP_1) | instskip(SKIP_1) | instid1(VALU_DEP_2)
	v_ashrrev_i32_e32 v5, 31, v4
	v_dual_mov_b32 v20, 0 :: v_dual_and_b32 v19, 15, v0
	v_lshlrev_b64 v[1:2], 3, v[4:5]
	s_waitcnt lgkmcnt(0)
	s_delay_alu instid0(VALU_DEP_1) | instskip(NEXT) | instid1(VALU_DEP_2)
	v_add_co_u32 v5, vcc_lo, s4, v1
	v_add_co_ci_u32_e32 v6, vcc_lo, s5, v2, vcc_lo
	v_add_co_u32 v1, vcc_lo, s6, v1
	v_add_co_ci_u32_e32 v2, vcc_lo, s7, v2, vcc_lo
	s_delay_alu instid0(VALU_DEP_4)
	v_add_co_u32 v3, vcc_lo, v5, 8
	global_load_b64 v[7:8], v[5:6], off
	v_add_co_ci_u32_e32 v9, vcc_lo, 0, v6, vcc_lo
	s_cmp_eq_u64 s[6:7], 0
	s_load_b64 s[4:5], s[0:1], 0x40
	s_cselect_b32 vcc_lo, -1, 0
	s_cmp_eq_u32 s3, 1
	v_dual_cndmask_b32 v2, v2, v9 :: v_dual_cndmask_b32 v1, v1, v3
	s_mov_b32 s3, 0
	global_load_b64 v[2:3], v[1:2], off
	s_waitcnt vmcnt(1)
	v_sub_co_u32 v0, vcc_lo, v7, s18
	v_subrev_co_ci_u32_e32 v1, vcc_lo, 0, v8, vcc_lo
	s_delay_alu instid0(VALU_DEP_2) | instskip(NEXT) | instid1(VALU_DEP_2)
	v_add_co_u32 v0, vcc_lo, v0, v19
	v_add_co_ci_u32_e32 v1, vcc_lo, 0, v1, vcc_lo
	s_delay_alu instid0(VALU_DEP_1) | instskip(SKIP_3) | instid1(VALU_DEP_3)
	v_lshlrev_b64 v[5:6], 5, v[0:1]
	s_waitcnt vmcnt(0)
	v_sub_co_u32 v2, vcc_lo, v2, s18
	v_subrev_co_ci_u32_e32 v3, vcc_lo, 0, v3, vcc_lo
	v_add_co_u32 v5, vcc_lo, s10, v5
	s_delay_alu instid0(VALU_DEP_2)
	v_cmp_lt_i64_e64 s2, v[0:1], v[2:3]
	v_add_co_ci_u32_e32 v6, vcc_lo, s11, v6, vcc_lo
	s_cbranch_scc1 .LBB97_25
; %bb.14:
	v_dual_mov_b32 v22, 0 :: v_dual_mov_b32 v23, 0
	v_mov_b32_e32 v21, 0
	s_delay_alu instid0(VALU_DEP_4)
	s_and_saveexec_b32 s6, s2
	s_cbranch_execz .LBB97_24
; %bb.15:
	v_or_b32_e32 v9, 16, v19
	v_not_b32_e32 v12, v7
	v_not_b32_e32 v11, v8
	v_mov_b32_e32 v23, 0
	v_dual_mov_b32 v21, 0 :: v_dual_mov_b32 v20, 0
	v_sub_co_u32 v9, s7, v9, s18
	s_delay_alu instid0(VALU_DEP_1) | instskip(SKIP_1) | instid1(VALU_DEP_3)
	v_sub_co_ci_u32_e64 v10, null, 0, 0, s7
	v_sub_co_u32 v13, s7, s18, v19
	v_add_co_u32 v9, vcc_lo, v9, v7
	s_delay_alu instid0(VALU_DEP_3) | instskip(SKIP_2) | instid1(VALU_DEP_2)
	v_add_co_ci_u32_e32 v10, vcc_lo, v10, v8, vcc_lo
	v_sub_co_ci_u32_e64 v14, null, 0, 0, s7
	s_mov_b32 s7, exec_lo
	v_cmp_gt_i64_e32 vcc_lo, v[9:10], v[2:3]
	v_mov_b32_e32 v22, 0
	v_dual_cndmask_b32 v10, v3, v10 :: v_dual_cndmask_b32 v9, v2, v9
	v_add_co_u32 v12, vcc_lo, v13, v12
	v_add_co_ci_u32_e32 v11, vcc_lo, v14, v11, vcc_lo
	s_delay_alu instid0(VALU_DEP_2) | instskip(NEXT) | instid1(VALU_DEP_2)
	v_add_co_u32 v13, vcc_lo, v12, v9
	v_add_co_ci_u32_e32 v14, vcc_lo, v11, v10, vcc_lo
	v_mov_b32_e32 v12, v6
	s_delay_alu instid0(VALU_DEP_3) | instskip(SKIP_1) | instid1(VALU_DEP_2)
	v_lshrrev_b32_e32 v9, 4, v13
	v_mov_b32_e32 v11, v5
	v_add_nc_u32_e32 v9, 1, v9
	s_delay_alu instid0(VALU_DEP_1) | instskip(SKIP_1) | instid1(VALU_DEP_2)
	v_dual_mov_b32 v10, v1 :: v_dual_and_b32 v15, 3, v9
	v_mov_b32_e32 v9, v0
	v_cmpx_ne_u32_e32 0, v15
	s_cbranch_execz .LBB97_19
; %bb.16:
	v_lshlrev_b64 v[9:10], 2, v[0:1]
	v_dual_mov_b32 v16, 0 :: v_dual_lshlrev_b32 v15, 3, v15
	v_dual_mov_b32 v12, v6 :: v_dual_mov_b32 v11, v5
	s_mov_b32 s10, 0
	s_delay_alu instid0(VALU_DEP_3) | instskip(NEXT) | instid1(VALU_DEP_4)
	v_add_co_u32 v17, vcc_lo, s8, v9
	v_add_co_ci_u32_e32 v18, vcc_lo, s9, v10, vcc_lo
	v_dual_mov_b32 v10, v1 :: v_dual_mov_b32 v9, v0
	v_mov_b32_e32 v20, v16
	v_mov_b32_e32 v22, v16
	;; [unrolled: 1-line block ×4, first 2 shown]
.LBB97_17:                              ; =>This Inner Loop Header: Depth=1
	global_load_b32 v32, v[17:18], off
	s_clause 0x1
	global_load_b128 v[24:27], v[11:12], off
	global_load_b128 v[28:31], v[11:12], off offset:16
	s_waitcnt vmcnt(2)
	v_subrev_nc_u32_e32 v32, s18, v32
	s_delay_alu instid0(VALU_DEP_1) | instskip(NEXT) | instid1(VALU_DEP_1)
	v_lshlrev_b32_e32 v32, 2, v32
	v_ashrrev_i32_e32 v33, 31, v32
	s_delay_alu instid0(VALU_DEP_1) | instskip(SKIP_1) | instid1(VALU_DEP_1)
	v_lshlrev_b64 v[32:33], 1, v[32:33]
	s_waitcnt lgkmcnt(0)
	v_add_co_u32 v32, vcc_lo, s4, v32
	s_delay_alu instid0(VALU_DEP_2)
	v_add_co_ci_u32_e32 v33, vcc_lo, s5, v33, vcc_lo
	v_add_co_u32 v11, vcc_lo, 0x200, v11
	v_add_co_ci_u32_e32 v12, vcc_lo, 0, v12, vcc_lo
	global_load_b64 v[32:33], v[32:33], off
	v_add_co_u32 v9, vcc_lo, v9, 16
	v_add_co_ci_u32_e32 v10, vcc_lo, 0, v10, vcc_lo
	v_add_co_u32 v17, vcc_lo, v17, 64
	v_add_co_ci_u32_e32 v18, vcc_lo, 0, v18, vcc_lo
	v_add_co_u32 v15, vcc_lo, v15, -8
	v_add_co_ci_u32_e32 v16, vcc_lo, -1, v16, vcc_lo
	s_delay_alu instid0(VALU_DEP_1)
	v_cmp_eq_u64_e32 vcc_lo, 0, v[15:16]
	s_or_b32 s10, vcc_lo, s10
	s_waitcnt vmcnt(0)
	v_fma_mix_f32 v21, v24, v32, v21 op_sel_hi:[1,1,0]
	v_fma_mix_f32 v23, v26, v32, v23 op_sel_hi:[1,1,0]
	;; [unrolled: 1-line block ×4, first 2 shown]
	s_delay_alu instid0(VALU_DEP_4) | instskip(NEXT) | instid1(VALU_DEP_4)
	v_fma_mix_f32 v21, v24, v32, v21 op_sel:[1,1,0] op_sel_hi:[1,1,0]
	v_fma_mix_f32 v23, v26, v32, v23 op_sel:[1,1,0] op_sel_hi:[1,1,0]
	s_delay_alu instid0(VALU_DEP_4) | instskip(NEXT) | instid1(VALU_DEP_4)
	v_fma_mix_f32 v22, v28, v32, v22 op_sel:[1,1,0] op_sel_hi:[1,1,0]
	v_fma_mix_f32 v20, v30, v32, v20 op_sel:[1,1,0] op_sel_hi:[1,1,0]
	s_delay_alu instid0(VALU_DEP_4) | instskip(NEXT) | instid1(VALU_DEP_4)
	v_fma_mix_f32 v21, v25, v33, v21 op_sel_hi:[1,1,0]
	v_fma_mix_f32 v23, v27, v33, v23 op_sel_hi:[1,1,0]
	s_delay_alu instid0(VALU_DEP_4) | instskip(NEXT) | instid1(VALU_DEP_4)
	v_fma_mix_f32 v22, v29, v33, v22 op_sel_hi:[1,1,0]
	v_fma_mix_f32 v20, v31, v33, v20 op_sel_hi:[1,1,0]
	s_delay_alu instid0(VALU_DEP_4) | instskip(NEXT) | instid1(VALU_DEP_4)
	v_fma_mix_f32 v21, v25, v33, v21 op_sel:[1,1,0] op_sel_hi:[1,1,0]
	v_fma_mix_f32 v23, v27, v33, v23 op_sel:[1,1,0] op_sel_hi:[1,1,0]
	s_delay_alu instid0(VALU_DEP_4) | instskip(NEXT) | instid1(VALU_DEP_4)
	v_fma_mix_f32 v22, v29, v33, v22 op_sel:[1,1,0] op_sel_hi:[1,1,0]
	v_fma_mix_f32 v20, v31, v33, v20 op_sel:[1,1,0] op_sel_hi:[1,1,0]
	s_and_not1_b32 exec_lo, exec_lo, s10
	s_cbranch_execnz .LBB97_17
; %bb.18:
	s_or_b32 exec_lo, exec_lo, s10
.LBB97_19:
	s_delay_alu instid0(SALU_CYCLE_1) | instskip(NEXT) | instid1(SALU_CYCLE_1)
	s_or_b32 exec_lo, exec_lo, s7
	s_mov_b32 s7, exec_lo
	v_cmpx_lt_u64_e32 47, v[13:14]
	s_cbranch_execz .LBB97_23
; %bb.20:
	v_lshlrev_b64 v[13:14], 2, v[9:10]
	s_mov_b32 s10, 0
	s_delay_alu instid0(VALU_DEP_1) | instskip(NEXT) | instid1(VALU_DEP_2)
	v_add_co_u32 v13, vcc_lo, v13, s8
	v_add_co_ci_u32_e32 v14, vcc_lo, s9, v14, vcc_lo
	s_delay_alu instid0(VALU_DEP_2) | instskip(NEXT) | instid1(VALU_DEP_2)
	v_add_co_u32 v13, vcc_lo, 0x80, v13
	v_add_co_ci_u32_e32 v14, vcc_lo, 0, v14, vcc_lo
.LBB97_21:                              ; =>This Inner Loop Header: Depth=1
	s_clause 0x3
	global_load_b32 v52, v[13:14], off offset:-128
	global_load_b32 v53, v[13:14], off offset:-64
	global_load_b32 v54, v[13:14], off
	global_load_b32 v55, v[13:14], off offset:64
	s_clause 0x7
	global_load_b128 v[15:18], v[11:12], off
	global_load_b128 v[24:27], v[11:12], off offset:16
	global_load_b128 v[28:31], v[11:12], off offset:512
	;; [unrolled: 1-line block ×7, first 2 shown]
	s_waitcnt vmcnt(11)
	v_subrev_nc_u32_e32 v52, s18, v52
	s_waitcnt vmcnt(10)
	v_subrev_nc_u32_e32 v53, s18, v53
	;; [unrolled: 2-line block ×4, first 2 shown]
	v_lshlrev_b32_e32 v52, 2, v52
	v_lshlrev_b32_e32 v54, 2, v53
	;; [unrolled: 1-line block ×3, first 2 shown]
	s_delay_alu instid0(VALU_DEP_4) | instskip(NEXT) | instid1(VALU_DEP_4)
	v_lshlrev_b32_e32 v58, 2, v55
	v_ashrrev_i32_e32 v53, 31, v52
	s_delay_alu instid0(VALU_DEP_4) | instskip(NEXT) | instid1(VALU_DEP_4)
	v_ashrrev_i32_e32 v55, 31, v54
	v_ashrrev_i32_e32 v57, 31, v56
	s_delay_alu instid0(VALU_DEP_4) | instskip(NEXT) | instid1(VALU_DEP_4)
	v_ashrrev_i32_e32 v59, 31, v58
	v_lshlrev_b64 v[52:53], 1, v[52:53]
	s_delay_alu instid0(VALU_DEP_4) | instskip(NEXT) | instid1(VALU_DEP_4)
	v_lshlrev_b64 v[54:55], 1, v[54:55]
	v_lshlrev_b64 v[56:57], 1, v[56:57]
	s_delay_alu instid0(VALU_DEP_4) | instskip(SKIP_1) | instid1(VALU_DEP_4)
	v_lshlrev_b64 v[58:59], 1, v[58:59]
	s_waitcnt lgkmcnt(0)
	v_add_co_u32 v52, vcc_lo, s4, v52
	v_add_co_ci_u32_e32 v53, vcc_lo, s5, v53, vcc_lo
	v_add_co_u32 v54, vcc_lo, s4, v54
	v_add_co_ci_u32_e32 v55, vcc_lo, s5, v55, vcc_lo
	global_load_b64 v[52:53], v[52:53], off
	v_add_co_u32 v56, vcc_lo, s4, v56
	global_load_b64 v[54:55], v[54:55], off
	v_add_co_ci_u32_e32 v57, vcc_lo, s5, v57, vcc_lo
	v_add_co_u32 v58, vcc_lo, s4, v58
	v_add_co_ci_u32_e32 v59, vcc_lo, s5, v59, vcc_lo
	global_load_b64 v[56:57], v[56:57], off
	v_add_co_u32 v11, vcc_lo, 0x800, v11
	global_load_b64 v[58:59], v[58:59], off
	v_add_co_ci_u32_e32 v12, vcc_lo, 0, v12, vcc_lo
	v_add_co_u32 v9, vcc_lo, v9, 64
	v_add_co_ci_u32_e32 v10, vcc_lo, 0, v10, vcc_lo
	v_add_co_u32 v13, vcc_lo, 0x100, v13
	v_add_co_ci_u32_e32 v14, vcc_lo, 0, v14, vcc_lo
	s_delay_alu instid0(VALU_DEP_3)
	v_cmp_ge_i64_e32 vcc_lo, v[9:10], v[2:3]
	s_or_b32 s10, vcc_lo, s10
	s_waitcnt vmcnt(3)
	v_fma_mix_f32 v21, v15, v52, v21 op_sel_hi:[1,1,0]
	v_fma_mix_f32 v23, v17, v52, v23 op_sel_hi:[1,1,0]
	v_fma_mix_f32 v22, v24, v52, v22 op_sel_hi:[1,1,0]
	v_fma_mix_f32 v20, v26, v52, v20 op_sel_hi:[1,1,0]
	s_delay_alu instid0(VALU_DEP_4) | instskip(NEXT) | instid1(VALU_DEP_4)
	v_fma_mix_f32 v15, v15, v52, v21 op_sel:[1,1,0] op_sel_hi:[1,1,0]
	v_fma_mix_f32 v17, v17, v52, v23 op_sel:[1,1,0] op_sel_hi:[1,1,0]
	s_delay_alu instid0(VALU_DEP_4) | instskip(NEXT) | instid1(VALU_DEP_4)
	v_fma_mix_f32 v21, v24, v52, v22 op_sel:[1,1,0] op_sel_hi:[1,1,0]
	v_fma_mix_f32 v20, v26, v52, v20 op_sel:[1,1,0] op_sel_hi:[1,1,0]
	s_delay_alu instid0(VALU_DEP_4) | instskip(NEXT) | instid1(VALU_DEP_4)
	v_fma_mix_f32 v15, v16, v53, v15 op_sel_hi:[1,1,0]
	v_fma_mix_f32 v17, v18, v53, v17 op_sel_hi:[1,1,0]
	s_delay_alu instid0(VALU_DEP_4) | instskip(NEXT) | instid1(VALU_DEP_4)
	v_fma_mix_f32 v21, v25, v53, v21 op_sel_hi:[1,1,0]
	v_fma_mix_f32 v20, v27, v53, v20 op_sel_hi:[1,1,0]
	s_delay_alu instid0(VALU_DEP_4) | instskip(NEXT) | instid1(VALU_DEP_4)
	v_fma_mix_f32 v15, v16, v53, v15 op_sel:[1,1,0] op_sel_hi:[1,1,0]
	v_fma_mix_f32 v16, v18, v53, v17 op_sel:[1,1,0] op_sel_hi:[1,1,0]
	s_delay_alu instid0(VALU_DEP_4) | instskip(NEXT) | instid1(VALU_DEP_4)
	v_fma_mix_f32 v17, v25, v53, v21 op_sel:[1,1,0] op_sel_hi:[1,1,0]
	v_fma_mix_f32 v18, v27, v53, v20 op_sel:[1,1,0] op_sel_hi:[1,1,0]
	s_waitcnt vmcnt(2)
	v_fma_mix_f32 v15, v28, v54, v15 op_sel_hi:[1,1,0]
	v_fma_mix_f32 v16, v30, v54, v16 op_sel_hi:[1,1,0]
	v_fma_mix_f32 v17, v32, v54, v17 op_sel_hi:[1,1,0]
	v_fma_mix_f32 v18, v34, v54, v18 op_sel_hi:[1,1,0]
	s_delay_alu instid0(VALU_DEP_4) | instskip(NEXT) | instid1(VALU_DEP_4)
	v_fma_mix_f32 v15, v28, v54, v15 op_sel:[1,1,0] op_sel_hi:[1,1,0]
	v_fma_mix_f32 v16, v30, v54, v16 op_sel:[1,1,0] op_sel_hi:[1,1,0]
	s_delay_alu instid0(VALU_DEP_4) | instskip(NEXT) | instid1(VALU_DEP_4)
	v_fma_mix_f32 v17, v32, v54, v17 op_sel:[1,1,0] op_sel_hi:[1,1,0]
	v_fma_mix_f32 v18, v34, v54, v18 op_sel:[1,1,0] op_sel_hi:[1,1,0]
	s_delay_alu instid0(VALU_DEP_4) | instskip(NEXT) | instid1(VALU_DEP_4)
	v_fma_mix_f32 v15, v29, v55, v15 op_sel_hi:[1,1,0]
	v_fma_mix_f32 v16, v31, v55, v16 op_sel_hi:[1,1,0]
	s_delay_alu instid0(VALU_DEP_4) | instskip(NEXT) | instid1(VALU_DEP_4)
	v_fma_mix_f32 v17, v33, v55, v17 op_sel_hi:[1,1,0]
	v_fma_mix_f32 v18, v35, v55, v18 op_sel_hi:[1,1,0]
	s_delay_alu instid0(VALU_DEP_4) | instskip(NEXT) | instid1(VALU_DEP_4)
	v_fma_mix_f32 v15, v29, v55, v15 op_sel:[1,1,0] op_sel_hi:[1,1,0]
	v_fma_mix_f32 v16, v31, v55, v16 op_sel:[1,1,0] op_sel_hi:[1,1,0]
	s_delay_alu instid0(VALU_DEP_4) | instskip(NEXT) | instid1(VALU_DEP_4)
	v_fma_mix_f32 v17, v33, v55, v17 op_sel:[1,1,0] op_sel_hi:[1,1,0]
	v_fma_mix_f32 v18, v35, v55, v18 op_sel:[1,1,0] op_sel_hi:[1,1,0]
	;; [unrolled: 23-line block ×4, first 2 shown]
	s_and_not1_b32 exec_lo, exec_lo, s10
	s_cbranch_execnz .LBB97_21
; %bb.22:
	s_or_b32 exec_lo, exec_lo, s10
.LBB97_23:
	s_delay_alu instid0(SALU_CYCLE_1)
	s_or_b32 exec_lo, exec_lo, s7
.LBB97_24:
	s_delay_alu instid0(SALU_CYCLE_1) | instskip(NEXT) | instid1(SALU_CYCLE_1)
	s_or_b32 exec_lo, exec_lo, s6
	s_and_not1_b32 vcc_lo, exec_lo, s3
	s_cbranch_vccz .LBB97_26
	s_branch .LBB97_37
.LBB97_25:
                                        ; implicit-def: $vgpr20
                                        ; implicit-def: $vgpr22
                                        ; implicit-def: $vgpr23
                                        ; implicit-def: $vgpr21
.LBB97_26:
	v_dual_mov_b32 v20, 0 :: v_dual_mov_b32 v23, 0
	v_dual_mov_b32 v22, 0 :: v_dual_mov_b32 v21, 0
	s_delay_alu instid0(VALU_DEP_4)
	s_and_saveexec_b32 s3, s2
	s_cbranch_execz .LBB97_36
; %bb.27:
	v_or_b32_e32 v9, 16, v19
	v_mov_b32_e32 v21, 0
	v_dual_mov_b32 v23, 0 :: v_dual_mov_b32 v22, 0
	v_mov_b32_e32 v20, 0
	s_delay_alu instid0(VALU_DEP_4) | instskip(NEXT) | instid1(VALU_DEP_1)
	v_sub_co_u32 v9, s2, v9, s18
	v_sub_co_ci_u32_e64 v10, null, 0, 0, s2
	v_sub_co_u32 v11, s2, s18, v19
	s_delay_alu instid0(VALU_DEP_3) | instskip(NEXT) | instid1(VALU_DEP_3)
	v_add_co_u32 v9, vcc_lo, v9, v7
	v_add_co_ci_u32_e32 v10, vcc_lo, v10, v8, vcc_lo
	v_not_b32_e32 v7, v7
	v_not_b32_e32 v8, v8
	v_sub_co_ci_u32_e64 v12, null, 0, 0, s2
	s_delay_alu instid0(VALU_DEP_4) | instskip(SKIP_4) | instid1(VALU_DEP_2)
	v_cmp_gt_i64_e32 vcc_lo, v[9:10], v[2:3]
	s_mov_b32 s2, exec_lo
	v_dual_cndmask_b32 v10, v3, v10 :: v_dual_cndmask_b32 v9, v2, v9
	v_add_co_u32 v7, vcc_lo, v11, v7
	v_add_co_ci_u32_e32 v8, vcc_lo, v12, v8, vcc_lo
	v_add_co_u32 v7, vcc_lo, v7, v9
	s_delay_alu instid0(VALU_DEP_2) | instskip(NEXT) | instid1(VALU_DEP_2)
	v_add_co_ci_u32_e32 v8, vcc_lo, v8, v10, vcc_lo
	v_lshrrev_b32_e32 v9, 4, v7
	s_delay_alu instid0(VALU_DEP_1) | instskip(NEXT) | instid1(VALU_DEP_1)
	v_add_nc_u32_e32 v9, 1, v9
	v_and_b32_e32 v9, 3, v9
	s_delay_alu instid0(VALU_DEP_1)
	v_cmpx_ne_u32_e32 0, v9
	s_cbranch_execz .LBB97_31
; %bb.28:
	v_lshlrev_b64 v[11:12], 2, v[0:1]
	v_dual_mov_b32 v10, 0 :: v_dual_lshlrev_b32 v9, 3, v9
	s_mov_b32 s6, 0
	s_delay_alu instid0(VALU_DEP_1) | instskip(NEXT) | instid1(VALU_DEP_3)
	v_mov_b32_e32 v20, v10
	v_add_co_u32 v11, vcc_lo, s8, v11
	s_delay_alu instid0(VALU_DEP_4)
	v_add_co_ci_u32_e32 v12, vcc_lo, s9, v12, vcc_lo
	v_mov_b32_e32 v22, v10
	v_mov_b32_e32 v23, v10
	;; [unrolled: 1-line block ×3, first 2 shown]
.LBB97_29:                              ; =>This Inner Loop Header: Depth=1
	global_load_b32 v17, v[11:12], off
	global_load_b128 v[13:16], v[5:6], off
	s_waitcnt vmcnt(1)
	v_subrev_nc_u32_e32 v17, s18, v17
	s_delay_alu instid0(VALU_DEP_1) | instskip(NEXT) | instid1(VALU_DEP_1)
	v_lshlrev_b32_e32 v17, 2, v17
	v_ashrrev_i32_e32 v18, 31, v17
	s_delay_alu instid0(VALU_DEP_1) | instskip(SKIP_1) | instid1(VALU_DEP_1)
	v_lshlrev_b64 v[17:18], 1, v[17:18]
	s_waitcnt lgkmcnt(0)
	v_add_co_u32 v17, vcc_lo, s4, v17
	s_delay_alu instid0(VALU_DEP_2)
	v_add_co_ci_u32_e32 v18, vcc_lo, s5, v18, vcc_lo
	global_load_b64 v[17:18], v[17:18], off
	global_load_b128 v[24:27], v[5:6], off offset:16
	v_add_co_u32 v5, vcc_lo, 0x200, v5
	v_add_co_ci_u32_e32 v6, vcc_lo, 0, v6, vcc_lo
	v_add_co_u32 v0, vcc_lo, v0, 16
	v_add_co_ci_u32_e32 v1, vcc_lo, 0, v1, vcc_lo
	;; [unrolled: 2-line block ×3, first 2 shown]
	v_add_co_u32 v9, vcc_lo, v9, -8
	v_add_co_ci_u32_e32 v10, vcc_lo, -1, v10, vcc_lo
	s_delay_alu instid0(VALU_DEP_1)
	v_cmp_eq_u64_e32 vcc_lo, 0, v[9:10]
	s_or_b32 s6, vcc_lo, s6
	s_waitcnt vmcnt(1)
	v_fma_mix_f32 v21, v13, v17, v21 op_sel_hi:[1,1,0]
	v_fma_mix_f32 v13, v13, v17, v23 op_sel:[1,0,0] op_sel_hi:[1,1,0]
	v_fma_mix_f32 v22, v14, v17, v22 op_sel_hi:[1,1,0]
	v_fma_mix_f32 v14, v14, v17, v20 op_sel:[1,0,0] op_sel_hi:[1,1,0]
	s_delay_alu instid0(VALU_DEP_4) | instskip(NEXT) | instid1(VALU_DEP_4)
	v_fma_mix_f32 v20, v15, v17, v21 op_sel:[0,1,0] op_sel_hi:[1,1,0]
	v_fma_mix_f32 v13, v15, v17, v13 op_sel:[1,1,0] op_sel_hi:[1,1,0]
	s_delay_alu instid0(VALU_DEP_4) | instskip(NEXT) | instid1(VALU_DEP_4)
	v_fma_mix_f32 v15, v16, v17, v22 op_sel:[0,1,0] op_sel_hi:[1,1,0]
	v_fma_mix_f32 v14, v16, v17, v14 op_sel:[1,1,0] op_sel_hi:[1,1,0]
	s_waitcnt vmcnt(0)
	v_fma_mix_f32 v16, v24, v18, v20 op_sel_hi:[1,1,0]
	v_fma_mix_f32 v13, v24, v18, v13 op_sel:[1,0,0] op_sel_hi:[1,1,0]
	v_fma_mix_f32 v15, v25, v18, v15 op_sel_hi:[1,1,0]
	v_fma_mix_f32 v14, v25, v18, v14 op_sel:[1,0,0] op_sel_hi:[1,1,0]
	s_delay_alu instid0(VALU_DEP_4) | instskip(NEXT) | instid1(VALU_DEP_4)
	v_fma_mix_f32 v21, v26, v18, v16 op_sel:[0,1,0] op_sel_hi:[1,1,0]
	v_fma_mix_f32 v23, v26, v18, v13 op_sel:[1,1,0] op_sel_hi:[1,1,0]
	s_delay_alu instid0(VALU_DEP_4) | instskip(NEXT) | instid1(VALU_DEP_4)
	v_fma_mix_f32 v22, v27, v18, v15 op_sel:[0,1,0] op_sel_hi:[1,1,0]
	v_fma_mix_f32 v20, v27, v18, v14 op_sel:[1,1,0] op_sel_hi:[1,1,0]
	s_and_not1_b32 exec_lo, exec_lo, s6
	s_cbranch_execnz .LBB97_29
; %bb.30:
	s_or_b32 exec_lo, exec_lo, s6
.LBB97_31:
	s_delay_alu instid0(SALU_CYCLE_1) | instskip(NEXT) | instid1(SALU_CYCLE_1)
	s_or_b32 exec_lo, exec_lo, s2
	s_mov_b32 s2, exec_lo
	v_cmpx_lt_u64_e32 47, v[7:8]
	s_cbranch_execz .LBB97_35
; %bb.32:
	v_lshlrev_b64 v[7:8], 2, v[0:1]
	s_mov_b32 s6, 0
	s_delay_alu instid0(VALU_DEP_1) | instskip(NEXT) | instid1(VALU_DEP_2)
	v_add_co_u32 v7, vcc_lo, v7, s8
	v_add_co_ci_u32_e32 v8, vcc_lo, s9, v8, vcc_lo
	s_delay_alu instid0(VALU_DEP_2) | instskip(NEXT) | instid1(VALU_DEP_2)
	v_add_co_u32 v7, vcc_lo, 0x80, v7
	v_add_co_ci_u32_e32 v8, vcc_lo, 0, v8, vcc_lo
.LBB97_33:                              ; =>This Inner Loop Header: Depth=1
	s_clause 0x3
	global_load_b32 v17, v[7:8], off offset:-128
	global_load_b32 v18, v[7:8], off offset:-64
	global_load_b32 v44, v[7:8], off
	global_load_b32 v45, v[7:8], off offset:64
	s_clause 0x6
	global_load_b128 v[9:12], v[5:6], off
	global_load_b128 v[13:16], v[5:6], off offset:16
	global_load_b128 v[24:27], v[5:6], off offset:512
	;; [unrolled: 1-line block ×6, first 2 shown]
	s_waitcnt vmcnt(10)
	v_subrev_nc_u32_e32 v17, s18, v17
	s_waitcnt vmcnt(9)
	v_subrev_nc_u32_e32 v18, s18, v18
	;; [unrolled: 2-line block ×4, first 2 shown]
	v_lshlrev_b32_e32 v17, 2, v17
	v_lshlrev_b32_e32 v44, 2, v18
	;; [unrolled: 1-line block ×3, first 2 shown]
	s_delay_alu instid0(VALU_DEP_4) | instskip(NEXT) | instid1(VALU_DEP_4)
	v_lshlrev_b32_e32 v48, 2, v45
	v_ashrrev_i32_e32 v18, 31, v17
	s_delay_alu instid0(VALU_DEP_4) | instskip(NEXT) | instid1(VALU_DEP_4)
	v_ashrrev_i32_e32 v45, 31, v44
	v_ashrrev_i32_e32 v47, 31, v46
	s_delay_alu instid0(VALU_DEP_4) | instskip(NEXT) | instid1(VALU_DEP_4)
	v_ashrrev_i32_e32 v49, 31, v48
	v_lshlrev_b64 v[17:18], 1, v[17:18]
	s_delay_alu instid0(VALU_DEP_4) | instskip(SKIP_1) | instid1(VALU_DEP_2)
	v_lshlrev_b64 v[44:45], 1, v[44:45]
	s_waitcnt lgkmcnt(0)
	v_add_co_u32 v17, vcc_lo, s4, v17
	s_delay_alu instid0(VALU_DEP_3) | instskip(NEXT) | instid1(VALU_DEP_3)
	v_add_co_ci_u32_e32 v18, vcc_lo, s5, v18, vcc_lo
	v_add_co_u32 v44, vcc_lo, s4, v44
	s_delay_alu instid0(VALU_DEP_4) | instskip(SKIP_4) | instid1(VALU_DEP_1)
	v_add_co_ci_u32_e32 v45, vcc_lo, s5, v45, vcc_lo
	s_clause 0x1
	global_load_b64 v[17:18], v[17:18], off
	global_load_b64 v[50:51], v[44:45], off
	v_lshlrev_b64 v[44:45], 1, v[46:47]
	v_add_co_u32 v44, vcc_lo, s4, v44
	s_delay_alu instid0(VALU_DEP_2) | instskip(SKIP_2) | instid1(VALU_DEP_1)
	v_add_co_ci_u32_e32 v45, vcc_lo, s5, v45, vcc_lo
	global_load_b64 v[52:53], v[44:45], off
	v_lshlrev_b64 v[44:45], 1, v[48:49]
	v_add_co_u32 v44, vcc_lo, s4, v44
	s_delay_alu instid0(VALU_DEP_2)
	v_add_co_ci_u32_e32 v45, vcc_lo, s5, v45, vcc_lo
	global_load_b64 v[48:49], v[44:45], off
	global_load_b128 v[44:47], v[5:6], off offset:1552
	v_add_co_u32 v5, vcc_lo, 0x800, v5
	v_add_co_ci_u32_e32 v6, vcc_lo, 0, v6, vcc_lo
	v_add_co_u32 v0, vcc_lo, v0, 64
	v_add_co_ci_u32_e32 v1, vcc_lo, 0, v1, vcc_lo
	v_add_co_u32 v7, vcc_lo, 0x100, v7
	v_add_co_ci_u32_e32 v8, vcc_lo, 0, v8, vcc_lo
	s_delay_alu instid0(VALU_DEP_3)
	v_cmp_ge_i64_e32 vcc_lo, v[0:1], v[2:3]
	s_or_b32 s6, vcc_lo, s6
	s_waitcnt vmcnt(4)
	v_fma_mix_f32 v21, v9, v17, v21 op_sel_hi:[1,1,0]
	v_fma_mix_f32 v9, v9, v17, v23 op_sel:[1,0,0] op_sel_hi:[1,1,0]
	v_fma_mix_f32 v22, v10, v17, v22 op_sel_hi:[1,1,0]
	v_fma_mix_f32 v10, v10, v17, v20 op_sel:[1,0,0] op_sel_hi:[1,1,0]
	s_delay_alu instid0(VALU_DEP_4) | instskip(NEXT) | instid1(VALU_DEP_4)
	v_fma_mix_f32 v20, v11, v17, v21 op_sel:[0,1,0] op_sel_hi:[1,1,0]
	v_fma_mix_f32 v9, v11, v17, v9 op_sel:[1,1,0] op_sel_hi:[1,1,0]
	s_delay_alu instid0(VALU_DEP_4) | instskip(NEXT) | instid1(VALU_DEP_4)
	v_fma_mix_f32 v11, v12, v17, v22 op_sel:[0,1,0] op_sel_hi:[1,1,0]
	v_fma_mix_f32 v10, v12, v17, v10 op_sel:[1,1,0] op_sel_hi:[1,1,0]
	s_delay_alu instid0(VALU_DEP_4) | instskip(NEXT) | instid1(VALU_DEP_4)
	v_fma_mix_f32 v12, v13, v18, v20 op_sel_hi:[1,1,0]
	v_fma_mix_f32 v9, v13, v18, v9 op_sel:[1,0,0] op_sel_hi:[1,1,0]
	s_delay_alu instid0(VALU_DEP_4) | instskip(NEXT) | instid1(VALU_DEP_4)
	v_fma_mix_f32 v11, v14, v18, v11 op_sel_hi:[1,1,0]
	v_fma_mix_f32 v10, v14, v18, v10 op_sel:[1,0,0] op_sel_hi:[1,1,0]
	s_delay_alu instid0(VALU_DEP_4) | instskip(NEXT) | instid1(VALU_DEP_4)
	v_fma_mix_f32 v12, v15, v18, v12 op_sel:[0,1,0] op_sel_hi:[1,1,0]
	v_fma_mix_f32 v9, v15, v18, v9 op_sel:[1,1,0] op_sel_hi:[1,1,0]
	s_delay_alu instid0(VALU_DEP_4) | instskip(NEXT) | instid1(VALU_DEP_4)
	v_fma_mix_f32 v11, v16, v18, v11 op_sel:[0,1,0] op_sel_hi:[1,1,0]
	v_fma_mix_f32 v10, v16, v18, v10 op_sel:[1,1,0] op_sel_hi:[1,1,0]
	s_waitcnt vmcnt(3)
	v_fma_mix_f32 v12, v24, v50, v12 op_sel_hi:[1,1,0]
	v_fma_mix_f32 v9, v24, v50, v9 op_sel:[1,0,0] op_sel_hi:[1,1,0]
	v_fma_mix_f32 v11, v25, v50, v11 op_sel_hi:[1,1,0]
	v_fma_mix_f32 v10, v25, v50, v10 op_sel:[1,0,0] op_sel_hi:[1,1,0]
	s_delay_alu instid0(VALU_DEP_4) | instskip(NEXT) | instid1(VALU_DEP_4)
	v_fma_mix_f32 v12, v26, v50, v12 op_sel:[0,1,0] op_sel_hi:[1,1,0]
	v_fma_mix_f32 v9, v26, v50, v9 op_sel:[1,1,0] op_sel_hi:[1,1,0]
	s_delay_alu instid0(VALU_DEP_4) | instskip(NEXT) | instid1(VALU_DEP_4)
	v_fma_mix_f32 v11, v27, v50, v11 op_sel:[0,1,0] op_sel_hi:[1,1,0]
	v_fma_mix_f32 v10, v27, v50, v10 op_sel:[1,1,0] op_sel_hi:[1,1,0]
	s_delay_alu instid0(VALU_DEP_4) | instskip(NEXT) | instid1(VALU_DEP_4)
	v_fma_mix_f32 v12, v28, v51, v12 op_sel_hi:[1,1,0]
	v_fma_mix_f32 v9, v28, v51, v9 op_sel:[1,0,0] op_sel_hi:[1,1,0]
	s_delay_alu instid0(VALU_DEP_4) | instskip(NEXT) | instid1(VALU_DEP_4)
	v_fma_mix_f32 v11, v29, v51, v11 op_sel_hi:[1,1,0]
	v_fma_mix_f32 v10, v29, v51, v10 op_sel:[1,0,0] op_sel_hi:[1,1,0]
	s_delay_alu instid0(VALU_DEP_4) | instskip(NEXT) | instid1(VALU_DEP_4)
	v_fma_mix_f32 v12, v30, v51, v12 op_sel:[0,1,0] op_sel_hi:[1,1,0]
	v_fma_mix_f32 v9, v30, v51, v9 op_sel:[1,1,0] op_sel_hi:[1,1,0]
	s_delay_alu instid0(VALU_DEP_4) | instskip(NEXT) | instid1(VALU_DEP_4)
	v_fma_mix_f32 v11, v31, v51, v11 op_sel:[0,1,0] op_sel_hi:[1,1,0]
	v_fma_mix_f32 v10, v31, v51, v10 op_sel:[1,1,0] op_sel_hi:[1,1,0]
	;; [unrolled: 23-line block ×3, first 2 shown]
	s_waitcnt vmcnt(1)
	v_fma_mix_f32 v12, v40, v48, v12 op_sel_hi:[1,1,0]
	v_fma_mix_f32 v9, v40, v48, v9 op_sel:[1,0,0] op_sel_hi:[1,1,0]
	v_fma_mix_f32 v11, v41, v48, v11 op_sel_hi:[1,1,0]
	v_fma_mix_f32 v10, v41, v48, v10 op_sel:[1,0,0] op_sel_hi:[1,1,0]
	s_delay_alu instid0(VALU_DEP_4) | instskip(NEXT) | instid1(VALU_DEP_4)
	v_fma_mix_f32 v12, v42, v48, v12 op_sel:[0,1,0] op_sel_hi:[1,1,0]
	v_fma_mix_f32 v9, v42, v48, v9 op_sel:[1,1,0] op_sel_hi:[1,1,0]
	s_delay_alu instid0(VALU_DEP_4) | instskip(NEXT) | instid1(VALU_DEP_4)
	v_fma_mix_f32 v11, v43, v48, v11 op_sel:[0,1,0] op_sel_hi:[1,1,0]
	v_fma_mix_f32 v10, v43, v48, v10 op_sel:[1,1,0] op_sel_hi:[1,1,0]
	s_waitcnt vmcnt(0)
	v_fma_mix_f32 v12, v44, v49, v12 op_sel_hi:[1,1,0]
	v_fma_mix_f32 v9, v44, v49, v9 op_sel:[1,0,0] op_sel_hi:[1,1,0]
	v_fma_mix_f32 v11, v45, v49, v11 op_sel_hi:[1,1,0]
	v_fma_mix_f32 v10, v45, v49, v10 op_sel:[1,0,0] op_sel_hi:[1,1,0]
	s_delay_alu instid0(VALU_DEP_4) | instskip(NEXT) | instid1(VALU_DEP_4)
	v_fma_mix_f32 v21, v46, v49, v12 op_sel:[0,1,0] op_sel_hi:[1,1,0]
	v_fma_mix_f32 v23, v46, v49, v9 op_sel:[1,1,0] op_sel_hi:[1,1,0]
	s_delay_alu instid0(VALU_DEP_4) | instskip(NEXT) | instid1(VALU_DEP_4)
	v_fma_mix_f32 v22, v47, v49, v11 op_sel:[0,1,0] op_sel_hi:[1,1,0]
	v_fma_mix_f32 v20, v47, v49, v10 op_sel:[1,1,0] op_sel_hi:[1,1,0]
	s_and_not1_b32 exec_lo, exec_lo, s6
	s_cbranch_execnz .LBB97_33
; %bb.34:
	s_or_b32 exec_lo, exec_lo, s6
.LBB97_35:
	s_delay_alu instid0(SALU_CYCLE_1)
	s_or_b32 exec_lo, exec_lo, s2
.LBB97_36:
	s_delay_alu instid0(SALU_CYCLE_1)
	s_or_b32 exec_lo, exec_lo, s3
.LBB97_37:
	v_mbcnt_lo_u32_b32 v0, -1, 0
	s_mov_b32 s2, -1
	s_delay_alu instid0(VALU_DEP_1) | instskip(SKIP_2) | instid1(VALU_DEP_3)
	v_xor_b32_e32 v1, 8, v0
	v_xor_b32_e32 v6, 4, v0
	;; [unrolled: 1-line block ×3, first 2 shown]
	v_cmp_gt_i32_e32 vcc_lo, 32, v1
	v_cndmask_b32_e32 v1, v0, v1, vcc_lo
	s_delay_alu instid0(VALU_DEP_4) | instskip(SKIP_2) | instid1(VALU_DEP_2)
	v_cmp_gt_i32_e32 vcc_lo, 32, v6
	v_cndmask_b32_e32 v6, v0, v6, vcc_lo
	v_cmp_gt_i32_e32 vcc_lo, 32, v10
	v_lshlrev_b32_e32 v6, 2, v6
	v_dual_cndmask_b32 v10, v0, v10 :: v_dual_lshlrev_b32 v1, 2, v1
	ds_bpermute_b32 v2, v1, v21
	v_lshlrev_b32_e32 v10, 2, v10
	s_waitcnt lgkmcnt(0)
	v_add_f32_e32 v2, v21, v2
	ds_bpermute_b32 v3, v1, v23
	ds_bpermute_b32 v5, v1, v22
	;; [unrolled: 1-line block ×4, first 2 shown]
	s_waitcnt lgkmcnt(3)
	v_add_f32_e32 v3, v23, v3
	s_waitcnt lgkmcnt(2)
	v_add_f32_e32 v5, v22, v5
	;; [unrolled: 2-line block ×3, first 2 shown]
	ds_bpermute_b32 v8, v6, v3
	ds_bpermute_b32 v9, v6, v5
	;; [unrolled: 1-line block ×3, first 2 shown]
	s_waitcnt lgkmcnt(2)
	v_dual_add_f32 v2, v2, v7 :: v_dual_add_f32 v3, v3, v8
	s_waitcnt lgkmcnt(1)
	v_add_f32_e32 v5, v5, v9
	ds_bpermute_b32 v7, v10, v3
	s_waitcnt lgkmcnt(1)
	v_add_f32_e32 v6, v1, v6
	ds_bpermute_b32 v1, v10, v2
	ds_bpermute_b32 v8, v10, v5
	ds_bpermute_b32 v9, v10, v6
	v_xor_b32_e32 v10, 1, v0
	s_delay_alu instid0(VALU_DEP_1) | instskip(SKIP_2) | instid1(VALU_DEP_2)
	v_cmp_gt_i32_e32 vcc_lo, 32, v10
	v_cndmask_b32_e32 v0, v0, v10, vcc_lo
	v_cmp_eq_u32_e32 vcc_lo, 15, v19
	v_lshlrev_b32_e32 v10, 2, v0
	s_waitcnt lgkmcnt(2)
	v_dual_add_f32 v0, v2, v1 :: v_dual_add_f32 v1, v3, v7
	s_waitcnt lgkmcnt(0)
	v_dual_add_f32 v2, v5, v8 :: v_dual_add_f32 v3, v6, v9
	ds_bpermute_b32 v5, v10, v0
	ds_bpermute_b32 v6, v10, v1
	ds_bpermute_b32 v7, v10, v2
	ds_bpermute_b32 v8, v10, v3
	s_and_b32 exec_lo, exec_lo, vcc_lo
	s_cbranch_execz .LBB97_10
; %bb.38:
	s_load_b64 s[0:1], s[0:1], 0x50
	s_waitcnt lgkmcnt(0)
	v_dual_add_f32 v0, v0, v5 :: v_dual_add_f32 v1, v1, v6
	v_dual_add_f32 v2, v2, v7 :: v_dual_add_f32 v3, v3, v8
	v_cmp_eq_f32_e64 s3, s12, 0
	s_delay_alu instid0(VALU_DEP_3) | instskip(NEXT) | instid1(VALU_DEP_3)
	v_dual_mul_f32 v0, s16, v0 :: v_dual_mul_f32 v1, s16, v1
	v_dual_mul_f32 v2, s16, v2 :: v_dual_mul_f32 v3, s16, v3
	v_lshlrev_b32_e32 v4, 2, v4
	s_delay_alu instid0(VALU_DEP_4)
	s_and_b32 vcc_lo, exec_lo, s3
	s_cbranch_vccz .LBB97_40
; %bb.39:
	s_delay_alu instid0(VALU_DEP_1) | instskip(SKIP_1) | instid1(VALU_DEP_1)
	v_ashrrev_i32_e32 v5, 31, v4
	s_mov_b32 s2, 0
	v_lshlrev_b64 v[5:6], 2, v[4:5]
	s_delay_alu instid0(VALU_DEP_1) | instskip(NEXT) | instid1(VALU_DEP_2)
	v_add_co_u32 v5, vcc_lo, s0, v5
	v_add_co_ci_u32_e32 v6, vcc_lo, s1, v6, vcc_lo
	global_store_b128 v[5:6], v[0:3], off
.LBB97_40:
	s_and_not1_b32 vcc_lo, exec_lo, s2
	s_cbranch_vccnz .LBB97_10
; %bb.41:
	v_ashrrev_i32_e32 v5, 31, v4
	s_delay_alu instid0(VALU_DEP_1) | instskip(NEXT) | instid1(VALU_DEP_1)
	v_lshlrev_b64 v[4:5], 2, v[4:5]
	v_add_co_u32 v8, vcc_lo, s0, v4
	s_delay_alu instid0(VALU_DEP_2)
	v_add_co_ci_u32_e32 v9, vcc_lo, s1, v5, vcc_lo
	global_load_b128 v[4:7], v[8:9], off
	s_waitcnt vmcnt(0)
	v_dual_fmac_f32 v0, s12, v4 :: v_dual_fmac_f32 v1, s12, v5
	v_dual_fmac_f32 v2, s12, v6 :: v_dual_fmac_f32 v3, s12, v7
	global_store_b128 v[8:9], v[0:3], off
	s_nop 0
	s_sendmsg sendmsg(MSG_DEALLOC_VGPRS)
	s_endpgm
	.section	.rodata,"a",@progbits
	.p2align	6, 0x0
	.amdhsa_kernel _ZN9rocsparseL18bsrxmvn_4x4_kernelILj128ELj16EfliDF16_DF16_fEEvT3_20rocsparse_direction_NS_24const_host_device_scalarIT1_EES1_PKS1_PKT2_SA_S7_PKT4_PKT5_S5_PT6_21rocsparse_index_base_b
		.amdhsa_group_segment_fixed_size 0
		.amdhsa_private_segment_fixed_size 0
		.amdhsa_kernarg_size 96
		.amdhsa_user_sgpr_count 15
		.amdhsa_user_sgpr_dispatch_ptr 0
		.amdhsa_user_sgpr_queue_ptr 0
		.amdhsa_user_sgpr_kernarg_segment_ptr 1
		.amdhsa_user_sgpr_dispatch_id 0
		.amdhsa_user_sgpr_private_segment_size 0
		.amdhsa_wavefront_size32 1
		.amdhsa_uses_dynamic_stack 0
		.amdhsa_enable_private_segment 0
		.amdhsa_system_sgpr_workgroup_id_x 1
		.amdhsa_system_sgpr_workgroup_id_y 0
		.amdhsa_system_sgpr_workgroup_id_z 0
		.amdhsa_system_sgpr_workgroup_info 0
		.amdhsa_system_vgpr_workitem_id 0
		.amdhsa_next_free_vgpr 60
		.amdhsa_next_free_sgpr 20
		.amdhsa_reserve_vcc 1
		.amdhsa_float_round_mode_32 0
		.amdhsa_float_round_mode_16_64 0
		.amdhsa_float_denorm_mode_32 3
		.amdhsa_float_denorm_mode_16_64 3
		.amdhsa_dx10_clamp 1
		.amdhsa_ieee_mode 1
		.amdhsa_fp16_overflow 0
		.amdhsa_workgroup_processor_mode 1
		.amdhsa_memory_ordered 1
		.amdhsa_forward_progress 0
		.amdhsa_shared_vgpr_count 0
		.amdhsa_exception_fp_ieee_invalid_op 0
		.amdhsa_exception_fp_denorm_src 0
		.amdhsa_exception_fp_ieee_div_zero 0
		.amdhsa_exception_fp_ieee_overflow 0
		.amdhsa_exception_fp_ieee_underflow 0
		.amdhsa_exception_fp_ieee_inexact 0
		.amdhsa_exception_int_div_zero 0
	.end_amdhsa_kernel
	.section	.text._ZN9rocsparseL18bsrxmvn_4x4_kernelILj128ELj16EfliDF16_DF16_fEEvT3_20rocsparse_direction_NS_24const_host_device_scalarIT1_EES1_PKS1_PKT2_SA_S7_PKT4_PKT5_S5_PT6_21rocsparse_index_base_b,"axG",@progbits,_ZN9rocsparseL18bsrxmvn_4x4_kernelILj128ELj16EfliDF16_DF16_fEEvT3_20rocsparse_direction_NS_24const_host_device_scalarIT1_EES1_PKS1_PKT2_SA_S7_PKT4_PKT5_S5_PT6_21rocsparse_index_base_b,comdat
.Lfunc_end97:
	.size	_ZN9rocsparseL18bsrxmvn_4x4_kernelILj128ELj16EfliDF16_DF16_fEEvT3_20rocsparse_direction_NS_24const_host_device_scalarIT1_EES1_PKS1_PKT2_SA_S7_PKT4_PKT5_S5_PT6_21rocsparse_index_base_b, .Lfunc_end97-_ZN9rocsparseL18bsrxmvn_4x4_kernelILj128ELj16EfliDF16_DF16_fEEvT3_20rocsparse_direction_NS_24const_host_device_scalarIT1_EES1_PKS1_PKT2_SA_S7_PKT4_PKT5_S5_PT6_21rocsparse_index_base_b
                                        ; -- End function
	.section	.AMDGPU.csdata,"",@progbits
; Kernel info:
; codeLenInByte = 4384
; NumSgprs: 22
; NumVgprs: 60
; ScratchSize: 0
; MemoryBound: 0
; FloatMode: 240
; IeeeMode: 1
; LDSByteSize: 0 bytes/workgroup (compile time only)
; SGPRBlocks: 2
; VGPRBlocks: 7
; NumSGPRsForWavesPerEU: 22
; NumVGPRsForWavesPerEU: 60
; Occupancy: 16
; WaveLimiterHint : 1
; COMPUTE_PGM_RSRC2:SCRATCH_EN: 0
; COMPUTE_PGM_RSRC2:USER_SGPR: 15
; COMPUTE_PGM_RSRC2:TRAP_HANDLER: 0
; COMPUTE_PGM_RSRC2:TGID_X_EN: 1
; COMPUTE_PGM_RSRC2:TGID_Y_EN: 0
; COMPUTE_PGM_RSRC2:TGID_Z_EN: 0
; COMPUTE_PGM_RSRC2:TIDIG_COMP_CNT: 0
	.section	.text._ZN9rocsparseL18bsrxmvn_4x4_kernelILj128ELj32EfliDF16_DF16_fEEvT3_20rocsparse_direction_NS_24const_host_device_scalarIT1_EES1_PKS1_PKT2_SA_S7_PKT4_PKT5_S5_PT6_21rocsparse_index_base_b,"axG",@progbits,_ZN9rocsparseL18bsrxmvn_4x4_kernelILj128ELj32EfliDF16_DF16_fEEvT3_20rocsparse_direction_NS_24const_host_device_scalarIT1_EES1_PKS1_PKT2_SA_S7_PKT4_PKT5_S5_PT6_21rocsparse_index_base_b,comdat
	.globl	_ZN9rocsparseL18bsrxmvn_4x4_kernelILj128ELj32EfliDF16_DF16_fEEvT3_20rocsparse_direction_NS_24const_host_device_scalarIT1_EES1_PKS1_PKT2_SA_S7_PKT4_PKT5_S5_PT6_21rocsparse_index_base_b ; -- Begin function _ZN9rocsparseL18bsrxmvn_4x4_kernelILj128ELj32EfliDF16_DF16_fEEvT3_20rocsparse_direction_NS_24const_host_device_scalarIT1_EES1_PKS1_PKT2_SA_S7_PKT4_PKT5_S5_PT6_21rocsparse_index_base_b
	.p2align	8
	.type	_ZN9rocsparseL18bsrxmvn_4x4_kernelILj128ELj32EfliDF16_DF16_fEEvT3_20rocsparse_direction_NS_24const_host_device_scalarIT1_EES1_PKS1_PKT2_SA_S7_PKT4_PKT5_S5_PT6_21rocsparse_index_base_b,@function
_ZN9rocsparseL18bsrxmvn_4x4_kernelILj128ELj32EfliDF16_DF16_fEEvT3_20rocsparse_direction_NS_24const_host_device_scalarIT1_EES1_PKS1_PKT2_SA_S7_PKT4_PKT5_S5_PT6_21rocsparse_index_base_b: ; @_ZN9rocsparseL18bsrxmvn_4x4_kernelILj128ELj32EfliDF16_DF16_fEEvT3_20rocsparse_direction_NS_24const_host_device_scalarIT1_EES1_PKS1_PKT2_SA_S7_PKT4_PKT5_S5_PT6_21rocsparse_index_base_b
; %bb.0:
	s_clause 0x2
	s_load_b64 s[18:19], s[0:1], 0x58
	s_load_b64 s[16:17], s[0:1], 0x8
	;; [unrolled: 1-line block ×3, first 2 shown]
	s_waitcnt lgkmcnt(0)
	s_bitcmp1_b32 s19, 0
	s_cselect_b32 s2, -1, 0
	s_delay_alu instid0(SALU_CYCLE_1)
	s_and_b32 vcc_lo, exec_lo, s2
	s_xor_b32 s2, s2, -1
	s_cbranch_vccnz .LBB98_2
; %bb.1:
	s_load_b32 s16, s[16:17], 0x0
.LBB98_2:
	s_and_not1_b32 vcc_lo, exec_lo, s2
	s_cbranch_vccnz .LBB98_4
; %bb.3:
	s_load_b32 s12, s[12:13], 0x0
.LBB98_4:
	s_waitcnt lgkmcnt(0)
	v_cmp_neq_f32_e64 s2, s16, 0
	v_cmp_neq_f32_e64 s3, s12, 1.0
	s_mov_b32 s6, 0
	s_delay_alu instid0(VALU_DEP_1) | instskip(NEXT) | instid1(SALU_CYCLE_1)
	s_or_b32 s2, s2, s3
	s_and_not1_b32 vcc_lo, exec_lo, s2
	s_cbranch_vccnz .LBB98_10
; %bb.5:
	s_clause 0x1
	s_load_b64 s[4:5], s[0:1], 0x18
	s_load_b64 s[2:3], s[0:1], 0x0
	v_lshrrev_b32_e32 v1, 5, v0
	s_delay_alu instid0(VALU_DEP_1)
	v_lshl_or_b32 v4, s15, 2, v1
	s_waitcnt lgkmcnt(0)
	s_cmp_lg_u64 s[4:5], 0
	s_cbranch_scc0 .LBB98_11
; %bb.6:
	s_load_b32 s6, s[0:1], 0x10
	s_mov_b32 s7, 0
                                        ; implicit-def: $vgpr1
	s_waitcnt lgkmcnt(0)
	v_cmp_gt_i32_e32 vcc_lo, s6, v4
	s_mov_b32 s6, 0
	s_and_saveexec_b32 s8, vcc_lo
	s_delay_alu instid0(SALU_CYCLE_1)
	s_xor_b32 s8, exec_lo, s8
	s_cbranch_execz .LBB98_8
; %bb.7:
	v_ashrrev_i32_e32 v5, 31, v4
	s_mov_b32 s6, exec_lo
	s_delay_alu instid0(VALU_DEP_1) | instskip(NEXT) | instid1(VALU_DEP_1)
	v_lshlrev_b64 v[1:2], 2, v[4:5]
	v_add_co_u32 v1, vcc_lo, s4, v1
	s_delay_alu instid0(VALU_DEP_2)
	v_add_co_ci_u32_e32 v2, vcc_lo, s5, v2, vcc_lo
	global_load_b32 v1, v[1:2], off
	s_waitcnt vmcnt(0)
	v_subrev_nc_u32_e32 v1, s18, v1
.LBB98_8:
	s_or_b32 exec_lo, exec_lo, s8
	s_delay_alu instid0(SALU_CYCLE_1)
	s_and_b32 vcc_lo, exec_lo, s7
	s_cbranch_vccz .LBB98_12
.LBB98_9:
	v_cmp_gt_i32_e32 vcc_lo, s2, v4
	s_and_not1_b32 s2, s6, exec_lo
	s_and_b32 s4, vcc_lo, exec_lo
	s_delay_alu instid0(SALU_CYCLE_1) | instskip(NEXT) | instid1(SALU_CYCLE_1)
	s_or_b32 s6, s2, s4
	s_and_saveexec_b32 s2, s6
	s_cbranch_execnz .LBB98_13
.LBB98_10:
	s_nop 0
	s_sendmsg sendmsg(MSG_DEALLOC_VGPRS)
	s_endpgm
.LBB98_11:
                                        ; implicit-def: $vgpr1
	s_cbranch_execnz .LBB98_9
.LBB98_12:
	s_delay_alu instid0(VALU_DEP_1)
	v_mov_b32_e32 v4, v1
	s_and_saveexec_b32 s2, s6
	s_cbranch_execz .LBB98_10
.LBB98_13:
	s_load_b256 s[4:11], s[0:1], 0x20
	s_delay_alu instid0(VALU_DEP_1) | instskip(SKIP_1) | instid1(VALU_DEP_2)
	v_ashrrev_i32_e32 v5, 31, v4
	v_dual_mov_b32 v20, 0 :: v_dual_and_b32 v19, 31, v0
	v_lshlrev_b64 v[1:2], 3, v[4:5]
	s_waitcnt lgkmcnt(0)
	s_delay_alu instid0(VALU_DEP_1) | instskip(NEXT) | instid1(VALU_DEP_2)
	v_add_co_u32 v5, vcc_lo, s4, v1
	v_add_co_ci_u32_e32 v6, vcc_lo, s5, v2, vcc_lo
	v_add_co_u32 v1, vcc_lo, s6, v1
	v_add_co_ci_u32_e32 v2, vcc_lo, s7, v2, vcc_lo
	s_delay_alu instid0(VALU_DEP_4)
	v_add_co_u32 v3, vcc_lo, v5, 8
	global_load_b64 v[7:8], v[5:6], off
	v_add_co_ci_u32_e32 v9, vcc_lo, 0, v6, vcc_lo
	s_cmp_eq_u64 s[6:7], 0
	s_load_b64 s[4:5], s[0:1], 0x40
	s_cselect_b32 vcc_lo, -1, 0
	s_cmp_eq_u32 s3, 1
	v_dual_cndmask_b32 v2, v2, v9 :: v_dual_cndmask_b32 v1, v1, v3
	s_mov_b32 s3, 0
	global_load_b64 v[2:3], v[1:2], off
	s_waitcnt vmcnt(1)
	v_sub_co_u32 v0, vcc_lo, v7, s18
	v_subrev_co_ci_u32_e32 v1, vcc_lo, 0, v8, vcc_lo
	s_delay_alu instid0(VALU_DEP_2) | instskip(NEXT) | instid1(VALU_DEP_2)
	v_add_co_u32 v0, vcc_lo, v0, v19
	v_add_co_ci_u32_e32 v1, vcc_lo, 0, v1, vcc_lo
	s_delay_alu instid0(VALU_DEP_1) | instskip(SKIP_3) | instid1(VALU_DEP_3)
	v_lshlrev_b64 v[5:6], 5, v[0:1]
	s_waitcnt vmcnt(0)
	v_sub_co_u32 v2, vcc_lo, v2, s18
	v_subrev_co_ci_u32_e32 v3, vcc_lo, 0, v3, vcc_lo
	v_add_co_u32 v5, vcc_lo, s10, v5
	s_delay_alu instid0(VALU_DEP_2)
	v_cmp_lt_i64_e64 s2, v[0:1], v[2:3]
	v_add_co_ci_u32_e32 v6, vcc_lo, s11, v6, vcc_lo
	s_cbranch_scc1 .LBB98_25
; %bb.14:
	v_dual_mov_b32 v22, 0 :: v_dual_mov_b32 v23, 0
	v_mov_b32_e32 v21, 0
	s_delay_alu instid0(VALU_DEP_4)
	s_and_saveexec_b32 s6, s2
	s_cbranch_execz .LBB98_24
; %bb.15:
	v_or_b32_e32 v9, 32, v19
	v_not_b32_e32 v12, v7
	v_not_b32_e32 v11, v8
	v_mov_b32_e32 v23, 0
	v_dual_mov_b32 v21, 0 :: v_dual_mov_b32 v20, 0
	v_sub_co_u32 v9, s7, v9, s18
	s_delay_alu instid0(VALU_DEP_1) | instskip(SKIP_1) | instid1(VALU_DEP_3)
	v_sub_co_ci_u32_e64 v10, null, 0, 0, s7
	v_sub_co_u32 v13, s7, s18, v19
	v_add_co_u32 v9, vcc_lo, v9, v7
	s_delay_alu instid0(VALU_DEP_3) | instskip(SKIP_2) | instid1(VALU_DEP_2)
	v_add_co_ci_u32_e32 v10, vcc_lo, v10, v8, vcc_lo
	v_sub_co_ci_u32_e64 v14, null, 0, 0, s7
	s_mov_b32 s7, exec_lo
	v_cmp_gt_i64_e32 vcc_lo, v[9:10], v[2:3]
	v_mov_b32_e32 v22, 0
	v_dual_cndmask_b32 v10, v3, v10 :: v_dual_cndmask_b32 v9, v2, v9
	v_add_co_u32 v12, vcc_lo, v13, v12
	v_add_co_ci_u32_e32 v11, vcc_lo, v14, v11, vcc_lo
	s_delay_alu instid0(VALU_DEP_2) | instskip(NEXT) | instid1(VALU_DEP_2)
	v_add_co_u32 v13, vcc_lo, v12, v9
	v_add_co_ci_u32_e32 v14, vcc_lo, v11, v10, vcc_lo
	v_mov_b32_e32 v12, v6
	s_delay_alu instid0(VALU_DEP_3) | instskip(SKIP_1) | instid1(VALU_DEP_2)
	v_lshrrev_b32_e32 v9, 5, v13
	v_mov_b32_e32 v11, v5
	v_add_nc_u32_e32 v9, 1, v9
	s_delay_alu instid0(VALU_DEP_1) | instskip(SKIP_1) | instid1(VALU_DEP_2)
	v_dual_mov_b32 v10, v1 :: v_dual_and_b32 v15, 3, v9
	v_mov_b32_e32 v9, v0
	v_cmpx_ne_u32_e32 0, v15
	s_cbranch_execz .LBB98_19
; %bb.16:
	v_lshlrev_b64 v[9:10], 2, v[0:1]
	v_dual_mov_b32 v16, 0 :: v_dual_lshlrev_b32 v15, 3, v15
	v_dual_mov_b32 v12, v6 :: v_dual_mov_b32 v11, v5
	s_mov_b32 s10, 0
	s_delay_alu instid0(VALU_DEP_3) | instskip(NEXT) | instid1(VALU_DEP_4)
	v_add_co_u32 v17, vcc_lo, s8, v9
	v_add_co_ci_u32_e32 v18, vcc_lo, s9, v10, vcc_lo
	v_dual_mov_b32 v10, v1 :: v_dual_mov_b32 v9, v0
	v_mov_b32_e32 v20, v16
	v_mov_b32_e32 v22, v16
	;; [unrolled: 1-line block ×4, first 2 shown]
.LBB98_17:                              ; =>This Inner Loop Header: Depth=1
	global_load_b32 v32, v[17:18], off
	s_clause 0x1
	global_load_b128 v[24:27], v[11:12], off
	global_load_b128 v[28:31], v[11:12], off offset:16
	s_waitcnt vmcnt(2)
	v_subrev_nc_u32_e32 v32, s18, v32
	s_delay_alu instid0(VALU_DEP_1) | instskip(NEXT) | instid1(VALU_DEP_1)
	v_lshlrev_b32_e32 v32, 2, v32
	v_ashrrev_i32_e32 v33, 31, v32
	s_delay_alu instid0(VALU_DEP_1) | instskip(SKIP_1) | instid1(VALU_DEP_1)
	v_lshlrev_b64 v[32:33], 1, v[32:33]
	s_waitcnt lgkmcnt(0)
	v_add_co_u32 v32, vcc_lo, s4, v32
	s_delay_alu instid0(VALU_DEP_2)
	v_add_co_ci_u32_e32 v33, vcc_lo, s5, v33, vcc_lo
	v_add_co_u32 v11, vcc_lo, 0x400, v11
	v_add_co_ci_u32_e32 v12, vcc_lo, 0, v12, vcc_lo
	global_load_b64 v[32:33], v[32:33], off
	v_add_co_u32 v9, vcc_lo, v9, 32
	v_add_co_ci_u32_e32 v10, vcc_lo, 0, v10, vcc_lo
	v_add_co_u32 v17, vcc_lo, 0x80, v17
	v_add_co_ci_u32_e32 v18, vcc_lo, 0, v18, vcc_lo
	v_add_co_u32 v15, vcc_lo, v15, -8
	v_add_co_ci_u32_e32 v16, vcc_lo, -1, v16, vcc_lo
	s_delay_alu instid0(VALU_DEP_1)
	v_cmp_eq_u64_e32 vcc_lo, 0, v[15:16]
	s_or_b32 s10, vcc_lo, s10
	s_waitcnt vmcnt(0)
	v_fma_mix_f32 v21, v24, v32, v21 op_sel_hi:[1,1,0]
	v_fma_mix_f32 v23, v26, v32, v23 op_sel_hi:[1,1,0]
	;; [unrolled: 1-line block ×4, first 2 shown]
	s_delay_alu instid0(VALU_DEP_4) | instskip(NEXT) | instid1(VALU_DEP_4)
	v_fma_mix_f32 v21, v24, v32, v21 op_sel:[1,1,0] op_sel_hi:[1,1,0]
	v_fma_mix_f32 v23, v26, v32, v23 op_sel:[1,1,0] op_sel_hi:[1,1,0]
	s_delay_alu instid0(VALU_DEP_4) | instskip(NEXT) | instid1(VALU_DEP_4)
	v_fma_mix_f32 v22, v28, v32, v22 op_sel:[1,1,0] op_sel_hi:[1,1,0]
	v_fma_mix_f32 v20, v30, v32, v20 op_sel:[1,1,0] op_sel_hi:[1,1,0]
	s_delay_alu instid0(VALU_DEP_4) | instskip(NEXT) | instid1(VALU_DEP_4)
	v_fma_mix_f32 v21, v25, v33, v21 op_sel_hi:[1,1,0]
	v_fma_mix_f32 v23, v27, v33, v23 op_sel_hi:[1,1,0]
	s_delay_alu instid0(VALU_DEP_4) | instskip(NEXT) | instid1(VALU_DEP_4)
	v_fma_mix_f32 v22, v29, v33, v22 op_sel_hi:[1,1,0]
	v_fma_mix_f32 v20, v31, v33, v20 op_sel_hi:[1,1,0]
	s_delay_alu instid0(VALU_DEP_4) | instskip(NEXT) | instid1(VALU_DEP_4)
	v_fma_mix_f32 v21, v25, v33, v21 op_sel:[1,1,0] op_sel_hi:[1,1,0]
	v_fma_mix_f32 v23, v27, v33, v23 op_sel:[1,1,0] op_sel_hi:[1,1,0]
	s_delay_alu instid0(VALU_DEP_4) | instskip(NEXT) | instid1(VALU_DEP_4)
	v_fma_mix_f32 v22, v29, v33, v22 op_sel:[1,1,0] op_sel_hi:[1,1,0]
	v_fma_mix_f32 v20, v31, v33, v20 op_sel:[1,1,0] op_sel_hi:[1,1,0]
	s_and_not1_b32 exec_lo, exec_lo, s10
	s_cbranch_execnz .LBB98_17
; %bb.18:
	s_or_b32 exec_lo, exec_lo, s10
.LBB98_19:
	s_delay_alu instid0(SALU_CYCLE_1) | instskip(NEXT) | instid1(SALU_CYCLE_1)
	s_or_b32 exec_lo, exec_lo, s7
	s_mov_b32 s7, exec_lo
	v_cmpx_lt_u64_e32 0x5f, v[13:14]
	s_cbranch_execz .LBB98_23
; %bb.20:
	v_lshlrev_b64 v[13:14], 2, v[9:10]
	s_mov_b32 s10, 0
	s_delay_alu instid0(VALU_DEP_1) | instskip(NEXT) | instid1(VALU_DEP_2)
	v_add_co_u32 v13, vcc_lo, v13, s8
	v_add_co_ci_u32_e32 v14, vcc_lo, s9, v14, vcc_lo
	s_delay_alu instid0(VALU_DEP_2) | instskip(NEXT) | instid1(VALU_DEP_2)
	v_add_co_u32 v13, vcc_lo, 0x100, v13
	v_add_co_ci_u32_e32 v14, vcc_lo, 0, v14, vcc_lo
.LBB98_21:                              ; =>This Inner Loop Header: Depth=1
	s_clause 0x3
	global_load_b32 v52, v[13:14], off offset:-256
	global_load_b32 v53, v[13:14], off offset:-128
	global_load_b32 v54, v[13:14], off
	global_load_b32 v55, v[13:14], off offset:128
	s_clause 0x7
	global_load_b128 v[15:18], v[11:12], off
	global_load_b128 v[24:27], v[11:12], off offset:16
	global_load_b128 v[28:31], v[11:12], off offset:1024
	global_load_b128 v[32:35], v[11:12], off offset:1040
	global_load_b128 v[36:39], v[11:12], off offset:2048
	global_load_b128 v[40:43], v[11:12], off offset:2064
	global_load_b128 v[44:47], v[11:12], off offset:3072
	global_load_b128 v[48:51], v[11:12], off offset:3088
	s_waitcnt vmcnt(11)
	v_subrev_nc_u32_e32 v52, s18, v52
	s_waitcnt vmcnt(10)
	v_subrev_nc_u32_e32 v53, s18, v53
	;; [unrolled: 2-line block ×4, first 2 shown]
	v_lshlrev_b32_e32 v52, 2, v52
	v_lshlrev_b32_e32 v54, 2, v53
	;; [unrolled: 1-line block ×3, first 2 shown]
	s_delay_alu instid0(VALU_DEP_4) | instskip(NEXT) | instid1(VALU_DEP_4)
	v_lshlrev_b32_e32 v58, 2, v55
	v_ashrrev_i32_e32 v53, 31, v52
	s_delay_alu instid0(VALU_DEP_4) | instskip(NEXT) | instid1(VALU_DEP_4)
	v_ashrrev_i32_e32 v55, 31, v54
	v_ashrrev_i32_e32 v57, 31, v56
	s_delay_alu instid0(VALU_DEP_4) | instskip(NEXT) | instid1(VALU_DEP_4)
	v_ashrrev_i32_e32 v59, 31, v58
	v_lshlrev_b64 v[52:53], 1, v[52:53]
	s_delay_alu instid0(VALU_DEP_4) | instskip(NEXT) | instid1(VALU_DEP_4)
	v_lshlrev_b64 v[54:55], 1, v[54:55]
	v_lshlrev_b64 v[56:57], 1, v[56:57]
	s_delay_alu instid0(VALU_DEP_4) | instskip(SKIP_1) | instid1(VALU_DEP_4)
	v_lshlrev_b64 v[58:59], 1, v[58:59]
	s_waitcnt lgkmcnt(0)
	v_add_co_u32 v52, vcc_lo, s4, v52
	v_add_co_ci_u32_e32 v53, vcc_lo, s5, v53, vcc_lo
	v_add_co_u32 v54, vcc_lo, s4, v54
	v_add_co_ci_u32_e32 v55, vcc_lo, s5, v55, vcc_lo
	global_load_b64 v[52:53], v[52:53], off
	v_add_co_u32 v56, vcc_lo, s4, v56
	global_load_b64 v[54:55], v[54:55], off
	v_add_co_ci_u32_e32 v57, vcc_lo, s5, v57, vcc_lo
	v_add_co_u32 v58, vcc_lo, s4, v58
	v_add_co_ci_u32_e32 v59, vcc_lo, s5, v59, vcc_lo
	global_load_b64 v[56:57], v[56:57], off
	v_add_co_u32 v11, vcc_lo, 0x1000, v11
	global_load_b64 v[58:59], v[58:59], off
	v_add_co_ci_u32_e32 v12, vcc_lo, 0, v12, vcc_lo
	v_add_co_u32 v9, vcc_lo, 0x80, v9
	v_add_co_ci_u32_e32 v10, vcc_lo, 0, v10, vcc_lo
	v_add_co_u32 v13, vcc_lo, 0x200, v13
	v_add_co_ci_u32_e32 v14, vcc_lo, 0, v14, vcc_lo
	s_delay_alu instid0(VALU_DEP_3)
	v_cmp_ge_i64_e32 vcc_lo, v[9:10], v[2:3]
	s_or_b32 s10, vcc_lo, s10
	s_waitcnt vmcnt(3)
	v_fma_mix_f32 v21, v15, v52, v21 op_sel_hi:[1,1,0]
	v_fma_mix_f32 v23, v17, v52, v23 op_sel_hi:[1,1,0]
	v_fma_mix_f32 v22, v24, v52, v22 op_sel_hi:[1,1,0]
	v_fma_mix_f32 v20, v26, v52, v20 op_sel_hi:[1,1,0]
	s_delay_alu instid0(VALU_DEP_4) | instskip(NEXT) | instid1(VALU_DEP_4)
	v_fma_mix_f32 v15, v15, v52, v21 op_sel:[1,1,0] op_sel_hi:[1,1,0]
	v_fma_mix_f32 v17, v17, v52, v23 op_sel:[1,1,0] op_sel_hi:[1,1,0]
	s_delay_alu instid0(VALU_DEP_4) | instskip(NEXT) | instid1(VALU_DEP_4)
	v_fma_mix_f32 v21, v24, v52, v22 op_sel:[1,1,0] op_sel_hi:[1,1,0]
	v_fma_mix_f32 v20, v26, v52, v20 op_sel:[1,1,0] op_sel_hi:[1,1,0]
	s_delay_alu instid0(VALU_DEP_4) | instskip(NEXT) | instid1(VALU_DEP_4)
	v_fma_mix_f32 v15, v16, v53, v15 op_sel_hi:[1,1,0]
	v_fma_mix_f32 v17, v18, v53, v17 op_sel_hi:[1,1,0]
	s_delay_alu instid0(VALU_DEP_4) | instskip(NEXT) | instid1(VALU_DEP_4)
	v_fma_mix_f32 v21, v25, v53, v21 op_sel_hi:[1,1,0]
	v_fma_mix_f32 v20, v27, v53, v20 op_sel_hi:[1,1,0]
	s_delay_alu instid0(VALU_DEP_4) | instskip(NEXT) | instid1(VALU_DEP_4)
	v_fma_mix_f32 v15, v16, v53, v15 op_sel:[1,1,0] op_sel_hi:[1,1,0]
	v_fma_mix_f32 v16, v18, v53, v17 op_sel:[1,1,0] op_sel_hi:[1,1,0]
	s_delay_alu instid0(VALU_DEP_4) | instskip(NEXT) | instid1(VALU_DEP_4)
	v_fma_mix_f32 v17, v25, v53, v21 op_sel:[1,1,0] op_sel_hi:[1,1,0]
	v_fma_mix_f32 v18, v27, v53, v20 op_sel:[1,1,0] op_sel_hi:[1,1,0]
	s_waitcnt vmcnt(2)
	v_fma_mix_f32 v15, v28, v54, v15 op_sel_hi:[1,1,0]
	v_fma_mix_f32 v16, v30, v54, v16 op_sel_hi:[1,1,0]
	v_fma_mix_f32 v17, v32, v54, v17 op_sel_hi:[1,1,0]
	v_fma_mix_f32 v18, v34, v54, v18 op_sel_hi:[1,1,0]
	s_delay_alu instid0(VALU_DEP_4) | instskip(NEXT) | instid1(VALU_DEP_4)
	v_fma_mix_f32 v15, v28, v54, v15 op_sel:[1,1,0] op_sel_hi:[1,1,0]
	v_fma_mix_f32 v16, v30, v54, v16 op_sel:[1,1,0] op_sel_hi:[1,1,0]
	s_delay_alu instid0(VALU_DEP_4) | instskip(NEXT) | instid1(VALU_DEP_4)
	v_fma_mix_f32 v17, v32, v54, v17 op_sel:[1,1,0] op_sel_hi:[1,1,0]
	v_fma_mix_f32 v18, v34, v54, v18 op_sel:[1,1,0] op_sel_hi:[1,1,0]
	s_delay_alu instid0(VALU_DEP_4) | instskip(NEXT) | instid1(VALU_DEP_4)
	v_fma_mix_f32 v15, v29, v55, v15 op_sel_hi:[1,1,0]
	v_fma_mix_f32 v16, v31, v55, v16 op_sel_hi:[1,1,0]
	s_delay_alu instid0(VALU_DEP_4) | instskip(NEXT) | instid1(VALU_DEP_4)
	v_fma_mix_f32 v17, v33, v55, v17 op_sel_hi:[1,1,0]
	v_fma_mix_f32 v18, v35, v55, v18 op_sel_hi:[1,1,0]
	s_delay_alu instid0(VALU_DEP_4) | instskip(NEXT) | instid1(VALU_DEP_4)
	v_fma_mix_f32 v15, v29, v55, v15 op_sel:[1,1,0] op_sel_hi:[1,1,0]
	v_fma_mix_f32 v16, v31, v55, v16 op_sel:[1,1,0] op_sel_hi:[1,1,0]
	s_delay_alu instid0(VALU_DEP_4) | instskip(NEXT) | instid1(VALU_DEP_4)
	v_fma_mix_f32 v17, v33, v55, v17 op_sel:[1,1,0] op_sel_hi:[1,1,0]
	v_fma_mix_f32 v18, v35, v55, v18 op_sel:[1,1,0] op_sel_hi:[1,1,0]
	;; [unrolled: 23-line block ×4, first 2 shown]
	s_and_not1_b32 exec_lo, exec_lo, s10
	s_cbranch_execnz .LBB98_21
; %bb.22:
	s_or_b32 exec_lo, exec_lo, s10
.LBB98_23:
	s_delay_alu instid0(SALU_CYCLE_1)
	s_or_b32 exec_lo, exec_lo, s7
.LBB98_24:
	s_delay_alu instid0(SALU_CYCLE_1) | instskip(NEXT) | instid1(SALU_CYCLE_1)
	s_or_b32 exec_lo, exec_lo, s6
	s_and_not1_b32 vcc_lo, exec_lo, s3
	s_cbranch_vccz .LBB98_26
	s_branch .LBB98_37
.LBB98_25:
                                        ; implicit-def: $vgpr20
                                        ; implicit-def: $vgpr22
                                        ; implicit-def: $vgpr23
                                        ; implicit-def: $vgpr21
.LBB98_26:
	v_dual_mov_b32 v20, 0 :: v_dual_mov_b32 v23, 0
	v_dual_mov_b32 v22, 0 :: v_dual_mov_b32 v21, 0
	s_delay_alu instid0(VALU_DEP_4)
	s_and_saveexec_b32 s3, s2
	s_cbranch_execz .LBB98_36
; %bb.27:
	v_or_b32_e32 v9, 32, v19
	v_mov_b32_e32 v21, 0
	v_dual_mov_b32 v23, 0 :: v_dual_mov_b32 v22, 0
	v_mov_b32_e32 v20, 0
	s_delay_alu instid0(VALU_DEP_4) | instskip(NEXT) | instid1(VALU_DEP_1)
	v_sub_co_u32 v9, s2, v9, s18
	v_sub_co_ci_u32_e64 v10, null, 0, 0, s2
	v_sub_co_u32 v11, s2, s18, v19
	s_delay_alu instid0(VALU_DEP_3) | instskip(NEXT) | instid1(VALU_DEP_3)
	v_add_co_u32 v9, vcc_lo, v9, v7
	v_add_co_ci_u32_e32 v10, vcc_lo, v10, v8, vcc_lo
	v_not_b32_e32 v7, v7
	v_not_b32_e32 v8, v8
	v_sub_co_ci_u32_e64 v12, null, 0, 0, s2
	s_delay_alu instid0(VALU_DEP_4) | instskip(SKIP_4) | instid1(VALU_DEP_2)
	v_cmp_gt_i64_e32 vcc_lo, v[9:10], v[2:3]
	s_mov_b32 s2, exec_lo
	v_dual_cndmask_b32 v10, v3, v10 :: v_dual_cndmask_b32 v9, v2, v9
	v_add_co_u32 v7, vcc_lo, v11, v7
	v_add_co_ci_u32_e32 v8, vcc_lo, v12, v8, vcc_lo
	v_add_co_u32 v7, vcc_lo, v7, v9
	s_delay_alu instid0(VALU_DEP_2) | instskip(NEXT) | instid1(VALU_DEP_2)
	v_add_co_ci_u32_e32 v8, vcc_lo, v8, v10, vcc_lo
	v_lshrrev_b32_e32 v9, 5, v7
	s_delay_alu instid0(VALU_DEP_1) | instskip(NEXT) | instid1(VALU_DEP_1)
	v_add_nc_u32_e32 v9, 1, v9
	v_and_b32_e32 v9, 3, v9
	s_delay_alu instid0(VALU_DEP_1)
	v_cmpx_ne_u32_e32 0, v9
	s_cbranch_execz .LBB98_31
; %bb.28:
	v_lshlrev_b64 v[11:12], 2, v[0:1]
	v_dual_mov_b32 v10, 0 :: v_dual_lshlrev_b32 v9, 3, v9
	s_mov_b32 s6, 0
	s_delay_alu instid0(VALU_DEP_1) | instskip(NEXT) | instid1(VALU_DEP_3)
	v_mov_b32_e32 v20, v10
	v_add_co_u32 v11, vcc_lo, s8, v11
	s_delay_alu instid0(VALU_DEP_4)
	v_add_co_ci_u32_e32 v12, vcc_lo, s9, v12, vcc_lo
	v_mov_b32_e32 v22, v10
	v_mov_b32_e32 v23, v10
	;; [unrolled: 1-line block ×3, first 2 shown]
.LBB98_29:                              ; =>This Inner Loop Header: Depth=1
	global_load_b32 v17, v[11:12], off
	global_load_b128 v[13:16], v[5:6], off
	s_waitcnt vmcnt(1)
	v_subrev_nc_u32_e32 v17, s18, v17
	s_delay_alu instid0(VALU_DEP_1) | instskip(NEXT) | instid1(VALU_DEP_1)
	v_lshlrev_b32_e32 v17, 2, v17
	v_ashrrev_i32_e32 v18, 31, v17
	s_delay_alu instid0(VALU_DEP_1) | instskip(SKIP_1) | instid1(VALU_DEP_1)
	v_lshlrev_b64 v[17:18], 1, v[17:18]
	s_waitcnt lgkmcnt(0)
	v_add_co_u32 v17, vcc_lo, s4, v17
	s_delay_alu instid0(VALU_DEP_2)
	v_add_co_ci_u32_e32 v18, vcc_lo, s5, v18, vcc_lo
	global_load_b64 v[17:18], v[17:18], off
	global_load_b128 v[24:27], v[5:6], off offset:16
	v_add_co_u32 v5, vcc_lo, 0x400, v5
	v_add_co_ci_u32_e32 v6, vcc_lo, 0, v6, vcc_lo
	v_add_co_u32 v0, vcc_lo, v0, 32
	v_add_co_ci_u32_e32 v1, vcc_lo, 0, v1, vcc_lo
	v_add_co_u32 v11, vcc_lo, 0x80, v11
	v_add_co_ci_u32_e32 v12, vcc_lo, 0, v12, vcc_lo
	v_add_co_u32 v9, vcc_lo, v9, -8
	v_add_co_ci_u32_e32 v10, vcc_lo, -1, v10, vcc_lo
	s_delay_alu instid0(VALU_DEP_1)
	v_cmp_eq_u64_e32 vcc_lo, 0, v[9:10]
	s_or_b32 s6, vcc_lo, s6
	s_waitcnt vmcnt(1)
	v_fma_mix_f32 v21, v13, v17, v21 op_sel_hi:[1,1,0]
	v_fma_mix_f32 v13, v13, v17, v23 op_sel:[1,0,0] op_sel_hi:[1,1,0]
	v_fma_mix_f32 v22, v14, v17, v22 op_sel_hi:[1,1,0]
	v_fma_mix_f32 v14, v14, v17, v20 op_sel:[1,0,0] op_sel_hi:[1,1,0]
	s_delay_alu instid0(VALU_DEP_4) | instskip(NEXT) | instid1(VALU_DEP_4)
	v_fma_mix_f32 v20, v15, v17, v21 op_sel:[0,1,0] op_sel_hi:[1,1,0]
	v_fma_mix_f32 v13, v15, v17, v13 op_sel:[1,1,0] op_sel_hi:[1,1,0]
	s_delay_alu instid0(VALU_DEP_4) | instskip(NEXT) | instid1(VALU_DEP_4)
	v_fma_mix_f32 v15, v16, v17, v22 op_sel:[0,1,0] op_sel_hi:[1,1,0]
	v_fma_mix_f32 v14, v16, v17, v14 op_sel:[1,1,0] op_sel_hi:[1,1,0]
	s_waitcnt vmcnt(0)
	v_fma_mix_f32 v16, v24, v18, v20 op_sel_hi:[1,1,0]
	v_fma_mix_f32 v13, v24, v18, v13 op_sel:[1,0,0] op_sel_hi:[1,1,0]
	v_fma_mix_f32 v15, v25, v18, v15 op_sel_hi:[1,1,0]
	v_fma_mix_f32 v14, v25, v18, v14 op_sel:[1,0,0] op_sel_hi:[1,1,0]
	s_delay_alu instid0(VALU_DEP_4) | instskip(NEXT) | instid1(VALU_DEP_4)
	v_fma_mix_f32 v21, v26, v18, v16 op_sel:[0,1,0] op_sel_hi:[1,1,0]
	v_fma_mix_f32 v23, v26, v18, v13 op_sel:[1,1,0] op_sel_hi:[1,1,0]
	s_delay_alu instid0(VALU_DEP_4) | instskip(NEXT) | instid1(VALU_DEP_4)
	v_fma_mix_f32 v22, v27, v18, v15 op_sel:[0,1,0] op_sel_hi:[1,1,0]
	v_fma_mix_f32 v20, v27, v18, v14 op_sel:[1,1,0] op_sel_hi:[1,1,0]
	s_and_not1_b32 exec_lo, exec_lo, s6
	s_cbranch_execnz .LBB98_29
; %bb.30:
	s_or_b32 exec_lo, exec_lo, s6
.LBB98_31:
	s_delay_alu instid0(SALU_CYCLE_1) | instskip(NEXT) | instid1(SALU_CYCLE_1)
	s_or_b32 exec_lo, exec_lo, s2
	s_mov_b32 s2, exec_lo
	v_cmpx_lt_u64_e32 0x5f, v[7:8]
	s_cbranch_execz .LBB98_35
; %bb.32:
	v_lshlrev_b64 v[7:8], 2, v[0:1]
	s_mov_b32 s6, 0
	s_delay_alu instid0(VALU_DEP_1) | instskip(NEXT) | instid1(VALU_DEP_2)
	v_add_co_u32 v7, vcc_lo, v7, s8
	v_add_co_ci_u32_e32 v8, vcc_lo, s9, v8, vcc_lo
	s_delay_alu instid0(VALU_DEP_2) | instskip(NEXT) | instid1(VALU_DEP_2)
	v_add_co_u32 v7, vcc_lo, 0x100, v7
	v_add_co_ci_u32_e32 v8, vcc_lo, 0, v8, vcc_lo
.LBB98_33:                              ; =>This Inner Loop Header: Depth=1
	s_clause 0x3
	global_load_b32 v17, v[7:8], off offset:-256
	global_load_b32 v18, v[7:8], off offset:-128
	global_load_b32 v44, v[7:8], off
	global_load_b32 v45, v[7:8], off offset:128
	s_clause 0x6
	global_load_b128 v[9:12], v[5:6], off
	global_load_b128 v[13:16], v[5:6], off offset:16
	global_load_b128 v[24:27], v[5:6], off offset:1024
	;; [unrolled: 1-line block ×6, first 2 shown]
	s_waitcnt vmcnt(10)
	v_subrev_nc_u32_e32 v17, s18, v17
	s_waitcnt vmcnt(9)
	v_subrev_nc_u32_e32 v18, s18, v18
	;; [unrolled: 2-line block ×4, first 2 shown]
	v_lshlrev_b32_e32 v17, 2, v17
	v_lshlrev_b32_e32 v44, 2, v18
	;; [unrolled: 1-line block ×3, first 2 shown]
	s_delay_alu instid0(VALU_DEP_4) | instskip(NEXT) | instid1(VALU_DEP_4)
	v_lshlrev_b32_e32 v48, 2, v45
	v_ashrrev_i32_e32 v18, 31, v17
	s_delay_alu instid0(VALU_DEP_4) | instskip(NEXT) | instid1(VALU_DEP_4)
	v_ashrrev_i32_e32 v45, 31, v44
	v_ashrrev_i32_e32 v47, 31, v46
	s_delay_alu instid0(VALU_DEP_4) | instskip(NEXT) | instid1(VALU_DEP_4)
	v_ashrrev_i32_e32 v49, 31, v48
	v_lshlrev_b64 v[17:18], 1, v[17:18]
	s_delay_alu instid0(VALU_DEP_4) | instskip(SKIP_1) | instid1(VALU_DEP_2)
	v_lshlrev_b64 v[44:45], 1, v[44:45]
	s_waitcnt lgkmcnt(0)
	v_add_co_u32 v17, vcc_lo, s4, v17
	s_delay_alu instid0(VALU_DEP_3) | instskip(NEXT) | instid1(VALU_DEP_3)
	v_add_co_ci_u32_e32 v18, vcc_lo, s5, v18, vcc_lo
	v_add_co_u32 v44, vcc_lo, s4, v44
	s_delay_alu instid0(VALU_DEP_4) | instskip(SKIP_4) | instid1(VALU_DEP_1)
	v_add_co_ci_u32_e32 v45, vcc_lo, s5, v45, vcc_lo
	s_clause 0x1
	global_load_b64 v[17:18], v[17:18], off
	global_load_b64 v[50:51], v[44:45], off
	v_lshlrev_b64 v[44:45], 1, v[46:47]
	v_add_co_u32 v44, vcc_lo, s4, v44
	s_delay_alu instid0(VALU_DEP_2) | instskip(SKIP_2) | instid1(VALU_DEP_1)
	v_add_co_ci_u32_e32 v45, vcc_lo, s5, v45, vcc_lo
	global_load_b64 v[52:53], v[44:45], off
	v_lshlrev_b64 v[44:45], 1, v[48:49]
	v_add_co_u32 v44, vcc_lo, s4, v44
	s_delay_alu instid0(VALU_DEP_2)
	v_add_co_ci_u32_e32 v45, vcc_lo, s5, v45, vcc_lo
	global_load_b64 v[48:49], v[44:45], off
	global_load_b128 v[44:47], v[5:6], off offset:3088
	v_add_co_u32 v5, vcc_lo, 0x1000, v5
	v_add_co_ci_u32_e32 v6, vcc_lo, 0, v6, vcc_lo
	v_add_co_u32 v0, vcc_lo, 0x80, v0
	v_add_co_ci_u32_e32 v1, vcc_lo, 0, v1, vcc_lo
	;; [unrolled: 2-line block ×3, first 2 shown]
	s_delay_alu instid0(VALU_DEP_3)
	v_cmp_ge_i64_e32 vcc_lo, v[0:1], v[2:3]
	s_or_b32 s6, vcc_lo, s6
	s_waitcnt vmcnt(4)
	v_fma_mix_f32 v21, v9, v17, v21 op_sel_hi:[1,1,0]
	v_fma_mix_f32 v9, v9, v17, v23 op_sel:[1,0,0] op_sel_hi:[1,1,0]
	v_fma_mix_f32 v22, v10, v17, v22 op_sel_hi:[1,1,0]
	v_fma_mix_f32 v10, v10, v17, v20 op_sel:[1,0,0] op_sel_hi:[1,1,0]
	s_delay_alu instid0(VALU_DEP_4) | instskip(NEXT) | instid1(VALU_DEP_4)
	v_fma_mix_f32 v20, v11, v17, v21 op_sel:[0,1,0] op_sel_hi:[1,1,0]
	v_fma_mix_f32 v9, v11, v17, v9 op_sel:[1,1,0] op_sel_hi:[1,1,0]
	s_delay_alu instid0(VALU_DEP_4) | instskip(NEXT) | instid1(VALU_DEP_4)
	v_fma_mix_f32 v11, v12, v17, v22 op_sel:[0,1,0] op_sel_hi:[1,1,0]
	v_fma_mix_f32 v10, v12, v17, v10 op_sel:[1,1,0] op_sel_hi:[1,1,0]
	s_delay_alu instid0(VALU_DEP_4) | instskip(NEXT) | instid1(VALU_DEP_4)
	v_fma_mix_f32 v12, v13, v18, v20 op_sel_hi:[1,1,0]
	v_fma_mix_f32 v9, v13, v18, v9 op_sel:[1,0,0] op_sel_hi:[1,1,0]
	s_delay_alu instid0(VALU_DEP_4) | instskip(NEXT) | instid1(VALU_DEP_4)
	v_fma_mix_f32 v11, v14, v18, v11 op_sel_hi:[1,1,0]
	v_fma_mix_f32 v10, v14, v18, v10 op_sel:[1,0,0] op_sel_hi:[1,1,0]
	s_delay_alu instid0(VALU_DEP_4) | instskip(NEXT) | instid1(VALU_DEP_4)
	v_fma_mix_f32 v12, v15, v18, v12 op_sel:[0,1,0] op_sel_hi:[1,1,0]
	v_fma_mix_f32 v9, v15, v18, v9 op_sel:[1,1,0] op_sel_hi:[1,1,0]
	s_delay_alu instid0(VALU_DEP_4) | instskip(NEXT) | instid1(VALU_DEP_4)
	v_fma_mix_f32 v11, v16, v18, v11 op_sel:[0,1,0] op_sel_hi:[1,1,0]
	v_fma_mix_f32 v10, v16, v18, v10 op_sel:[1,1,0] op_sel_hi:[1,1,0]
	s_waitcnt vmcnt(3)
	v_fma_mix_f32 v12, v24, v50, v12 op_sel_hi:[1,1,0]
	v_fma_mix_f32 v9, v24, v50, v9 op_sel:[1,0,0] op_sel_hi:[1,1,0]
	v_fma_mix_f32 v11, v25, v50, v11 op_sel_hi:[1,1,0]
	v_fma_mix_f32 v10, v25, v50, v10 op_sel:[1,0,0] op_sel_hi:[1,1,0]
	s_delay_alu instid0(VALU_DEP_4) | instskip(NEXT) | instid1(VALU_DEP_4)
	v_fma_mix_f32 v12, v26, v50, v12 op_sel:[0,1,0] op_sel_hi:[1,1,0]
	v_fma_mix_f32 v9, v26, v50, v9 op_sel:[1,1,0] op_sel_hi:[1,1,0]
	s_delay_alu instid0(VALU_DEP_4) | instskip(NEXT) | instid1(VALU_DEP_4)
	v_fma_mix_f32 v11, v27, v50, v11 op_sel:[0,1,0] op_sel_hi:[1,1,0]
	v_fma_mix_f32 v10, v27, v50, v10 op_sel:[1,1,0] op_sel_hi:[1,1,0]
	s_delay_alu instid0(VALU_DEP_4) | instskip(NEXT) | instid1(VALU_DEP_4)
	v_fma_mix_f32 v12, v28, v51, v12 op_sel_hi:[1,1,0]
	v_fma_mix_f32 v9, v28, v51, v9 op_sel:[1,0,0] op_sel_hi:[1,1,0]
	s_delay_alu instid0(VALU_DEP_4) | instskip(NEXT) | instid1(VALU_DEP_4)
	v_fma_mix_f32 v11, v29, v51, v11 op_sel_hi:[1,1,0]
	v_fma_mix_f32 v10, v29, v51, v10 op_sel:[1,0,0] op_sel_hi:[1,1,0]
	s_delay_alu instid0(VALU_DEP_4) | instskip(NEXT) | instid1(VALU_DEP_4)
	v_fma_mix_f32 v12, v30, v51, v12 op_sel:[0,1,0] op_sel_hi:[1,1,0]
	v_fma_mix_f32 v9, v30, v51, v9 op_sel:[1,1,0] op_sel_hi:[1,1,0]
	s_delay_alu instid0(VALU_DEP_4) | instskip(NEXT) | instid1(VALU_DEP_4)
	v_fma_mix_f32 v11, v31, v51, v11 op_sel:[0,1,0] op_sel_hi:[1,1,0]
	v_fma_mix_f32 v10, v31, v51, v10 op_sel:[1,1,0] op_sel_hi:[1,1,0]
	;; [unrolled: 23-line block ×3, first 2 shown]
	s_waitcnt vmcnt(1)
	v_fma_mix_f32 v12, v40, v48, v12 op_sel_hi:[1,1,0]
	v_fma_mix_f32 v9, v40, v48, v9 op_sel:[1,0,0] op_sel_hi:[1,1,0]
	v_fma_mix_f32 v11, v41, v48, v11 op_sel_hi:[1,1,0]
	v_fma_mix_f32 v10, v41, v48, v10 op_sel:[1,0,0] op_sel_hi:[1,1,0]
	s_delay_alu instid0(VALU_DEP_4) | instskip(NEXT) | instid1(VALU_DEP_4)
	v_fma_mix_f32 v12, v42, v48, v12 op_sel:[0,1,0] op_sel_hi:[1,1,0]
	v_fma_mix_f32 v9, v42, v48, v9 op_sel:[1,1,0] op_sel_hi:[1,1,0]
	s_delay_alu instid0(VALU_DEP_4) | instskip(NEXT) | instid1(VALU_DEP_4)
	v_fma_mix_f32 v11, v43, v48, v11 op_sel:[0,1,0] op_sel_hi:[1,1,0]
	v_fma_mix_f32 v10, v43, v48, v10 op_sel:[1,1,0] op_sel_hi:[1,1,0]
	s_waitcnt vmcnt(0)
	v_fma_mix_f32 v12, v44, v49, v12 op_sel_hi:[1,1,0]
	v_fma_mix_f32 v9, v44, v49, v9 op_sel:[1,0,0] op_sel_hi:[1,1,0]
	v_fma_mix_f32 v11, v45, v49, v11 op_sel_hi:[1,1,0]
	v_fma_mix_f32 v10, v45, v49, v10 op_sel:[1,0,0] op_sel_hi:[1,1,0]
	s_delay_alu instid0(VALU_DEP_4) | instskip(NEXT) | instid1(VALU_DEP_4)
	v_fma_mix_f32 v21, v46, v49, v12 op_sel:[0,1,0] op_sel_hi:[1,1,0]
	v_fma_mix_f32 v23, v46, v49, v9 op_sel:[1,1,0] op_sel_hi:[1,1,0]
	s_delay_alu instid0(VALU_DEP_4) | instskip(NEXT) | instid1(VALU_DEP_4)
	v_fma_mix_f32 v22, v47, v49, v11 op_sel:[0,1,0] op_sel_hi:[1,1,0]
	v_fma_mix_f32 v20, v47, v49, v10 op_sel:[1,1,0] op_sel_hi:[1,1,0]
	s_and_not1_b32 exec_lo, exec_lo, s6
	s_cbranch_execnz .LBB98_33
; %bb.34:
	s_or_b32 exec_lo, exec_lo, s6
.LBB98_35:
	s_delay_alu instid0(SALU_CYCLE_1)
	s_or_b32 exec_lo, exec_lo, s2
.LBB98_36:
	s_delay_alu instid0(SALU_CYCLE_1)
	s_or_b32 exec_lo, exec_lo, s3
.LBB98_37:
	v_mbcnt_lo_u32_b32 v0, -1, 0
	s_mov_b32 s2, -1
	s_delay_alu instid0(VALU_DEP_1) | instskip(SKIP_2) | instid1(VALU_DEP_3)
	v_xor_b32_e32 v1, 16, v0
	v_xor_b32_e32 v6, 8, v0
	;; [unrolled: 1-line block ×3, first 2 shown]
	v_cmp_gt_i32_e32 vcc_lo, 32, v1
	v_cndmask_b32_e32 v1, v0, v1, vcc_lo
	s_delay_alu instid0(VALU_DEP_4) | instskip(SKIP_2) | instid1(VALU_DEP_2)
	v_cmp_gt_i32_e32 vcc_lo, 32, v6
	v_cndmask_b32_e32 v6, v0, v6, vcc_lo
	v_cmp_gt_i32_e32 vcc_lo, 32, v10
	v_lshlrev_b32_e32 v6, 2, v6
	v_dual_cndmask_b32 v10, v0, v10 :: v_dual_lshlrev_b32 v1, 2, v1
	ds_bpermute_b32 v2, v1, v21
	v_lshlrev_b32_e32 v10, 2, v10
	s_waitcnt lgkmcnt(0)
	v_add_f32_e32 v2, v21, v2
	ds_bpermute_b32 v3, v1, v23
	ds_bpermute_b32 v5, v1, v22
	;; [unrolled: 1-line block ×4, first 2 shown]
	s_waitcnt lgkmcnt(3)
	v_add_f32_e32 v3, v23, v3
	s_waitcnt lgkmcnt(2)
	v_add_f32_e32 v5, v22, v5
	;; [unrolled: 2-line block ×3, first 2 shown]
	ds_bpermute_b32 v8, v6, v3
	ds_bpermute_b32 v9, v6, v5
	;; [unrolled: 1-line block ×3, first 2 shown]
	s_waitcnt lgkmcnt(2)
	v_dual_add_f32 v2, v2, v7 :: v_dual_add_f32 v3, v3, v8
	s_waitcnt lgkmcnt(1)
	v_add_f32_e32 v5, v5, v9
	s_waitcnt lgkmcnt(0)
	v_add_f32_e32 v1, v1, v6
	ds_bpermute_b32 v6, v10, v2
	ds_bpermute_b32 v7, v10, v3
	;; [unrolled: 1-line block ×4, first 2 shown]
	v_xor_b32_e32 v10, 2, v0
	s_delay_alu instid0(VALU_DEP_1) | instskip(SKIP_1) | instid1(VALU_DEP_1)
	v_cmp_gt_i32_e32 vcc_lo, 32, v10
	v_cndmask_b32_e32 v10, v0, v10, vcc_lo
	v_lshlrev_b32_e32 v10, 2, v10
	s_waitcnt lgkmcnt(2)
	v_dual_add_f32 v2, v2, v6 :: v_dual_add_f32 v3, v3, v7
	s_waitcnt lgkmcnt(1)
	v_add_f32_e32 v5, v5, v8
	ds_bpermute_b32 v7, v10, v3
	s_waitcnt lgkmcnt(1)
	v_add_f32_e32 v6, v1, v9
	ds_bpermute_b32 v1, v10, v2
	ds_bpermute_b32 v8, v10, v5
	;; [unrolled: 1-line block ×3, first 2 shown]
	v_xor_b32_e32 v10, 1, v0
	s_delay_alu instid0(VALU_DEP_1) | instskip(SKIP_2) | instid1(VALU_DEP_2)
	v_cmp_gt_i32_e32 vcc_lo, 32, v10
	v_cndmask_b32_e32 v0, v0, v10, vcc_lo
	v_cmp_eq_u32_e32 vcc_lo, 31, v19
	v_lshlrev_b32_e32 v10, 2, v0
	s_waitcnt lgkmcnt(2)
	v_dual_add_f32 v0, v2, v1 :: v_dual_add_f32 v1, v3, v7
	s_waitcnt lgkmcnt(0)
	v_dual_add_f32 v2, v5, v8 :: v_dual_add_f32 v3, v6, v9
	ds_bpermute_b32 v5, v10, v0
	ds_bpermute_b32 v6, v10, v1
	;; [unrolled: 1-line block ×4, first 2 shown]
	s_and_b32 exec_lo, exec_lo, vcc_lo
	s_cbranch_execz .LBB98_10
; %bb.38:
	s_load_b64 s[0:1], s[0:1], 0x50
	s_waitcnt lgkmcnt(0)
	v_dual_add_f32 v0, v0, v5 :: v_dual_add_f32 v1, v1, v6
	v_dual_add_f32 v2, v2, v7 :: v_dual_add_f32 v3, v3, v8
	v_cmp_eq_f32_e64 s3, s12, 0
	s_delay_alu instid0(VALU_DEP_3) | instskip(NEXT) | instid1(VALU_DEP_3)
	v_dual_mul_f32 v0, s16, v0 :: v_dual_mul_f32 v1, s16, v1
	v_dual_mul_f32 v2, s16, v2 :: v_dual_mul_f32 v3, s16, v3
	v_lshlrev_b32_e32 v4, 2, v4
	s_delay_alu instid0(VALU_DEP_4)
	s_and_b32 vcc_lo, exec_lo, s3
	s_cbranch_vccz .LBB98_40
; %bb.39:
	s_delay_alu instid0(VALU_DEP_1) | instskip(SKIP_1) | instid1(VALU_DEP_1)
	v_ashrrev_i32_e32 v5, 31, v4
	s_mov_b32 s2, 0
	v_lshlrev_b64 v[5:6], 2, v[4:5]
	s_delay_alu instid0(VALU_DEP_1) | instskip(NEXT) | instid1(VALU_DEP_2)
	v_add_co_u32 v5, vcc_lo, s0, v5
	v_add_co_ci_u32_e32 v6, vcc_lo, s1, v6, vcc_lo
	global_store_b128 v[5:6], v[0:3], off
.LBB98_40:
	s_and_not1_b32 vcc_lo, exec_lo, s2
	s_cbranch_vccnz .LBB98_10
; %bb.41:
	v_ashrrev_i32_e32 v5, 31, v4
	s_delay_alu instid0(VALU_DEP_1) | instskip(NEXT) | instid1(VALU_DEP_1)
	v_lshlrev_b64 v[4:5], 2, v[4:5]
	v_add_co_u32 v8, vcc_lo, s0, v4
	s_delay_alu instid0(VALU_DEP_2)
	v_add_co_ci_u32_e32 v9, vcc_lo, s1, v5, vcc_lo
	global_load_b128 v[4:7], v[8:9], off
	s_waitcnt vmcnt(0)
	v_dual_fmac_f32 v0, s12, v4 :: v_dual_fmac_f32 v1, s12, v5
	v_dual_fmac_f32 v2, s12, v6 :: v_dual_fmac_f32 v3, s12, v7
	global_store_b128 v[8:9], v[0:3], off
	s_nop 0
	s_sendmsg sendmsg(MSG_DEALLOC_VGPRS)
	s_endpgm
	.section	.rodata,"a",@progbits
	.p2align	6, 0x0
	.amdhsa_kernel _ZN9rocsparseL18bsrxmvn_4x4_kernelILj128ELj32EfliDF16_DF16_fEEvT3_20rocsparse_direction_NS_24const_host_device_scalarIT1_EES1_PKS1_PKT2_SA_S7_PKT4_PKT5_S5_PT6_21rocsparse_index_base_b
		.amdhsa_group_segment_fixed_size 0
		.amdhsa_private_segment_fixed_size 0
		.amdhsa_kernarg_size 96
		.amdhsa_user_sgpr_count 15
		.amdhsa_user_sgpr_dispatch_ptr 0
		.amdhsa_user_sgpr_queue_ptr 0
		.amdhsa_user_sgpr_kernarg_segment_ptr 1
		.amdhsa_user_sgpr_dispatch_id 0
		.amdhsa_user_sgpr_private_segment_size 0
		.amdhsa_wavefront_size32 1
		.amdhsa_uses_dynamic_stack 0
		.amdhsa_enable_private_segment 0
		.amdhsa_system_sgpr_workgroup_id_x 1
		.amdhsa_system_sgpr_workgroup_id_y 0
		.amdhsa_system_sgpr_workgroup_id_z 0
		.amdhsa_system_sgpr_workgroup_info 0
		.amdhsa_system_vgpr_workitem_id 0
		.amdhsa_next_free_vgpr 60
		.amdhsa_next_free_sgpr 20
		.amdhsa_reserve_vcc 1
		.amdhsa_float_round_mode_32 0
		.amdhsa_float_round_mode_16_64 0
		.amdhsa_float_denorm_mode_32 3
		.amdhsa_float_denorm_mode_16_64 3
		.amdhsa_dx10_clamp 1
		.amdhsa_ieee_mode 1
		.amdhsa_fp16_overflow 0
		.amdhsa_workgroup_processor_mode 1
		.amdhsa_memory_ordered 1
		.amdhsa_forward_progress 0
		.amdhsa_shared_vgpr_count 0
		.amdhsa_exception_fp_ieee_invalid_op 0
		.amdhsa_exception_fp_denorm_src 0
		.amdhsa_exception_fp_ieee_div_zero 0
		.amdhsa_exception_fp_ieee_overflow 0
		.amdhsa_exception_fp_ieee_underflow 0
		.amdhsa_exception_fp_ieee_inexact 0
		.amdhsa_exception_int_div_zero 0
	.end_amdhsa_kernel
	.section	.text._ZN9rocsparseL18bsrxmvn_4x4_kernelILj128ELj32EfliDF16_DF16_fEEvT3_20rocsparse_direction_NS_24const_host_device_scalarIT1_EES1_PKS1_PKT2_SA_S7_PKT4_PKT5_S5_PT6_21rocsparse_index_base_b,"axG",@progbits,_ZN9rocsparseL18bsrxmvn_4x4_kernelILj128ELj32EfliDF16_DF16_fEEvT3_20rocsparse_direction_NS_24const_host_device_scalarIT1_EES1_PKS1_PKT2_SA_S7_PKT4_PKT5_S5_PT6_21rocsparse_index_base_b,comdat
.Lfunc_end98:
	.size	_ZN9rocsparseL18bsrxmvn_4x4_kernelILj128ELj32EfliDF16_DF16_fEEvT3_20rocsparse_direction_NS_24const_host_device_scalarIT1_EES1_PKS1_PKT2_SA_S7_PKT4_PKT5_S5_PT6_21rocsparse_index_base_b, .Lfunc_end98-_ZN9rocsparseL18bsrxmvn_4x4_kernelILj128ELj32EfliDF16_DF16_fEEvT3_20rocsparse_direction_NS_24const_host_device_scalarIT1_EES1_PKS1_PKT2_SA_S7_PKT4_PKT5_S5_PT6_21rocsparse_index_base_b
                                        ; -- End function
	.section	.AMDGPU.csdata,"",@progbits
; Kernel info:
; codeLenInByte = 4488
; NumSgprs: 22
; NumVgprs: 60
; ScratchSize: 0
; MemoryBound: 0
; FloatMode: 240
; IeeeMode: 1
; LDSByteSize: 0 bytes/workgroup (compile time only)
; SGPRBlocks: 2
; VGPRBlocks: 7
; NumSGPRsForWavesPerEU: 22
; NumVGPRsForWavesPerEU: 60
; Occupancy: 16
; WaveLimiterHint : 1
; COMPUTE_PGM_RSRC2:SCRATCH_EN: 0
; COMPUTE_PGM_RSRC2:USER_SGPR: 15
; COMPUTE_PGM_RSRC2:TRAP_HANDLER: 0
; COMPUTE_PGM_RSRC2:TGID_X_EN: 1
; COMPUTE_PGM_RSRC2:TGID_Y_EN: 0
; COMPUTE_PGM_RSRC2:TGID_Z_EN: 0
; COMPUTE_PGM_RSRC2:TIDIG_COMP_CNT: 0
	.section	.text._ZN9rocsparseL18bsrxmvn_4x4_kernelILj128ELj64EfliDF16_DF16_fEEvT3_20rocsparse_direction_NS_24const_host_device_scalarIT1_EES1_PKS1_PKT2_SA_S7_PKT4_PKT5_S5_PT6_21rocsparse_index_base_b,"axG",@progbits,_ZN9rocsparseL18bsrxmvn_4x4_kernelILj128ELj64EfliDF16_DF16_fEEvT3_20rocsparse_direction_NS_24const_host_device_scalarIT1_EES1_PKS1_PKT2_SA_S7_PKT4_PKT5_S5_PT6_21rocsparse_index_base_b,comdat
	.globl	_ZN9rocsparseL18bsrxmvn_4x4_kernelILj128ELj64EfliDF16_DF16_fEEvT3_20rocsparse_direction_NS_24const_host_device_scalarIT1_EES1_PKS1_PKT2_SA_S7_PKT4_PKT5_S5_PT6_21rocsparse_index_base_b ; -- Begin function _ZN9rocsparseL18bsrxmvn_4x4_kernelILj128ELj64EfliDF16_DF16_fEEvT3_20rocsparse_direction_NS_24const_host_device_scalarIT1_EES1_PKS1_PKT2_SA_S7_PKT4_PKT5_S5_PT6_21rocsparse_index_base_b
	.p2align	8
	.type	_ZN9rocsparseL18bsrxmvn_4x4_kernelILj128ELj64EfliDF16_DF16_fEEvT3_20rocsparse_direction_NS_24const_host_device_scalarIT1_EES1_PKS1_PKT2_SA_S7_PKT4_PKT5_S5_PT6_21rocsparse_index_base_b,@function
_ZN9rocsparseL18bsrxmvn_4x4_kernelILj128ELj64EfliDF16_DF16_fEEvT3_20rocsparse_direction_NS_24const_host_device_scalarIT1_EES1_PKS1_PKT2_SA_S7_PKT4_PKT5_S5_PT6_21rocsparse_index_base_b: ; @_ZN9rocsparseL18bsrxmvn_4x4_kernelILj128ELj64EfliDF16_DF16_fEEvT3_20rocsparse_direction_NS_24const_host_device_scalarIT1_EES1_PKS1_PKT2_SA_S7_PKT4_PKT5_S5_PT6_21rocsparse_index_base_b
; %bb.0:
	s_clause 0x2
	s_load_b64 s[18:19], s[0:1], 0x58
	s_load_b64 s[16:17], s[0:1], 0x8
	s_load_b64 s[12:13], s[0:1], 0x48
	s_waitcnt lgkmcnt(0)
	s_bitcmp1_b32 s19, 0
	s_cselect_b32 s2, -1, 0
	s_delay_alu instid0(SALU_CYCLE_1)
	s_and_b32 vcc_lo, exec_lo, s2
	s_xor_b32 s2, s2, -1
	s_cbranch_vccnz .LBB99_2
; %bb.1:
	s_load_b32 s16, s[16:17], 0x0
.LBB99_2:
	s_and_not1_b32 vcc_lo, exec_lo, s2
	s_cbranch_vccnz .LBB99_4
; %bb.3:
	s_load_b32 s12, s[12:13], 0x0
.LBB99_4:
	s_waitcnt lgkmcnt(0)
	v_cmp_neq_f32_e64 s2, s16, 0
	v_cmp_neq_f32_e64 s3, s12, 1.0
	s_mov_b32 s6, 0
	s_delay_alu instid0(VALU_DEP_1) | instskip(NEXT) | instid1(SALU_CYCLE_1)
	s_or_b32 s2, s2, s3
	s_and_not1_b32 vcc_lo, exec_lo, s2
	s_cbranch_vccnz .LBB99_10
; %bb.5:
	s_clause 0x1
	s_load_b64 s[4:5], s[0:1], 0x18
	s_load_b64 s[2:3], s[0:1], 0x0
	v_lshrrev_b32_e32 v1, 6, v0
	s_delay_alu instid0(VALU_DEP_1)
	v_lshl_or_b32 v4, s15, 1, v1
	s_waitcnt lgkmcnt(0)
	s_cmp_lg_u64 s[4:5], 0
	s_cbranch_scc0 .LBB99_11
; %bb.6:
	s_load_b32 s6, s[0:1], 0x10
	s_mov_b32 s7, 0
                                        ; implicit-def: $vgpr1
	s_waitcnt lgkmcnt(0)
	v_cmp_gt_i32_e32 vcc_lo, s6, v4
	s_mov_b32 s6, 0
	s_and_saveexec_b32 s8, vcc_lo
	s_delay_alu instid0(SALU_CYCLE_1)
	s_xor_b32 s8, exec_lo, s8
	s_cbranch_execz .LBB99_8
; %bb.7:
	v_ashrrev_i32_e32 v5, 31, v4
	s_mov_b32 s6, exec_lo
	s_delay_alu instid0(VALU_DEP_1) | instskip(NEXT) | instid1(VALU_DEP_1)
	v_lshlrev_b64 v[1:2], 2, v[4:5]
	v_add_co_u32 v1, vcc_lo, s4, v1
	s_delay_alu instid0(VALU_DEP_2)
	v_add_co_ci_u32_e32 v2, vcc_lo, s5, v2, vcc_lo
	global_load_b32 v1, v[1:2], off
	s_waitcnt vmcnt(0)
	v_subrev_nc_u32_e32 v1, s18, v1
.LBB99_8:
	s_or_b32 exec_lo, exec_lo, s8
	s_delay_alu instid0(SALU_CYCLE_1)
	s_and_b32 vcc_lo, exec_lo, s7
	s_cbranch_vccz .LBB99_12
.LBB99_9:
	v_cmp_gt_i32_e32 vcc_lo, s2, v4
	s_and_not1_b32 s2, s6, exec_lo
	s_and_b32 s4, vcc_lo, exec_lo
	s_delay_alu instid0(SALU_CYCLE_1) | instskip(NEXT) | instid1(SALU_CYCLE_1)
	s_or_b32 s6, s2, s4
	s_and_saveexec_b32 s2, s6
	s_cbranch_execnz .LBB99_13
.LBB99_10:
	s_nop 0
	s_sendmsg sendmsg(MSG_DEALLOC_VGPRS)
	s_endpgm
.LBB99_11:
                                        ; implicit-def: $vgpr1
	s_cbranch_execnz .LBB99_9
.LBB99_12:
	s_delay_alu instid0(VALU_DEP_1)
	v_mov_b32_e32 v4, v1
	s_and_saveexec_b32 s2, s6
	s_cbranch_execz .LBB99_10
.LBB99_13:
	s_load_b256 s[4:11], s[0:1], 0x20
	s_delay_alu instid0(VALU_DEP_1) | instskip(SKIP_1) | instid1(VALU_DEP_2)
	v_ashrrev_i32_e32 v5, 31, v4
	v_dual_mov_b32 v20, 0 :: v_dual_and_b32 v19, 63, v0
	v_lshlrev_b64 v[1:2], 3, v[4:5]
	s_waitcnt lgkmcnt(0)
	s_delay_alu instid0(VALU_DEP_1) | instskip(NEXT) | instid1(VALU_DEP_2)
	v_add_co_u32 v5, vcc_lo, s4, v1
	v_add_co_ci_u32_e32 v6, vcc_lo, s5, v2, vcc_lo
	v_add_co_u32 v1, vcc_lo, s6, v1
	v_add_co_ci_u32_e32 v2, vcc_lo, s7, v2, vcc_lo
	s_delay_alu instid0(VALU_DEP_4)
	v_add_co_u32 v3, vcc_lo, v5, 8
	global_load_b64 v[7:8], v[5:6], off
	v_add_co_ci_u32_e32 v9, vcc_lo, 0, v6, vcc_lo
	s_cmp_eq_u64 s[6:7], 0
	s_load_b64 s[4:5], s[0:1], 0x40
	s_cselect_b32 vcc_lo, -1, 0
	s_cmp_eq_u32 s3, 1
	v_dual_cndmask_b32 v2, v2, v9 :: v_dual_cndmask_b32 v1, v1, v3
	s_mov_b32 s3, 0
	global_load_b64 v[2:3], v[1:2], off
	s_waitcnt vmcnt(1)
	v_sub_co_u32 v0, vcc_lo, v7, s18
	v_subrev_co_ci_u32_e32 v1, vcc_lo, 0, v8, vcc_lo
	s_delay_alu instid0(VALU_DEP_2) | instskip(NEXT) | instid1(VALU_DEP_2)
	v_add_co_u32 v0, vcc_lo, v0, v19
	v_add_co_ci_u32_e32 v1, vcc_lo, 0, v1, vcc_lo
	s_delay_alu instid0(VALU_DEP_1) | instskip(SKIP_3) | instid1(VALU_DEP_3)
	v_lshlrev_b64 v[5:6], 5, v[0:1]
	s_waitcnt vmcnt(0)
	v_sub_co_u32 v2, vcc_lo, v2, s18
	v_subrev_co_ci_u32_e32 v3, vcc_lo, 0, v3, vcc_lo
	v_add_co_u32 v5, vcc_lo, s10, v5
	s_delay_alu instid0(VALU_DEP_2)
	v_cmp_lt_i64_e64 s2, v[0:1], v[2:3]
	v_add_co_ci_u32_e32 v6, vcc_lo, s11, v6, vcc_lo
	s_cbranch_scc1 .LBB99_25
; %bb.14:
	v_dual_mov_b32 v22, 0 :: v_dual_mov_b32 v23, 0
	v_mov_b32_e32 v21, 0
	s_delay_alu instid0(VALU_DEP_4)
	s_and_saveexec_b32 s6, s2
	s_cbranch_execz .LBB99_24
; %bb.15:
	v_or_b32_e32 v9, 64, v19
	v_not_b32_e32 v12, v7
	v_not_b32_e32 v11, v8
	v_mov_b32_e32 v23, 0
	v_dual_mov_b32 v21, 0 :: v_dual_mov_b32 v20, 0
	v_sub_co_u32 v9, s7, v9, s18
	s_delay_alu instid0(VALU_DEP_1) | instskip(SKIP_1) | instid1(VALU_DEP_3)
	v_sub_co_ci_u32_e64 v10, null, 0, 0, s7
	v_sub_co_u32 v13, s7, s18, v19
	v_add_co_u32 v9, vcc_lo, v9, v7
	s_delay_alu instid0(VALU_DEP_3) | instskip(SKIP_2) | instid1(VALU_DEP_2)
	v_add_co_ci_u32_e32 v10, vcc_lo, v10, v8, vcc_lo
	v_sub_co_ci_u32_e64 v14, null, 0, 0, s7
	s_mov_b32 s7, exec_lo
	v_cmp_gt_i64_e32 vcc_lo, v[9:10], v[2:3]
	v_mov_b32_e32 v22, 0
	v_dual_cndmask_b32 v10, v3, v10 :: v_dual_cndmask_b32 v9, v2, v9
	v_add_co_u32 v12, vcc_lo, v13, v12
	v_add_co_ci_u32_e32 v11, vcc_lo, v14, v11, vcc_lo
	s_delay_alu instid0(VALU_DEP_2) | instskip(NEXT) | instid1(VALU_DEP_2)
	v_add_co_u32 v13, vcc_lo, v12, v9
	v_add_co_ci_u32_e32 v14, vcc_lo, v11, v10, vcc_lo
	v_mov_b32_e32 v12, v6
	s_delay_alu instid0(VALU_DEP_3) | instskip(SKIP_1) | instid1(VALU_DEP_2)
	v_lshrrev_b32_e32 v9, 6, v13
	v_mov_b32_e32 v11, v5
	v_add_nc_u32_e32 v9, 1, v9
	s_delay_alu instid0(VALU_DEP_1) | instskip(SKIP_1) | instid1(VALU_DEP_2)
	v_dual_mov_b32 v10, v1 :: v_dual_and_b32 v15, 3, v9
	v_mov_b32_e32 v9, v0
	v_cmpx_ne_u32_e32 0, v15
	s_cbranch_execz .LBB99_19
; %bb.16:
	v_lshlrev_b64 v[9:10], 2, v[0:1]
	v_dual_mov_b32 v16, 0 :: v_dual_lshlrev_b32 v15, 3, v15
	v_dual_mov_b32 v12, v6 :: v_dual_mov_b32 v11, v5
	s_mov_b32 s10, 0
	s_delay_alu instid0(VALU_DEP_3) | instskip(NEXT) | instid1(VALU_DEP_4)
	v_add_co_u32 v17, vcc_lo, s8, v9
	v_add_co_ci_u32_e32 v18, vcc_lo, s9, v10, vcc_lo
	v_dual_mov_b32 v10, v1 :: v_dual_mov_b32 v9, v0
	v_mov_b32_e32 v20, v16
	v_mov_b32_e32 v22, v16
	;; [unrolled: 1-line block ×4, first 2 shown]
.LBB99_17:                              ; =>This Inner Loop Header: Depth=1
	global_load_b32 v32, v[17:18], off
	s_clause 0x1
	global_load_b128 v[24:27], v[11:12], off
	global_load_b128 v[28:31], v[11:12], off offset:16
	s_waitcnt vmcnt(2)
	v_subrev_nc_u32_e32 v32, s18, v32
	s_delay_alu instid0(VALU_DEP_1) | instskip(NEXT) | instid1(VALU_DEP_1)
	v_lshlrev_b32_e32 v32, 2, v32
	v_ashrrev_i32_e32 v33, 31, v32
	s_delay_alu instid0(VALU_DEP_1) | instskip(SKIP_1) | instid1(VALU_DEP_1)
	v_lshlrev_b64 v[32:33], 1, v[32:33]
	s_waitcnt lgkmcnt(0)
	v_add_co_u32 v32, vcc_lo, s4, v32
	s_delay_alu instid0(VALU_DEP_2)
	v_add_co_ci_u32_e32 v33, vcc_lo, s5, v33, vcc_lo
	v_add_co_u32 v11, vcc_lo, 0x800, v11
	v_add_co_ci_u32_e32 v12, vcc_lo, 0, v12, vcc_lo
	global_load_b64 v[32:33], v[32:33], off
	v_add_co_u32 v9, vcc_lo, v9, 64
	v_add_co_ci_u32_e32 v10, vcc_lo, 0, v10, vcc_lo
	v_add_co_u32 v17, vcc_lo, 0x100, v17
	v_add_co_ci_u32_e32 v18, vcc_lo, 0, v18, vcc_lo
	v_add_co_u32 v15, vcc_lo, v15, -8
	v_add_co_ci_u32_e32 v16, vcc_lo, -1, v16, vcc_lo
	s_delay_alu instid0(VALU_DEP_1)
	v_cmp_eq_u64_e32 vcc_lo, 0, v[15:16]
	s_or_b32 s10, vcc_lo, s10
	s_waitcnt vmcnt(0)
	v_fma_mix_f32 v21, v24, v32, v21 op_sel_hi:[1,1,0]
	v_fma_mix_f32 v23, v26, v32, v23 op_sel_hi:[1,1,0]
	;; [unrolled: 1-line block ×4, first 2 shown]
	s_delay_alu instid0(VALU_DEP_4) | instskip(NEXT) | instid1(VALU_DEP_4)
	v_fma_mix_f32 v21, v24, v32, v21 op_sel:[1,1,0] op_sel_hi:[1,1,0]
	v_fma_mix_f32 v23, v26, v32, v23 op_sel:[1,1,0] op_sel_hi:[1,1,0]
	s_delay_alu instid0(VALU_DEP_4) | instskip(NEXT) | instid1(VALU_DEP_4)
	v_fma_mix_f32 v22, v28, v32, v22 op_sel:[1,1,0] op_sel_hi:[1,1,0]
	v_fma_mix_f32 v20, v30, v32, v20 op_sel:[1,1,0] op_sel_hi:[1,1,0]
	s_delay_alu instid0(VALU_DEP_4) | instskip(NEXT) | instid1(VALU_DEP_4)
	v_fma_mix_f32 v21, v25, v33, v21 op_sel_hi:[1,1,0]
	v_fma_mix_f32 v23, v27, v33, v23 op_sel_hi:[1,1,0]
	s_delay_alu instid0(VALU_DEP_4) | instskip(NEXT) | instid1(VALU_DEP_4)
	v_fma_mix_f32 v22, v29, v33, v22 op_sel_hi:[1,1,0]
	v_fma_mix_f32 v20, v31, v33, v20 op_sel_hi:[1,1,0]
	s_delay_alu instid0(VALU_DEP_4) | instskip(NEXT) | instid1(VALU_DEP_4)
	v_fma_mix_f32 v21, v25, v33, v21 op_sel:[1,1,0] op_sel_hi:[1,1,0]
	v_fma_mix_f32 v23, v27, v33, v23 op_sel:[1,1,0] op_sel_hi:[1,1,0]
	s_delay_alu instid0(VALU_DEP_4) | instskip(NEXT) | instid1(VALU_DEP_4)
	v_fma_mix_f32 v22, v29, v33, v22 op_sel:[1,1,0] op_sel_hi:[1,1,0]
	v_fma_mix_f32 v20, v31, v33, v20 op_sel:[1,1,0] op_sel_hi:[1,1,0]
	s_and_not1_b32 exec_lo, exec_lo, s10
	s_cbranch_execnz .LBB99_17
; %bb.18:
	s_or_b32 exec_lo, exec_lo, s10
.LBB99_19:
	s_delay_alu instid0(SALU_CYCLE_1) | instskip(NEXT) | instid1(SALU_CYCLE_1)
	s_or_b32 exec_lo, exec_lo, s7
	s_mov_b32 s7, exec_lo
	v_cmpx_lt_u64_e32 0xbf, v[13:14]
	s_cbranch_execz .LBB99_23
; %bb.20:
	v_lshlrev_b64 v[13:14], 2, v[9:10]
	s_mov_b32 s10, 0
	s_delay_alu instid0(VALU_DEP_1) | instskip(NEXT) | instid1(VALU_DEP_2)
	v_add_co_u32 v13, vcc_lo, v13, s8
	v_add_co_ci_u32_e32 v14, vcc_lo, s9, v14, vcc_lo
	s_delay_alu instid0(VALU_DEP_2) | instskip(NEXT) | instid1(VALU_DEP_2)
	v_add_co_u32 v13, vcc_lo, 0x200, v13
	v_add_co_ci_u32_e32 v14, vcc_lo, 0, v14, vcc_lo
.LBB99_21:                              ; =>This Inner Loop Header: Depth=1
	s_clause 0x3
	global_load_b32 v52, v[13:14], off offset:-512
	global_load_b32 v53, v[13:14], off offset:-256
	global_load_b32 v54, v[13:14], off
	global_load_b32 v55, v[13:14], off offset:256
	v_add_co_u32 v48, vcc_lo, 0x1000, v11
	v_add_co_ci_u32_e32 v49, vcc_lo, 0, v12, vcc_lo
	s_clause 0x7
	global_load_b128 v[15:18], v[11:12], off
	global_load_b128 v[24:27], v[11:12], off offset:16
	global_load_b128 v[28:31], v[11:12], off offset:2048
	global_load_b128 v[32:35], v[11:12], off offset:2064
	global_load_b128 v[36:39], v[48:49], off
	global_load_b128 v[40:43], v[48:49], off offset:16
	global_load_b128 v[44:47], v[48:49], off offset:2048
	;; [unrolled: 1-line block ×3, first 2 shown]
	s_waitcnt vmcnt(11)
	v_subrev_nc_u32_e32 v52, s18, v52
	s_waitcnt vmcnt(10)
	v_subrev_nc_u32_e32 v53, s18, v53
	;; [unrolled: 2-line block ×4, first 2 shown]
	v_lshlrev_b32_e32 v52, 2, v52
	v_lshlrev_b32_e32 v54, 2, v53
	;; [unrolled: 1-line block ×3, first 2 shown]
	s_delay_alu instid0(VALU_DEP_4) | instskip(NEXT) | instid1(VALU_DEP_4)
	v_lshlrev_b32_e32 v58, 2, v55
	v_ashrrev_i32_e32 v53, 31, v52
	s_delay_alu instid0(VALU_DEP_4) | instskip(NEXT) | instid1(VALU_DEP_4)
	v_ashrrev_i32_e32 v55, 31, v54
	v_ashrrev_i32_e32 v57, 31, v56
	s_delay_alu instid0(VALU_DEP_4) | instskip(NEXT) | instid1(VALU_DEP_4)
	v_ashrrev_i32_e32 v59, 31, v58
	v_lshlrev_b64 v[52:53], 1, v[52:53]
	s_delay_alu instid0(VALU_DEP_4) | instskip(NEXT) | instid1(VALU_DEP_4)
	v_lshlrev_b64 v[54:55], 1, v[54:55]
	v_lshlrev_b64 v[56:57], 1, v[56:57]
	s_delay_alu instid0(VALU_DEP_4) | instskip(SKIP_1) | instid1(VALU_DEP_4)
	v_lshlrev_b64 v[58:59], 1, v[58:59]
	s_waitcnt lgkmcnt(0)
	v_add_co_u32 v52, vcc_lo, s4, v52
	v_add_co_ci_u32_e32 v53, vcc_lo, s5, v53, vcc_lo
	v_add_co_u32 v54, vcc_lo, s4, v54
	v_add_co_ci_u32_e32 v55, vcc_lo, s5, v55, vcc_lo
	global_load_b64 v[52:53], v[52:53], off
	v_add_co_u32 v56, vcc_lo, s4, v56
	global_load_b64 v[54:55], v[54:55], off
	v_add_co_ci_u32_e32 v57, vcc_lo, s5, v57, vcc_lo
	v_add_co_u32 v58, vcc_lo, s4, v58
	v_add_co_ci_u32_e32 v59, vcc_lo, s5, v59, vcc_lo
	global_load_b64 v[56:57], v[56:57], off
	v_add_co_u32 v9, vcc_lo, 0x100, v9
	global_load_b64 v[58:59], v[58:59], off
	v_add_co_ci_u32_e32 v10, vcc_lo, 0, v10, vcc_lo
	v_add_co_u32 v13, vcc_lo, 0x400, v13
	v_add_co_ci_u32_e32 v14, vcc_lo, 0, v14, vcc_lo
	v_add_co_u32 v11, vcc_lo, 0x2000, v11
	v_add_co_ci_u32_e32 v12, vcc_lo, 0, v12, vcc_lo
	v_cmp_ge_i64_e32 vcc_lo, v[9:10], v[2:3]
	s_or_b32 s10, vcc_lo, s10
	s_waitcnt vmcnt(3)
	v_fma_mix_f32 v21, v15, v52, v21 op_sel_hi:[1,1,0]
	v_fma_mix_f32 v23, v17, v52, v23 op_sel_hi:[1,1,0]
	v_fma_mix_f32 v22, v24, v52, v22 op_sel_hi:[1,1,0]
	v_fma_mix_f32 v20, v26, v52, v20 op_sel_hi:[1,1,0]
	s_delay_alu instid0(VALU_DEP_4) | instskip(NEXT) | instid1(VALU_DEP_4)
	v_fma_mix_f32 v15, v15, v52, v21 op_sel:[1,1,0] op_sel_hi:[1,1,0]
	v_fma_mix_f32 v17, v17, v52, v23 op_sel:[1,1,0] op_sel_hi:[1,1,0]
	s_delay_alu instid0(VALU_DEP_4) | instskip(NEXT) | instid1(VALU_DEP_4)
	v_fma_mix_f32 v21, v24, v52, v22 op_sel:[1,1,0] op_sel_hi:[1,1,0]
	v_fma_mix_f32 v20, v26, v52, v20 op_sel:[1,1,0] op_sel_hi:[1,1,0]
	s_delay_alu instid0(VALU_DEP_4) | instskip(NEXT) | instid1(VALU_DEP_4)
	v_fma_mix_f32 v15, v16, v53, v15 op_sel_hi:[1,1,0]
	v_fma_mix_f32 v17, v18, v53, v17 op_sel_hi:[1,1,0]
	s_delay_alu instid0(VALU_DEP_4) | instskip(NEXT) | instid1(VALU_DEP_4)
	v_fma_mix_f32 v21, v25, v53, v21 op_sel_hi:[1,1,0]
	v_fma_mix_f32 v20, v27, v53, v20 op_sel_hi:[1,1,0]
	s_delay_alu instid0(VALU_DEP_4) | instskip(NEXT) | instid1(VALU_DEP_4)
	v_fma_mix_f32 v15, v16, v53, v15 op_sel:[1,1,0] op_sel_hi:[1,1,0]
	v_fma_mix_f32 v16, v18, v53, v17 op_sel:[1,1,0] op_sel_hi:[1,1,0]
	s_delay_alu instid0(VALU_DEP_4) | instskip(NEXT) | instid1(VALU_DEP_4)
	v_fma_mix_f32 v17, v25, v53, v21 op_sel:[1,1,0] op_sel_hi:[1,1,0]
	v_fma_mix_f32 v18, v27, v53, v20 op_sel:[1,1,0] op_sel_hi:[1,1,0]
	s_waitcnt vmcnt(2)
	v_fma_mix_f32 v15, v28, v54, v15 op_sel_hi:[1,1,0]
	v_fma_mix_f32 v16, v30, v54, v16 op_sel_hi:[1,1,0]
	v_fma_mix_f32 v17, v32, v54, v17 op_sel_hi:[1,1,0]
	v_fma_mix_f32 v18, v34, v54, v18 op_sel_hi:[1,1,0]
	s_delay_alu instid0(VALU_DEP_4) | instskip(NEXT) | instid1(VALU_DEP_4)
	v_fma_mix_f32 v15, v28, v54, v15 op_sel:[1,1,0] op_sel_hi:[1,1,0]
	v_fma_mix_f32 v16, v30, v54, v16 op_sel:[1,1,0] op_sel_hi:[1,1,0]
	s_delay_alu instid0(VALU_DEP_4) | instskip(NEXT) | instid1(VALU_DEP_4)
	v_fma_mix_f32 v17, v32, v54, v17 op_sel:[1,1,0] op_sel_hi:[1,1,0]
	v_fma_mix_f32 v18, v34, v54, v18 op_sel:[1,1,0] op_sel_hi:[1,1,0]
	s_delay_alu instid0(VALU_DEP_4) | instskip(NEXT) | instid1(VALU_DEP_4)
	v_fma_mix_f32 v15, v29, v55, v15 op_sel_hi:[1,1,0]
	v_fma_mix_f32 v16, v31, v55, v16 op_sel_hi:[1,1,0]
	s_delay_alu instid0(VALU_DEP_4) | instskip(NEXT) | instid1(VALU_DEP_4)
	v_fma_mix_f32 v17, v33, v55, v17 op_sel_hi:[1,1,0]
	v_fma_mix_f32 v18, v35, v55, v18 op_sel_hi:[1,1,0]
	s_delay_alu instid0(VALU_DEP_4) | instskip(NEXT) | instid1(VALU_DEP_4)
	v_fma_mix_f32 v15, v29, v55, v15 op_sel:[1,1,0] op_sel_hi:[1,1,0]
	v_fma_mix_f32 v16, v31, v55, v16 op_sel:[1,1,0] op_sel_hi:[1,1,0]
	s_delay_alu instid0(VALU_DEP_4) | instskip(NEXT) | instid1(VALU_DEP_4)
	v_fma_mix_f32 v17, v33, v55, v17 op_sel:[1,1,0] op_sel_hi:[1,1,0]
	v_fma_mix_f32 v18, v35, v55, v18 op_sel:[1,1,0] op_sel_hi:[1,1,0]
	;; [unrolled: 23-line block ×4, first 2 shown]
	s_and_not1_b32 exec_lo, exec_lo, s10
	s_cbranch_execnz .LBB99_21
; %bb.22:
	s_or_b32 exec_lo, exec_lo, s10
.LBB99_23:
	s_delay_alu instid0(SALU_CYCLE_1)
	s_or_b32 exec_lo, exec_lo, s7
.LBB99_24:
	s_delay_alu instid0(SALU_CYCLE_1) | instskip(NEXT) | instid1(SALU_CYCLE_1)
	s_or_b32 exec_lo, exec_lo, s6
	s_and_not1_b32 vcc_lo, exec_lo, s3
	s_cbranch_vccz .LBB99_26
	s_branch .LBB99_37
.LBB99_25:
                                        ; implicit-def: $vgpr20
                                        ; implicit-def: $vgpr22
                                        ; implicit-def: $vgpr23
                                        ; implicit-def: $vgpr21
.LBB99_26:
	v_dual_mov_b32 v20, 0 :: v_dual_mov_b32 v23, 0
	v_dual_mov_b32 v22, 0 :: v_dual_mov_b32 v21, 0
	s_delay_alu instid0(VALU_DEP_4)
	s_and_saveexec_b32 s3, s2
	s_cbranch_execz .LBB99_36
; %bb.27:
	v_or_b32_e32 v9, 64, v19
	v_mov_b32_e32 v21, 0
	v_dual_mov_b32 v23, 0 :: v_dual_mov_b32 v22, 0
	v_mov_b32_e32 v20, 0
	s_delay_alu instid0(VALU_DEP_4) | instskip(NEXT) | instid1(VALU_DEP_1)
	v_sub_co_u32 v9, s2, v9, s18
	v_sub_co_ci_u32_e64 v10, null, 0, 0, s2
	v_sub_co_u32 v11, s2, s18, v19
	s_delay_alu instid0(VALU_DEP_3) | instskip(NEXT) | instid1(VALU_DEP_3)
	v_add_co_u32 v9, vcc_lo, v9, v7
	v_add_co_ci_u32_e32 v10, vcc_lo, v10, v8, vcc_lo
	v_not_b32_e32 v7, v7
	v_not_b32_e32 v8, v8
	v_sub_co_ci_u32_e64 v12, null, 0, 0, s2
	s_delay_alu instid0(VALU_DEP_4) | instskip(SKIP_4) | instid1(VALU_DEP_2)
	v_cmp_gt_i64_e32 vcc_lo, v[9:10], v[2:3]
	s_mov_b32 s2, exec_lo
	v_dual_cndmask_b32 v10, v3, v10 :: v_dual_cndmask_b32 v9, v2, v9
	v_add_co_u32 v7, vcc_lo, v11, v7
	v_add_co_ci_u32_e32 v8, vcc_lo, v12, v8, vcc_lo
	v_add_co_u32 v7, vcc_lo, v7, v9
	s_delay_alu instid0(VALU_DEP_2) | instskip(NEXT) | instid1(VALU_DEP_2)
	v_add_co_ci_u32_e32 v8, vcc_lo, v8, v10, vcc_lo
	v_lshrrev_b32_e32 v9, 6, v7
	s_delay_alu instid0(VALU_DEP_1) | instskip(NEXT) | instid1(VALU_DEP_1)
	v_add_nc_u32_e32 v9, 1, v9
	v_and_b32_e32 v9, 3, v9
	s_delay_alu instid0(VALU_DEP_1)
	v_cmpx_ne_u32_e32 0, v9
	s_cbranch_execz .LBB99_31
; %bb.28:
	v_lshlrev_b64 v[11:12], 2, v[0:1]
	v_dual_mov_b32 v10, 0 :: v_dual_lshlrev_b32 v9, 3, v9
	s_mov_b32 s6, 0
	s_delay_alu instid0(VALU_DEP_1) | instskip(NEXT) | instid1(VALU_DEP_3)
	v_mov_b32_e32 v20, v10
	v_add_co_u32 v11, vcc_lo, s8, v11
	s_delay_alu instid0(VALU_DEP_4)
	v_add_co_ci_u32_e32 v12, vcc_lo, s9, v12, vcc_lo
	v_mov_b32_e32 v22, v10
	v_mov_b32_e32 v23, v10
	;; [unrolled: 1-line block ×3, first 2 shown]
.LBB99_29:                              ; =>This Inner Loop Header: Depth=1
	global_load_b32 v17, v[11:12], off
	global_load_b128 v[13:16], v[5:6], off
	s_waitcnt vmcnt(1)
	v_subrev_nc_u32_e32 v17, s18, v17
	s_delay_alu instid0(VALU_DEP_1) | instskip(NEXT) | instid1(VALU_DEP_1)
	v_lshlrev_b32_e32 v17, 2, v17
	v_ashrrev_i32_e32 v18, 31, v17
	s_delay_alu instid0(VALU_DEP_1) | instskip(SKIP_1) | instid1(VALU_DEP_1)
	v_lshlrev_b64 v[17:18], 1, v[17:18]
	s_waitcnt lgkmcnt(0)
	v_add_co_u32 v17, vcc_lo, s4, v17
	s_delay_alu instid0(VALU_DEP_2)
	v_add_co_ci_u32_e32 v18, vcc_lo, s5, v18, vcc_lo
	global_load_b64 v[17:18], v[17:18], off
	global_load_b128 v[24:27], v[5:6], off offset:16
	v_add_co_u32 v5, vcc_lo, 0x800, v5
	v_add_co_ci_u32_e32 v6, vcc_lo, 0, v6, vcc_lo
	v_add_co_u32 v0, vcc_lo, v0, 64
	v_add_co_ci_u32_e32 v1, vcc_lo, 0, v1, vcc_lo
	;; [unrolled: 2-line block ×3, first 2 shown]
	v_add_co_u32 v9, vcc_lo, v9, -8
	v_add_co_ci_u32_e32 v10, vcc_lo, -1, v10, vcc_lo
	s_delay_alu instid0(VALU_DEP_1)
	v_cmp_eq_u64_e32 vcc_lo, 0, v[9:10]
	s_or_b32 s6, vcc_lo, s6
	s_waitcnt vmcnt(1)
	v_fma_mix_f32 v21, v13, v17, v21 op_sel_hi:[1,1,0]
	v_fma_mix_f32 v13, v13, v17, v23 op_sel:[1,0,0] op_sel_hi:[1,1,0]
	v_fma_mix_f32 v22, v14, v17, v22 op_sel_hi:[1,1,0]
	v_fma_mix_f32 v14, v14, v17, v20 op_sel:[1,0,0] op_sel_hi:[1,1,0]
	s_delay_alu instid0(VALU_DEP_4) | instskip(NEXT) | instid1(VALU_DEP_4)
	v_fma_mix_f32 v20, v15, v17, v21 op_sel:[0,1,0] op_sel_hi:[1,1,0]
	v_fma_mix_f32 v13, v15, v17, v13 op_sel:[1,1,0] op_sel_hi:[1,1,0]
	s_delay_alu instid0(VALU_DEP_4) | instskip(NEXT) | instid1(VALU_DEP_4)
	v_fma_mix_f32 v15, v16, v17, v22 op_sel:[0,1,0] op_sel_hi:[1,1,0]
	v_fma_mix_f32 v14, v16, v17, v14 op_sel:[1,1,0] op_sel_hi:[1,1,0]
	s_waitcnt vmcnt(0)
	v_fma_mix_f32 v16, v24, v18, v20 op_sel_hi:[1,1,0]
	v_fma_mix_f32 v13, v24, v18, v13 op_sel:[1,0,0] op_sel_hi:[1,1,0]
	v_fma_mix_f32 v15, v25, v18, v15 op_sel_hi:[1,1,0]
	v_fma_mix_f32 v14, v25, v18, v14 op_sel:[1,0,0] op_sel_hi:[1,1,0]
	s_delay_alu instid0(VALU_DEP_4) | instskip(NEXT) | instid1(VALU_DEP_4)
	v_fma_mix_f32 v21, v26, v18, v16 op_sel:[0,1,0] op_sel_hi:[1,1,0]
	v_fma_mix_f32 v23, v26, v18, v13 op_sel:[1,1,0] op_sel_hi:[1,1,0]
	s_delay_alu instid0(VALU_DEP_4) | instskip(NEXT) | instid1(VALU_DEP_4)
	v_fma_mix_f32 v22, v27, v18, v15 op_sel:[0,1,0] op_sel_hi:[1,1,0]
	v_fma_mix_f32 v20, v27, v18, v14 op_sel:[1,1,0] op_sel_hi:[1,1,0]
	s_and_not1_b32 exec_lo, exec_lo, s6
	s_cbranch_execnz .LBB99_29
; %bb.30:
	s_or_b32 exec_lo, exec_lo, s6
.LBB99_31:
	s_delay_alu instid0(SALU_CYCLE_1) | instskip(NEXT) | instid1(SALU_CYCLE_1)
	s_or_b32 exec_lo, exec_lo, s2
	s_mov_b32 s2, exec_lo
	v_cmpx_lt_u64_e32 0xbf, v[7:8]
	s_cbranch_execz .LBB99_35
; %bb.32:
	v_lshlrev_b64 v[7:8], 2, v[0:1]
	s_mov_b32 s6, 0
	s_delay_alu instid0(VALU_DEP_1) | instskip(NEXT) | instid1(VALU_DEP_2)
	v_add_co_u32 v7, vcc_lo, v7, s8
	v_add_co_ci_u32_e32 v8, vcc_lo, s9, v8, vcc_lo
	s_delay_alu instid0(VALU_DEP_2) | instskip(NEXT) | instid1(VALU_DEP_2)
	v_add_co_u32 v7, vcc_lo, 0x200, v7
	v_add_co_ci_u32_e32 v8, vcc_lo, 0, v8, vcc_lo
.LBB99_33:                              ; =>This Inner Loop Header: Depth=1
	s_clause 0x3
	global_load_b32 v44, v[7:8], off offset:-512
	global_load_b32 v45, v[7:8], off offset:-256
	global_load_b32 v46, v[7:8], off
	global_load_b32 v47, v[7:8], off offset:256
	v_add_co_u32 v17, vcc_lo, 0x1000, v5
	v_add_co_ci_u32_e32 v18, vcc_lo, 0, v6, vcc_lo
	s_clause 0x6
	global_load_b128 v[9:12], v[5:6], off
	global_load_b128 v[13:16], v[5:6], off offset:16
	global_load_b128 v[24:27], v[5:6], off offset:2048
	;; [unrolled: 1-line block ×3, first 2 shown]
	global_load_b128 v[32:35], v[17:18], off
	global_load_b128 v[36:39], v[17:18], off offset:16
	global_load_b128 v[40:43], v[17:18], off offset:2048
	s_waitcnt vmcnt(10)
	v_subrev_nc_u32_e32 v44, s18, v44
	s_waitcnt vmcnt(9)
	v_subrev_nc_u32_e32 v45, s18, v45
	;; [unrolled: 2-line block ×4, first 2 shown]
	v_lshlrev_b32_e32 v44, 2, v44
	v_lshlrev_b32_e32 v46, 2, v45
	;; [unrolled: 1-line block ×3, first 2 shown]
	s_delay_alu instid0(VALU_DEP_4) | instskip(NEXT) | instid1(VALU_DEP_4)
	v_lshlrev_b32_e32 v50, 2, v47
	v_ashrrev_i32_e32 v45, 31, v44
	s_delay_alu instid0(VALU_DEP_4) | instskip(NEXT) | instid1(VALU_DEP_4)
	v_ashrrev_i32_e32 v47, 31, v46
	v_ashrrev_i32_e32 v49, 31, v48
	s_delay_alu instid0(VALU_DEP_4) | instskip(NEXT) | instid1(VALU_DEP_4)
	v_ashrrev_i32_e32 v51, 31, v50
	v_lshlrev_b64 v[44:45], 1, v[44:45]
	s_waitcnt lgkmcnt(0)
	s_delay_alu instid0(VALU_DEP_1) | instskip(NEXT) | instid1(VALU_DEP_2)
	v_add_co_u32 v44, vcc_lo, s4, v44
	v_add_co_ci_u32_e32 v45, vcc_lo, s5, v45, vcc_lo
	global_load_b64 v[52:53], v[44:45], off
	v_lshlrev_b64 v[44:45], 1, v[46:47]
	s_delay_alu instid0(VALU_DEP_1) | instskip(NEXT) | instid1(VALU_DEP_2)
	v_add_co_u32 v44, vcc_lo, s4, v44
	v_add_co_ci_u32_e32 v45, vcc_lo, s5, v45, vcc_lo
	global_load_b64 v[54:55], v[44:45], off
	v_lshlrev_b64 v[44:45], 1, v[48:49]
	;; [unrolled: 5-line block ×3, first 2 shown]
	s_delay_alu instid0(VALU_DEP_1) | instskip(NEXT) | instid1(VALU_DEP_2)
	v_add_co_u32 v44, vcc_lo, s4, v44
	v_add_co_ci_u32_e32 v45, vcc_lo, s5, v45, vcc_lo
	global_load_b64 v[50:51], v[44:45], off
	global_load_b128 v[44:47], v[17:18], off offset:2064
	v_add_co_u32 v0, vcc_lo, 0x100, v0
	v_add_co_ci_u32_e32 v1, vcc_lo, 0, v1, vcc_lo
	v_add_co_u32 v7, vcc_lo, 0x400, v7
	v_add_co_ci_u32_e32 v8, vcc_lo, 0, v8, vcc_lo
	;; [unrolled: 2-line block ×3, first 2 shown]
	v_cmp_ge_i64_e32 vcc_lo, v[0:1], v[2:3]
	s_or_b32 s6, vcc_lo, s6
	s_waitcnt vmcnt(4)
	v_fma_mix_f32 v17, v9, v52, v21 op_sel_hi:[1,1,0]
	v_fma_mix_f32 v9, v9, v52, v23 op_sel:[1,0,0] op_sel_hi:[1,1,0]
	v_fma_mix_f32 v18, v10, v52, v22 op_sel_hi:[1,1,0]
	v_fma_mix_f32 v10, v10, v52, v20 op_sel:[1,0,0] op_sel_hi:[1,1,0]
	s_delay_alu instid0(VALU_DEP_4) | instskip(NEXT) | instid1(VALU_DEP_4)
	v_fma_mix_f32 v17, v11, v52, v17 op_sel:[0,1,0] op_sel_hi:[1,1,0]
	v_fma_mix_f32 v9, v11, v52, v9 op_sel:[1,1,0] op_sel_hi:[1,1,0]
	s_delay_alu instid0(VALU_DEP_4) | instskip(NEXT) | instid1(VALU_DEP_4)
	v_fma_mix_f32 v11, v12, v52, v18 op_sel:[0,1,0] op_sel_hi:[1,1,0]
	v_fma_mix_f32 v10, v12, v52, v10 op_sel:[1,1,0] op_sel_hi:[1,1,0]
	s_delay_alu instid0(VALU_DEP_4) | instskip(NEXT) | instid1(VALU_DEP_4)
	v_fma_mix_f32 v12, v13, v53, v17 op_sel_hi:[1,1,0]
	v_fma_mix_f32 v9, v13, v53, v9 op_sel:[1,0,0] op_sel_hi:[1,1,0]
	s_delay_alu instid0(VALU_DEP_4) | instskip(NEXT) | instid1(VALU_DEP_4)
	v_fma_mix_f32 v11, v14, v53, v11 op_sel_hi:[1,1,0]
	v_fma_mix_f32 v10, v14, v53, v10 op_sel:[1,0,0] op_sel_hi:[1,1,0]
	s_delay_alu instid0(VALU_DEP_4) | instskip(NEXT) | instid1(VALU_DEP_4)
	v_fma_mix_f32 v12, v15, v53, v12 op_sel:[0,1,0] op_sel_hi:[1,1,0]
	v_fma_mix_f32 v9, v15, v53, v9 op_sel:[1,1,0] op_sel_hi:[1,1,0]
	s_delay_alu instid0(VALU_DEP_4) | instskip(NEXT) | instid1(VALU_DEP_4)
	v_fma_mix_f32 v11, v16, v53, v11 op_sel:[0,1,0] op_sel_hi:[1,1,0]
	v_fma_mix_f32 v10, v16, v53, v10 op_sel:[1,1,0] op_sel_hi:[1,1,0]
	s_waitcnt vmcnt(3)
	v_fma_mix_f32 v12, v24, v54, v12 op_sel_hi:[1,1,0]
	v_fma_mix_f32 v9, v24, v54, v9 op_sel:[1,0,0] op_sel_hi:[1,1,0]
	v_fma_mix_f32 v11, v25, v54, v11 op_sel_hi:[1,1,0]
	v_fma_mix_f32 v10, v25, v54, v10 op_sel:[1,0,0] op_sel_hi:[1,1,0]
	s_delay_alu instid0(VALU_DEP_4) | instskip(NEXT) | instid1(VALU_DEP_4)
	v_fma_mix_f32 v12, v26, v54, v12 op_sel:[0,1,0] op_sel_hi:[1,1,0]
	v_fma_mix_f32 v9, v26, v54, v9 op_sel:[1,1,0] op_sel_hi:[1,1,0]
	s_delay_alu instid0(VALU_DEP_4) | instskip(NEXT) | instid1(VALU_DEP_4)
	v_fma_mix_f32 v11, v27, v54, v11 op_sel:[0,1,0] op_sel_hi:[1,1,0]
	v_fma_mix_f32 v10, v27, v54, v10 op_sel:[1,1,0] op_sel_hi:[1,1,0]
	s_delay_alu instid0(VALU_DEP_4) | instskip(NEXT) | instid1(VALU_DEP_4)
	v_fma_mix_f32 v12, v28, v55, v12 op_sel_hi:[1,1,0]
	v_fma_mix_f32 v9, v28, v55, v9 op_sel:[1,0,0] op_sel_hi:[1,1,0]
	s_delay_alu instid0(VALU_DEP_4) | instskip(NEXT) | instid1(VALU_DEP_4)
	v_fma_mix_f32 v11, v29, v55, v11 op_sel_hi:[1,1,0]
	v_fma_mix_f32 v10, v29, v55, v10 op_sel:[1,0,0] op_sel_hi:[1,1,0]
	s_delay_alu instid0(VALU_DEP_4) | instskip(NEXT) | instid1(VALU_DEP_4)
	v_fma_mix_f32 v12, v30, v55, v12 op_sel:[0,1,0] op_sel_hi:[1,1,0]
	v_fma_mix_f32 v9, v30, v55, v9 op_sel:[1,1,0] op_sel_hi:[1,1,0]
	s_delay_alu instid0(VALU_DEP_4) | instskip(NEXT) | instid1(VALU_DEP_4)
	v_fma_mix_f32 v11, v31, v55, v11 op_sel:[0,1,0] op_sel_hi:[1,1,0]
	v_fma_mix_f32 v10, v31, v55, v10 op_sel:[1,1,0] op_sel_hi:[1,1,0]
	;; [unrolled: 23-line block ×3, first 2 shown]
	s_waitcnt vmcnt(1)
	v_fma_mix_f32 v12, v40, v50, v12 op_sel_hi:[1,1,0]
	v_fma_mix_f32 v9, v40, v50, v9 op_sel:[1,0,0] op_sel_hi:[1,1,0]
	v_fma_mix_f32 v11, v41, v50, v11 op_sel_hi:[1,1,0]
	v_fma_mix_f32 v10, v41, v50, v10 op_sel:[1,0,0] op_sel_hi:[1,1,0]
	s_delay_alu instid0(VALU_DEP_4) | instskip(NEXT) | instid1(VALU_DEP_4)
	v_fma_mix_f32 v12, v42, v50, v12 op_sel:[0,1,0] op_sel_hi:[1,1,0]
	v_fma_mix_f32 v9, v42, v50, v9 op_sel:[1,1,0] op_sel_hi:[1,1,0]
	s_delay_alu instid0(VALU_DEP_4) | instskip(NEXT) | instid1(VALU_DEP_4)
	v_fma_mix_f32 v11, v43, v50, v11 op_sel:[0,1,0] op_sel_hi:[1,1,0]
	v_fma_mix_f32 v10, v43, v50, v10 op_sel:[1,1,0] op_sel_hi:[1,1,0]
	s_waitcnt vmcnt(0)
	v_fma_mix_f32 v12, v44, v51, v12 op_sel_hi:[1,1,0]
	v_fma_mix_f32 v9, v44, v51, v9 op_sel:[1,0,0] op_sel_hi:[1,1,0]
	v_fma_mix_f32 v11, v45, v51, v11 op_sel_hi:[1,1,0]
	v_fma_mix_f32 v10, v45, v51, v10 op_sel:[1,0,0] op_sel_hi:[1,1,0]
	s_delay_alu instid0(VALU_DEP_4) | instskip(NEXT) | instid1(VALU_DEP_4)
	v_fma_mix_f32 v21, v46, v51, v12 op_sel:[0,1,0] op_sel_hi:[1,1,0]
	v_fma_mix_f32 v23, v46, v51, v9 op_sel:[1,1,0] op_sel_hi:[1,1,0]
	s_delay_alu instid0(VALU_DEP_4) | instskip(NEXT) | instid1(VALU_DEP_4)
	v_fma_mix_f32 v22, v47, v51, v11 op_sel:[0,1,0] op_sel_hi:[1,1,0]
	v_fma_mix_f32 v20, v47, v51, v10 op_sel:[1,1,0] op_sel_hi:[1,1,0]
	s_and_not1_b32 exec_lo, exec_lo, s6
	s_cbranch_execnz .LBB99_33
; %bb.34:
	s_or_b32 exec_lo, exec_lo, s6
.LBB99_35:
	s_delay_alu instid0(SALU_CYCLE_1)
	s_or_b32 exec_lo, exec_lo, s2
.LBB99_36:
	s_delay_alu instid0(SALU_CYCLE_1)
	s_or_b32 exec_lo, exec_lo, s3
.LBB99_37:
	v_mbcnt_lo_u32_b32 v0, -1, 0
	s_mov_b32 s2, -1
	s_delay_alu instid0(VALU_DEP_1) | instskip(SKIP_2) | instid1(VALU_DEP_3)
	v_or_b32_e32 v1, 32, v0
	v_xor_b32_e32 v6, 16, v0
	v_xor_b32_e32 v10, 8, v0
	v_cmp_gt_i32_e32 vcc_lo, 32, v1
	v_cndmask_b32_e32 v1, v0, v1, vcc_lo
	s_delay_alu instid0(VALU_DEP_4) | instskip(SKIP_2) | instid1(VALU_DEP_2)
	v_cmp_gt_i32_e32 vcc_lo, 32, v6
	v_cndmask_b32_e32 v6, v0, v6, vcc_lo
	v_cmp_gt_i32_e32 vcc_lo, 32, v10
	v_lshlrev_b32_e32 v6, 2, v6
	v_dual_cndmask_b32 v10, v0, v10 :: v_dual_lshlrev_b32 v1, 2, v1
	ds_bpermute_b32 v2, v1, v21
	v_lshlrev_b32_e32 v10, 2, v10
	s_waitcnt lgkmcnt(0)
	v_add_f32_e32 v2, v21, v2
	ds_bpermute_b32 v3, v1, v23
	ds_bpermute_b32 v5, v1, v22
	;; [unrolled: 1-line block ×4, first 2 shown]
	s_waitcnt lgkmcnt(3)
	v_add_f32_e32 v3, v23, v3
	s_waitcnt lgkmcnt(2)
	v_add_f32_e32 v5, v22, v5
	;; [unrolled: 2-line block ×3, first 2 shown]
	ds_bpermute_b32 v8, v6, v3
	ds_bpermute_b32 v9, v6, v5
	;; [unrolled: 1-line block ×3, first 2 shown]
	s_waitcnt lgkmcnt(2)
	v_dual_add_f32 v2, v2, v7 :: v_dual_add_f32 v3, v3, v8
	s_waitcnt lgkmcnt(1)
	v_add_f32_e32 v5, v5, v9
	s_waitcnt lgkmcnt(0)
	v_add_f32_e32 v1, v1, v6
	ds_bpermute_b32 v6, v10, v2
	ds_bpermute_b32 v7, v10, v3
	;; [unrolled: 1-line block ×4, first 2 shown]
	v_xor_b32_e32 v10, 4, v0
	s_delay_alu instid0(VALU_DEP_1) | instskip(SKIP_1) | instid1(VALU_DEP_1)
	v_cmp_gt_i32_e32 vcc_lo, 32, v10
	v_cndmask_b32_e32 v10, v0, v10, vcc_lo
	v_lshlrev_b32_e32 v10, 2, v10
	s_waitcnt lgkmcnt(2)
	v_dual_add_f32 v2, v2, v6 :: v_dual_add_f32 v3, v3, v7
	s_waitcnt lgkmcnt(1)
	v_add_f32_e32 v5, v5, v8
	s_waitcnt lgkmcnt(0)
	v_add_f32_e32 v1, v1, v9
	ds_bpermute_b32 v6, v10, v2
	ds_bpermute_b32 v7, v10, v3
	;; [unrolled: 1-line block ×4, first 2 shown]
	v_xor_b32_e32 v10, 2, v0
	s_delay_alu instid0(VALU_DEP_1) | instskip(SKIP_1) | instid1(VALU_DEP_1)
	v_cmp_gt_i32_e32 vcc_lo, 32, v10
	v_cndmask_b32_e32 v10, v0, v10, vcc_lo
	v_lshlrev_b32_e32 v10, 2, v10
	s_waitcnt lgkmcnt(2)
	v_dual_add_f32 v2, v2, v6 :: v_dual_add_f32 v3, v3, v7
	s_waitcnt lgkmcnt(1)
	v_add_f32_e32 v5, v5, v8
	ds_bpermute_b32 v7, v10, v3
	s_waitcnt lgkmcnt(1)
	v_add_f32_e32 v6, v1, v9
	ds_bpermute_b32 v1, v10, v2
	ds_bpermute_b32 v8, v10, v5
	;; [unrolled: 1-line block ×3, first 2 shown]
	v_xor_b32_e32 v10, 1, v0
	s_delay_alu instid0(VALU_DEP_1) | instskip(SKIP_2) | instid1(VALU_DEP_2)
	v_cmp_gt_i32_e32 vcc_lo, 32, v10
	v_cndmask_b32_e32 v0, v0, v10, vcc_lo
	v_cmp_eq_u32_e32 vcc_lo, 63, v19
	v_lshlrev_b32_e32 v10, 2, v0
	s_waitcnt lgkmcnt(2)
	v_dual_add_f32 v0, v2, v1 :: v_dual_add_f32 v1, v3, v7
	s_waitcnt lgkmcnt(0)
	v_dual_add_f32 v2, v5, v8 :: v_dual_add_f32 v3, v6, v9
	ds_bpermute_b32 v5, v10, v0
	ds_bpermute_b32 v6, v10, v1
	;; [unrolled: 1-line block ×4, first 2 shown]
	s_and_b32 exec_lo, exec_lo, vcc_lo
	s_cbranch_execz .LBB99_10
; %bb.38:
	s_load_b64 s[0:1], s[0:1], 0x50
	s_waitcnt lgkmcnt(0)
	v_dual_add_f32 v0, v0, v5 :: v_dual_add_f32 v1, v1, v6
	v_dual_add_f32 v2, v2, v7 :: v_dual_add_f32 v3, v3, v8
	v_cmp_eq_f32_e64 s3, s12, 0
	s_delay_alu instid0(VALU_DEP_3) | instskip(NEXT) | instid1(VALU_DEP_3)
	v_dual_mul_f32 v0, s16, v0 :: v_dual_mul_f32 v1, s16, v1
	v_dual_mul_f32 v2, s16, v2 :: v_dual_mul_f32 v3, s16, v3
	v_lshlrev_b32_e32 v4, 2, v4
	s_delay_alu instid0(VALU_DEP_4)
	s_and_b32 vcc_lo, exec_lo, s3
	s_cbranch_vccz .LBB99_40
; %bb.39:
	s_delay_alu instid0(VALU_DEP_1) | instskip(SKIP_1) | instid1(VALU_DEP_1)
	v_ashrrev_i32_e32 v5, 31, v4
	s_mov_b32 s2, 0
	v_lshlrev_b64 v[5:6], 2, v[4:5]
	s_delay_alu instid0(VALU_DEP_1) | instskip(NEXT) | instid1(VALU_DEP_2)
	v_add_co_u32 v5, vcc_lo, s0, v5
	v_add_co_ci_u32_e32 v6, vcc_lo, s1, v6, vcc_lo
	global_store_b128 v[5:6], v[0:3], off
.LBB99_40:
	s_and_not1_b32 vcc_lo, exec_lo, s2
	s_cbranch_vccnz .LBB99_10
; %bb.41:
	v_ashrrev_i32_e32 v5, 31, v4
	s_delay_alu instid0(VALU_DEP_1) | instskip(NEXT) | instid1(VALU_DEP_1)
	v_lshlrev_b64 v[4:5], 2, v[4:5]
	v_add_co_u32 v8, vcc_lo, s0, v4
	s_delay_alu instid0(VALU_DEP_2)
	v_add_co_ci_u32_e32 v9, vcc_lo, s1, v5, vcc_lo
	global_load_b128 v[4:7], v[8:9], off
	s_waitcnt vmcnt(0)
	v_dual_fmac_f32 v0, s12, v4 :: v_dual_fmac_f32 v1, s12, v5
	v_dual_fmac_f32 v2, s12, v6 :: v_dual_fmac_f32 v3, s12, v7
	global_store_b128 v[8:9], v[0:3], off
	s_nop 0
	s_sendmsg sendmsg(MSG_DEALLOC_VGPRS)
	s_endpgm
	.section	.rodata,"a",@progbits
	.p2align	6, 0x0
	.amdhsa_kernel _ZN9rocsparseL18bsrxmvn_4x4_kernelILj128ELj64EfliDF16_DF16_fEEvT3_20rocsparse_direction_NS_24const_host_device_scalarIT1_EES1_PKS1_PKT2_SA_S7_PKT4_PKT5_S5_PT6_21rocsparse_index_base_b
		.amdhsa_group_segment_fixed_size 0
		.amdhsa_private_segment_fixed_size 0
		.amdhsa_kernarg_size 96
		.amdhsa_user_sgpr_count 15
		.amdhsa_user_sgpr_dispatch_ptr 0
		.amdhsa_user_sgpr_queue_ptr 0
		.amdhsa_user_sgpr_kernarg_segment_ptr 1
		.amdhsa_user_sgpr_dispatch_id 0
		.amdhsa_user_sgpr_private_segment_size 0
		.amdhsa_wavefront_size32 1
		.amdhsa_uses_dynamic_stack 0
		.amdhsa_enable_private_segment 0
		.amdhsa_system_sgpr_workgroup_id_x 1
		.amdhsa_system_sgpr_workgroup_id_y 0
		.amdhsa_system_sgpr_workgroup_id_z 0
		.amdhsa_system_sgpr_workgroup_info 0
		.amdhsa_system_vgpr_workitem_id 0
		.amdhsa_next_free_vgpr 60
		.amdhsa_next_free_sgpr 20
		.amdhsa_reserve_vcc 1
		.amdhsa_float_round_mode_32 0
		.amdhsa_float_round_mode_16_64 0
		.amdhsa_float_denorm_mode_32 3
		.amdhsa_float_denorm_mode_16_64 3
		.amdhsa_dx10_clamp 1
		.amdhsa_ieee_mode 1
		.amdhsa_fp16_overflow 0
		.amdhsa_workgroup_processor_mode 1
		.amdhsa_memory_ordered 1
		.amdhsa_forward_progress 0
		.amdhsa_shared_vgpr_count 0
		.amdhsa_exception_fp_ieee_invalid_op 0
		.amdhsa_exception_fp_denorm_src 0
		.amdhsa_exception_fp_ieee_div_zero 0
		.amdhsa_exception_fp_ieee_overflow 0
		.amdhsa_exception_fp_ieee_underflow 0
		.amdhsa_exception_fp_ieee_inexact 0
		.amdhsa_exception_int_div_zero 0
	.end_amdhsa_kernel
	.section	.text._ZN9rocsparseL18bsrxmvn_4x4_kernelILj128ELj64EfliDF16_DF16_fEEvT3_20rocsparse_direction_NS_24const_host_device_scalarIT1_EES1_PKS1_PKT2_SA_S7_PKT4_PKT5_S5_PT6_21rocsparse_index_base_b,"axG",@progbits,_ZN9rocsparseL18bsrxmvn_4x4_kernelILj128ELj64EfliDF16_DF16_fEEvT3_20rocsparse_direction_NS_24const_host_device_scalarIT1_EES1_PKS1_PKT2_SA_S7_PKT4_PKT5_S5_PT6_21rocsparse_index_base_b,comdat
.Lfunc_end99:
	.size	_ZN9rocsparseL18bsrxmvn_4x4_kernelILj128ELj64EfliDF16_DF16_fEEvT3_20rocsparse_direction_NS_24const_host_device_scalarIT1_EES1_PKS1_PKT2_SA_S7_PKT4_PKT5_S5_PT6_21rocsparse_index_base_b, .Lfunc_end99-_ZN9rocsparseL18bsrxmvn_4x4_kernelILj128ELj64EfliDF16_DF16_fEEvT3_20rocsparse_direction_NS_24const_host_device_scalarIT1_EES1_PKS1_PKT2_SA_S7_PKT4_PKT5_S5_PT6_21rocsparse_index_base_b
                                        ; -- End function
	.section	.AMDGPU.csdata,"",@progbits
; Kernel info:
; codeLenInByte = 4584
; NumSgprs: 22
; NumVgprs: 60
; ScratchSize: 0
; MemoryBound: 0
; FloatMode: 240
; IeeeMode: 1
; LDSByteSize: 0 bytes/workgroup (compile time only)
; SGPRBlocks: 2
; VGPRBlocks: 7
; NumSGPRsForWavesPerEU: 22
; NumVGPRsForWavesPerEU: 60
; Occupancy: 16
; WaveLimiterHint : 1
; COMPUTE_PGM_RSRC2:SCRATCH_EN: 0
; COMPUTE_PGM_RSRC2:USER_SGPR: 15
; COMPUTE_PGM_RSRC2:TRAP_HANDLER: 0
; COMPUTE_PGM_RSRC2:TGID_X_EN: 1
; COMPUTE_PGM_RSRC2:TGID_Y_EN: 0
; COMPUTE_PGM_RSRC2:TGID_Z_EN: 0
; COMPUTE_PGM_RSRC2:TIDIG_COMP_CNT: 0
	.section	.text._ZN9rocsparseL18bsrxmvn_4x4_kernelILj128ELj4EfllDF16_DF16_fEEvT3_20rocsparse_direction_NS_24const_host_device_scalarIT1_EES1_PKS1_PKT2_SA_S7_PKT4_PKT5_S5_PT6_21rocsparse_index_base_b,"axG",@progbits,_ZN9rocsparseL18bsrxmvn_4x4_kernelILj128ELj4EfllDF16_DF16_fEEvT3_20rocsparse_direction_NS_24const_host_device_scalarIT1_EES1_PKS1_PKT2_SA_S7_PKT4_PKT5_S5_PT6_21rocsparse_index_base_b,comdat
	.globl	_ZN9rocsparseL18bsrxmvn_4x4_kernelILj128ELj4EfllDF16_DF16_fEEvT3_20rocsparse_direction_NS_24const_host_device_scalarIT1_EES1_PKS1_PKT2_SA_S7_PKT4_PKT5_S5_PT6_21rocsparse_index_base_b ; -- Begin function _ZN9rocsparseL18bsrxmvn_4x4_kernelILj128ELj4EfllDF16_DF16_fEEvT3_20rocsparse_direction_NS_24const_host_device_scalarIT1_EES1_PKS1_PKT2_SA_S7_PKT4_PKT5_S5_PT6_21rocsparse_index_base_b
	.p2align	8
	.type	_ZN9rocsparseL18bsrxmvn_4x4_kernelILj128ELj4EfllDF16_DF16_fEEvT3_20rocsparse_direction_NS_24const_host_device_scalarIT1_EES1_PKS1_PKT2_SA_S7_PKT4_PKT5_S5_PT6_21rocsparse_index_base_b,@function
_ZN9rocsparseL18bsrxmvn_4x4_kernelILj128ELj4EfllDF16_DF16_fEEvT3_20rocsparse_direction_NS_24const_host_device_scalarIT1_EES1_PKS1_PKT2_SA_S7_PKT4_PKT5_S5_PT6_21rocsparse_index_base_b: ; @_ZN9rocsparseL18bsrxmvn_4x4_kernelILj128ELj4EfllDF16_DF16_fEEvT3_20rocsparse_direction_NS_24const_host_device_scalarIT1_EES1_PKS1_PKT2_SA_S7_PKT4_PKT5_S5_PT6_21rocsparse_index_base_b
; %bb.0:
	s_clause 0x2
	s_load_b64 s[20:21], s[0:1], 0x60
	s_load_b128 s[16:19], s[0:1], 0x10
	s_load_b64 s[12:13], s[0:1], 0x50
	s_waitcnt lgkmcnt(0)
	s_bitcmp1_b32 s21, 0
	s_cselect_b32 s2, -1, 0
	s_delay_alu instid0(SALU_CYCLE_1)
	s_and_b32 vcc_lo, exec_lo, s2
	s_xor_b32 s2, s2, -1
	s_cbranch_vccnz .LBB100_2
; %bb.1:
	s_load_b32 s16, s[16:17], 0x0
.LBB100_2:
	s_and_not1_b32 vcc_lo, exec_lo, s2
	s_cbranch_vccnz .LBB100_4
; %bb.3:
	s_load_b32 s12, s[12:13], 0x0
.LBB100_4:
	s_waitcnt lgkmcnt(0)
	v_cmp_neq_f32_e64 s2, s16, 0
	v_cmp_neq_f32_e64 s3, s12, 1.0
	s_mov_b32 s4, 0
	s_delay_alu instid0(VALU_DEP_1) | instskip(NEXT) | instid1(SALU_CYCLE_1)
	s_or_b32 s2, s2, s3
	s_and_not1_b32 vcc_lo, exec_lo, s2
	s_cbranch_vccnz .LBB100_10
; %bb.5:
	s_load_b64 s[2:3], s[0:1], 0x20
	v_lshrrev_b32_e32 v1, 2, v0
	v_mov_b32_e32 v2, 0
	s_delay_alu instid0(VALU_DEP_2)
	v_lshl_or_b32 v1, s15, 5, v1
	s_waitcnt lgkmcnt(0)
	s_cmp_lg_u64 s[2:3], 0
	s_cbranch_scc0 .LBB100_11
; %bb.6:
	s_mov_b32 s5, 0
	s_mov_b32 s6, exec_lo
                                        ; implicit-def: $vgpr3_vgpr4
	v_cmpx_gt_i64_e64 s[18:19], v[1:2]
	s_xor_b32 s6, exec_lo, s6
                                        ; implicit-def: $sgpr14_sgpr15
	s_cbranch_execz .LBB100_8
; %bb.7:
	v_lshlrev_b64 v[3:4], 3, v[1:2]
	s_mov_b32 s4, exec_lo
	s_mov_b32 s15, 0
	s_delay_alu instid0(VALU_DEP_1) | instskip(NEXT) | instid1(VALU_DEP_2)
	v_add_co_u32 v3, vcc_lo, s2, v3
	v_add_co_ci_u32_e32 v4, vcc_lo, s3, v4, vcc_lo
	global_load_b64 v[3:4], v[3:4], off
	s_waitcnt vmcnt(0)
	v_sub_co_u32 v3, vcc_lo, v3, s20
	v_subrev_co_ci_u32_e32 v4, vcc_lo, 0, v4, vcc_lo
.LBB100_8:
	s_or_b32 exec_lo, exec_lo, s6
	s_delay_alu instid0(SALU_CYCLE_1)
	s_and_b32 vcc_lo, exec_lo, s5
	s_cbranch_vccnz .LBB100_12
.LBB100_9:
	s_and_saveexec_b32 s2, s4
	s_cbranch_execnz .LBB100_15
.LBB100_10:
	s_nop 0
	s_sendmsg sendmsg(MSG_DEALLOC_VGPRS)
	s_endpgm
.LBB100_11:
                                        ; implicit-def: $vgpr3_vgpr4
                                        ; implicit-def: $sgpr14_sgpr15
	s_cbranch_execz .LBB100_9
.LBB100_12:
	s_load_b64 s[2:3], s[0:1], 0x0
                                        ; implicit-def: $vgpr3_vgpr4
	s_waitcnt lgkmcnt(0)
	v_cmp_gt_i64_e32 vcc_lo, s[2:3], v[1:2]
	s_and_saveexec_b32 s2, vcc_lo
                                        ; implicit-def: $sgpr14_sgpr15
; %bb.13:
	v_dual_mov_b32 v4, v2 :: v_dual_mov_b32 v3, v1
	s_mov_b32 s15, 0
	s_or_b32 s4, s4, exec_lo
; %bb.14:
	s_or_b32 exec_lo, exec_lo, s2
	s_and_saveexec_b32 s2, s4
	s_cbranch_execz .LBB100_10
.LBB100_15:
	s_load_b256 s[4:11], s[0:1], 0x28
	v_lshlrev_b64 v[1:2], 3, v[3:4]
	s_load_b32 s3, s[0:1], 0x8
	v_mov_b32_e32 v21, 0
	s_waitcnt lgkmcnt(0)
	s_delay_alu instid0(VALU_DEP_2) | instskip(NEXT) | instid1(VALU_DEP_3)
	v_add_co_u32 v5, vcc_lo, s4, v1
	v_add_co_ci_u32_e32 v6, vcc_lo, s5, v2, vcc_lo
	v_add_co_u32 v1, vcc_lo, s6, v1
	v_add_co_ci_u32_e32 v2, vcc_lo, s7, v2, vcc_lo
	s_delay_alu instid0(VALU_DEP_4)
	v_add_co_u32 v7, vcc_lo, v5, 8
	global_load_b64 v[9:10], v[5:6], off
	v_add_co_ci_u32_e32 v8, vcc_lo, 0, v6, vcc_lo
	s_cmp_eq_u64 s[6:7], 0
	s_load_b64 s[4:5], s[0:1], 0x48
	s_cselect_b32 vcc_lo, -1, 0
	s_cmp_eq_u32 s3, 1
	v_dual_cndmask_b32 v2, v2, v8 :: v_dual_cndmask_b32 v1, v1, v7
	global_load_b64 v[5:6], v[1:2], off
	v_and_b32_e32 v2, 3, v0
	s_waitcnt vmcnt(1)
	v_sub_co_u32 v0, vcc_lo, v9, s20
	v_subrev_co_ci_u32_e32 v1, vcc_lo, s15, v10, vcc_lo
	s_delay_alu instid0(VALU_DEP_2) | instskip(NEXT) | instid1(VALU_DEP_2)
	v_add_co_u32 v0, vcc_lo, v0, v2
	v_add_co_ci_u32_e32 v1, vcc_lo, 0, v1, vcc_lo
	s_delay_alu instid0(VALU_DEP_1) | instskip(SKIP_3) | instid1(VALU_DEP_3)
	v_lshlrev_b64 v[7:8], 5, v[0:1]
	s_waitcnt vmcnt(0)
	v_sub_co_u32 v5, vcc_lo, v5, s20
	v_subrev_co_ci_u32_e32 v6, vcc_lo, s15, v6, vcc_lo
	v_add_co_u32 v7, vcc_lo, s10, v7
	s_delay_alu instid0(VALU_DEP_2)
	v_cmp_lt_i64_e64 s2, v[0:1], v[5:6]
	v_add_co_ci_u32_e32 v8, vcc_lo, s11, v8, vcc_lo
	s_cbranch_scc1 .LBB100_27
; %bb.16:
	v_dual_mov_b32 v23, 0 :: v_dual_mov_b32 v24, 0
	v_mov_b32_e32 v22, 0
	s_mov_b32 s6, 0
	s_and_saveexec_b32 s7, s2
	s_cbranch_execz .LBB100_26
; %bb.17:
	v_or_b32_e32 v11, 4, v2
	v_not_b32_e32 v14, v9
	v_not_b32_e32 v13, v10
	v_mov_b32_e32 v23, 0
	v_mov_b32_e32 v21, 0
	v_sub_co_u32 v11, s3, v11, s20
	s_delay_alu instid0(VALU_DEP_1) | instskip(SKIP_1) | instid1(VALU_DEP_3)
	v_sub_co_ci_u32_e64 v12, null, 0, s15, s3
	v_sub_co_u32 v15, s3, s20, v2
	v_add_co_u32 v11, vcc_lo, v11, v9
	s_delay_alu instid0(VALU_DEP_3) | instskip(SKIP_2) | instid1(VALU_DEP_2)
	v_add_co_ci_u32_e32 v12, vcc_lo, v12, v10, vcc_lo
	v_sub_co_ci_u32_e64 v16, null, s15, 0, s3
	s_mov_b32 s3, exec_lo
	v_cmp_gt_i64_e32 vcc_lo, v[11:12], v[5:6]
	v_mov_b32_e32 v22, 0
	v_mov_b32_e32 v24, 0
	v_dual_cndmask_b32 v12, v6, v12 :: v_dual_cndmask_b32 v11, v5, v11
	v_add_co_u32 v14, vcc_lo, v15, v14
	v_add_co_ci_u32_e32 v13, vcc_lo, v16, v13, vcc_lo
	s_delay_alu instid0(VALU_DEP_2) | instskip(NEXT) | instid1(VALU_DEP_2)
	v_add_co_u32 v15, vcc_lo, v14, v11
	v_add_co_ci_u32_e32 v16, vcc_lo, v13, v12, vcc_lo
	v_mov_b32_e32 v14, v8
	s_delay_alu instid0(VALU_DEP_3) | instskip(SKIP_1) | instid1(VALU_DEP_2)
	v_lshrrev_b32_e32 v11, 2, v15
	v_mov_b32_e32 v13, v7
	v_add_nc_u32_e32 v11, 1, v11
	s_delay_alu instid0(VALU_DEP_1) | instskip(SKIP_1) | instid1(VALU_DEP_2)
	v_dual_mov_b32 v12, v1 :: v_dual_and_b32 v17, 3, v11
	v_mov_b32_e32 v11, v0
	v_cmpx_ne_u32_e32 0, v17
	s_cbranch_execz .LBB100_21
; %bb.18:
	v_lshlrev_b64 v[11:12], 3, v[0:1]
	v_dual_mov_b32 v18, 0 :: v_dual_lshlrev_b32 v17, 2, v17
	v_dual_mov_b32 v14, v8 :: v_dual_mov_b32 v13, v7
	s_mov_b32 s10, 0
	s_delay_alu instid0(VALU_DEP_3) | instskip(NEXT) | instid1(VALU_DEP_4)
	v_add_co_u32 v19, vcc_lo, s8, v11
	v_add_co_ci_u32_e32 v20, vcc_lo, s9, v12, vcc_lo
	v_dual_mov_b32 v12, v1 :: v_dual_mov_b32 v11, v0
	v_mov_b32_e32 v21, v18
	v_mov_b32_e32 v23, v18
	;; [unrolled: 1-line block ×4, first 2 shown]
.LBB100_19:                             ; =>This Inner Loop Header: Depth=1
	global_load_b64 v[33:34], v[19:20], off
	s_clause 0x1
	global_load_b128 v[25:28], v[13:14], off
	global_load_b128 v[29:32], v[13:14], off offset:16
	s_waitcnt vmcnt(2)
	v_sub_co_u32 v33, vcc_lo, v33, s20
	v_subrev_co_ci_u32_e32 v34, vcc_lo, s15, v34, vcc_lo
	s_delay_alu instid0(VALU_DEP_1) | instskip(SKIP_1) | instid1(VALU_DEP_1)
	v_lshlrev_b64 v[33:34], 3, v[33:34]
	s_waitcnt lgkmcnt(0)
	v_add_co_u32 v33, vcc_lo, s4, v33
	s_delay_alu instid0(VALU_DEP_2)
	v_add_co_ci_u32_e32 v34, vcc_lo, s5, v34, vcc_lo
	v_add_co_u32 v13, vcc_lo, 0x80, v13
	v_add_co_ci_u32_e32 v14, vcc_lo, 0, v14, vcc_lo
	global_load_b64 v[33:34], v[33:34], off
	v_add_co_u32 v11, vcc_lo, v11, 4
	v_add_co_ci_u32_e32 v12, vcc_lo, 0, v12, vcc_lo
	v_add_co_u32 v19, vcc_lo, v19, 32
	v_add_co_ci_u32_e32 v20, vcc_lo, 0, v20, vcc_lo
	v_add_co_u32 v17, vcc_lo, v17, -4
	v_add_co_ci_u32_e32 v18, vcc_lo, -1, v18, vcc_lo
	s_delay_alu instid0(VALU_DEP_1)
	v_cmp_eq_u64_e32 vcc_lo, 0, v[17:18]
	s_or_b32 s10, vcc_lo, s10
	s_waitcnt vmcnt(0)
	v_fma_mix_f32 v22, v25, v33, v22 op_sel_hi:[1,1,0]
	v_fma_mix_f32 v24, v27, v33, v24 op_sel_hi:[1,1,0]
	v_fma_mix_f32 v23, v29, v33, v23 op_sel_hi:[1,1,0]
	v_fma_mix_f32 v21, v31, v33, v21 op_sel_hi:[1,1,0]
	s_delay_alu instid0(VALU_DEP_4) | instskip(NEXT) | instid1(VALU_DEP_4)
	v_fma_mix_f32 v22, v25, v33, v22 op_sel:[1,1,0] op_sel_hi:[1,1,0]
	v_fma_mix_f32 v24, v27, v33, v24 op_sel:[1,1,0] op_sel_hi:[1,1,0]
	s_delay_alu instid0(VALU_DEP_4) | instskip(NEXT) | instid1(VALU_DEP_4)
	v_fma_mix_f32 v23, v29, v33, v23 op_sel:[1,1,0] op_sel_hi:[1,1,0]
	v_fma_mix_f32 v21, v31, v33, v21 op_sel:[1,1,0] op_sel_hi:[1,1,0]
	s_delay_alu instid0(VALU_DEP_4) | instskip(NEXT) | instid1(VALU_DEP_4)
	v_fma_mix_f32 v22, v26, v34, v22 op_sel_hi:[1,1,0]
	v_fma_mix_f32 v24, v28, v34, v24 op_sel_hi:[1,1,0]
	s_delay_alu instid0(VALU_DEP_4) | instskip(NEXT) | instid1(VALU_DEP_4)
	v_fma_mix_f32 v23, v30, v34, v23 op_sel_hi:[1,1,0]
	v_fma_mix_f32 v21, v32, v34, v21 op_sel_hi:[1,1,0]
	s_delay_alu instid0(VALU_DEP_4) | instskip(NEXT) | instid1(VALU_DEP_4)
	v_fma_mix_f32 v22, v26, v34, v22 op_sel:[1,1,0] op_sel_hi:[1,1,0]
	v_fma_mix_f32 v24, v28, v34, v24 op_sel:[1,1,0] op_sel_hi:[1,1,0]
	s_delay_alu instid0(VALU_DEP_4) | instskip(NEXT) | instid1(VALU_DEP_4)
	v_fma_mix_f32 v23, v30, v34, v23 op_sel:[1,1,0] op_sel_hi:[1,1,0]
	v_fma_mix_f32 v21, v32, v34, v21 op_sel:[1,1,0] op_sel_hi:[1,1,0]
	s_and_not1_b32 exec_lo, exec_lo, s10
	s_cbranch_execnz .LBB100_19
; %bb.20:
	s_or_b32 exec_lo, exec_lo, s10
.LBB100_21:
	s_delay_alu instid0(SALU_CYCLE_1) | instskip(NEXT) | instid1(SALU_CYCLE_1)
	s_or_b32 exec_lo, exec_lo, s3
	s_mov_b32 s10, exec_lo
	v_cmpx_lt_u64_e32 11, v[15:16]
	s_cbranch_execz .LBB100_25
; %bb.22:
	v_lshlrev_b64 v[15:16], 3, v[11:12]
	s_mov_b32 s11, 0
	s_delay_alu instid0(VALU_DEP_1) | instskip(NEXT) | instid1(VALU_DEP_2)
	v_add_co_u32 v15, vcc_lo, v15, s8
	v_add_co_ci_u32_e32 v16, vcc_lo, s9, v16, vcc_lo
	s_delay_alu instid0(VALU_DEP_2) | instskip(NEXT) | instid1(VALU_DEP_2)
	v_add_co_u32 v15, vcc_lo, v15, 64
	v_add_co_ci_u32_e32 v16, vcc_lo, 0, v16, vcc_lo
.LBB100_23:                             ; =>This Inner Loop Header: Depth=1
	s_clause 0x3
	global_load_b64 v[53:54], v[15:16], off offset:-64
	global_load_b64 v[55:56], v[15:16], off offset:-32
	global_load_b64 v[57:58], v[15:16], off
	global_load_b64 v[59:60], v[15:16], off offset:32
	s_clause 0x7
	global_load_b128 v[17:20], v[13:14], off
	global_load_b128 v[25:28], v[13:14], off offset:16
	global_load_b128 v[29:32], v[13:14], off offset:128
	global_load_b128 v[33:36], v[13:14], off offset:144
	global_load_b128 v[37:40], v[13:14], off offset:256
	global_load_b128 v[41:44], v[13:14], off offset:272
	global_load_b128 v[45:48], v[13:14], off offset:384
	global_load_b128 v[49:52], v[13:14], off offset:400
	s_waitcnt vmcnt(11)
	v_sub_co_u32 v53, vcc_lo, v53, s20
	v_subrev_co_ci_u32_e32 v54, vcc_lo, s15, v54, vcc_lo
	s_waitcnt vmcnt(10)
	v_sub_co_u32 v55, vcc_lo, v55, s20
	v_subrev_co_ci_u32_e32 v56, vcc_lo, s15, v56, vcc_lo
	s_delay_alu instid0(VALU_DEP_3) | instskip(SKIP_2) | instid1(VALU_DEP_3)
	v_lshlrev_b64 v[53:54], 3, v[53:54]
	s_waitcnt vmcnt(9)
	v_sub_co_u32 v57, vcc_lo, v57, s20
	v_lshlrev_b64 v[55:56], 3, v[55:56]
	v_subrev_co_ci_u32_e32 v58, vcc_lo, s15, v58, vcc_lo
	s_waitcnt lgkmcnt(0)
	v_add_co_u32 v53, s3, s4, v53
	s_delay_alu instid0(VALU_DEP_1) | instskip(NEXT) | instid1(VALU_DEP_4)
	v_add_co_ci_u32_e64 v54, s3, s5, v54, s3
	v_add_co_u32 v55, vcc_lo, s4, v55
	v_add_co_ci_u32_e32 v56, vcc_lo, s5, v56, vcc_lo
	global_load_b64 v[53:54], v[53:54], off
	v_lshlrev_b64 v[57:58], 3, v[57:58]
	s_waitcnt vmcnt(9)
	v_sub_co_u32 v59, vcc_lo, v59, s20
	global_load_b64 v[55:56], v[55:56], off
	v_subrev_co_ci_u32_e32 v60, vcc_lo, s15, v60, vcc_lo
	v_add_co_u32 v57, s3, s4, v57
	s_delay_alu instid0(VALU_DEP_1) | instskip(NEXT) | instid1(VALU_DEP_3)
	v_add_co_ci_u32_e64 v58, s3, s5, v58, s3
	v_lshlrev_b64 v[59:60], 3, v[59:60]
	global_load_b64 v[57:58], v[57:58], off
	v_add_co_u32 v59, vcc_lo, s4, v59
	v_add_co_ci_u32_e32 v60, vcc_lo, s5, v60, vcc_lo
	v_add_co_u32 v13, vcc_lo, 0x200, v13
	v_add_co_ci_u32_e32 v14, vcc_lo, 0, v14, vcc_lo
	global_load_b64 v[59:60], v[59:60], off
	v_add_co_u32 v11, vcc_lo, v11, 16
	v_add_co_ci_u32_e32 v12, vcc_lo, 0, v12, vcc_lo
	v_add_co_u32 v15, vcc_lo, 0x80, v15
	v_add_co_ci_u32_e32 v16, vcc_lo, 0, v16, vcc_lo
	s_delay_alu instid0(VALU_DEP_3)
	v_cmp_ge_i64_e32 vcc_lo, v[11:12], v[5:6]
	s_or_b32 s11, vcc_lo, s11
	s_waitcnt vmcnt(3)
	v_fma_mix_f32 v22, v17, v53, v22 op_sel_hi:[1,1,0]
	v_fma_mix_f32 v24, v19, v53, v24 op_sel_hi:[1,1,0]
	v_fma_mix_f32 v23, v25, v53, v23 op_sel_hi:[1,1,0]
	v_fma_mix_f32 v21, v27, v53, v21 op_sel_hi:[1,1,0]
	s_delay_alu instid0(VALU_DEP_4) | instskip(NEXT) | instid1(VALU_DEP_4)
	v_fma_mix_f32 v17, v17, v53, v22 op_sel:[1,1,0] op_sel_hi:[1,1,0]
	v_fma_mix_f32 v19, v19, v53, v24 op_sel:[1,1,0] op_sel_hi:[1,1,0]
	s_delay_alu instid0(VALU_DEP_4) | instskip(NEXT) | instid1(VALU_DEP_4)
	v_fma_mix_f32 v22, v25, v53, v23 op_sel:[1,1,0] op_sel_hi:[1,1,0]
	v_fma_mix_f32 v21, v27, v53, v21 op_sel:[1,1,0] op_sel_hi:[1,1,0]
	s_delay_alu instid0(VALU_DEP_4) | instskip(NEXT) | instid1(VALU_DEP_4)
	v_fma_mix_f32 v17, v18, v54, v17 op_sel_hi:[1,1,0]
	v_fma_mix_f32 v19, v20, v54, v19 op_sel_hi:[1,1,0]
	s_delay_alu instid0(VALU_DEP_4) | instskip(NEXT) | instid1(VALU_DEP_4)
	v_fma_mix_f32 v22, v26, v54, v22 op_sel_hi:[1,1,0]
	v_fma_mix_f32 v21, v28, v54, v21 op_sel_hi:[1,1,0]
	s_delay_alu instid0(VALU_DEP_4) | instskip(NEXT) | instid1(VALU_DEP_4)
	v_fma_mix_f32 v17, v18, v54, v17 op_sel:[1,1,0] op_sel_hi:[1,1,0]
	v_fma_mix_f32 v18, v20, v54, v19 op_sel:[1,1,0] op_sel_hi:[1,1,0]
	s_delay_alu instid0(VALU_DEP_4) | instskip(NEXT) | instid1(VALU_DEP_4)
	v_fma_mix_f32 v19, v26, v54, v22 op_sel:[1,1,0] op_sel_hi:[1,1,0]
	v_fma_mix_f32 v20, v28, v54, v21 op_sel:[1,1,0] op_sel_hi:[1,1,0]
	s_waitcnt vmcnt(2)
	v_fma_mix_f32 v17, v29, v55, v17 op_sel_hi:[1,1,0]
	v_fma_mix_f32 v18, v31, v55, v18 op_sel_hi:[1,1,0]
	v_fma_mix_f32 v19, v33, v55, v19 op_sel_hi:[1,1,0]
	v_fma_mix_f32 v20, v35, v55, v20 op_sel_hi:[1,1,0]
	s_delay_alu instid0(VALU_DEP_4) | instskip(NEXT) | instid1(VALU_DEP_4)
	v_fma_mix_f32 v17, v29, v55, v17 op_sel:[1,1,0] op_sel_hi:[1,1,0]
	v_fma_mix_f32 v18, v31, v55, v18 op_sel:[1,1,0] op_sel_hi:[1,1,0]
	s_delay_alu instid0(VALU_DEP_4) | instskip(NEXT) | instid1(VALU_DEP_4)
	v_fma_mix_f32 v19, v33, v55, v19 op_sel:[1,1,0] op_sel_hi:[1,1,0]
	v_fma_mix_f32 v20, v35, v55, v20 op_sel:[1,1,0] op_sel_hi:[1,1,0]
	s_delay_alu instid0(VALU_DEP_4) | instskip(NEXT) | instid1(VALU_DEP_4)
	v_fma_mix_f32 v17, v30, v56, v17 op_sel_hi:[1,1,0]
	v_fma_mix_f32 v18, v32, v56, v18 op_sel_hi:[1,1,0]
	s_delay_alu instid0(VALU_DEP_4) | instskip(NEXT) | instid1(VALU_DEP_4)
	v_fma_mix_f32 v19, v34, v56, v19 op_sel_hi:[1,1,0]
	v_fma_mix_f32 v20, v36, v56, v20 op_sel_hi:[1,1,0]
	s_delay_alu instid0(VALU_DEP_4) | instskip(NEXT) | instid1(VALU_DEP_4)
	v_fma_mix_f32 v17, v30, v56, v17 op_sel:[1,1,0] op_sel_hi:[1,1,0]
	v_fma_mix_f32 v18, v32, v56, v18 op_sel:[1,1,0] op_sel_hi:[1,1,0]
	s_delay_alu instid0(VALU_DEP_4) | instskip(NEXT) | instid1(VALU_DEP_4)
	v_fma_mix_f32 v19, v34, v56, v19 op_sel:[1,1,0] op_sel_hi:[1,1,0]
	v_fma_mix_f32 v20, v36, v56, v20 op_sel:[1,1,0] op_sel_hi:[1,1,0]
	;; [unrolled: 23-line block ×4, first 2 shown]
	s_and_not1_b32 exec_lo, exec_lo, s11
	s_cbranch_execnz .LBB100_23
; %bb.24:
	s_or_b32 exec_lo, exec_lo, s11
.LBB100_25:
	s_delay_alu instid0(SALU_CYCLE_1)
	s_or_b32 exec_lo, exec_lo, s10
.LBB100_26:
	s_delay_alu instid0(SALU_CYCLE_1) | instskip(NEXT) | instid1(SALU_CYCLE_1)
	s_or_b32 exec_lo, exec_lo, s7
	s_and_not1_b32 vcc_lo, exec_lo, s6
	s_cbranch_vccz .LBB100_28
	s_branch .LBB100_39
.LBB100_27:
                                        ; implicit-def: $vgpr21
                                        ; implicit-def: $vgpr23
                                        ; implicit-def: $vgpr24
                                        ; implicit-def: $vgpr22
.LBB100_28:
	v_dual_mov_b32 v21, 0 :: v_dual_mov_b32 v24, 0
	v_dual_mov_b32 v23, 0 :: v_dual_mov_b32 v22, 0
	s_delay_alu instid0(VALU_DEP_4)
	s_and_saveexec_b32 s3, s2
	s_cbranch_execz .LBB100_38
; %bb.29:
	v_or_b32_e32 v11, 4, v2
	v_mov_b32_e32 v23, 0
	v_dual_mov_b32 v21, 0 :: v_dual_mov_b32 v22, 0
	v_mov_b32_e32 v24, 0
	s_delay_alu instid0(VALU_DEP_4) | instskip(NEXT) | instid1(VALU_DEP_1)
	v_sub_co_u32 v11, s2, v11, s20
	v_sub_co_ci_u32_e64 v12, null, 0, s15, s2
	v_sub_co_u32 v13, s2, s20, v2
	s_delay_alu instid0(VALU_DEP_3) | instskip(NEXT) | instid1(VALU_DEP_3)
	v_add_co_u32 v11, vcc_lo, v11, v9
	v_add_co_ci_u32_e32 v12, vcc_lo, v12, v10, vcc_lo
	v_not_b32_e32 v9, v9
	v_not_b32_e32 v10, v10
	v_sub_co_ci_u32_e64 v14, null, s15, 0, s2
	s_delay_alu instid0(VALU_DEP_4) | instskip(SKIP_4) | instid1(VALU_DEP_2)
	v_cmp_gt_i64_e32 vcc_lo, v[11:12], v[5:6]
	s_mov_b32 s2, exec_lo
	v_dual_cndmask_b32 v12, v6, v12 :: v_dual_cndmask_b32 v11, v5, v11
	v_add_co_u32 v9, vcc_lo, v13, v9
	v_add_co_ci_u32_e32 v10, vcc_lo, v14, v10, vcc_lo
	v_add_co_u32 v9, vcc_lo, v9, v11
	s_delay_alu instid0(VALU_DEP_2) | instskip(NEXT) | instid1(VALU_DEP_2)
	v_add_co_ci_u32_e32 v10, vcc_lo, v10, v12, vcc_lo
	v_lshrrev_b32_e32 v11, 2, v9
	s_delay_alu instid0(VALU_DEP_1) | instskip(NEXT) | instid1(VALU_DEP_1)
	v_add_nc_u32_e32 v11, 1, v11
	v_and_b32_e32 v11, 3, v11
	s_delay_alu instid0(VALU_DEP_1)
	v_cmpx_ne_u32_e32 0, v11
	s_cbranch_execz .LBB100_33
; %bb.30:
	v_lshlrev_b64 v[13:14], 3, v[0:1]
	v_dual_mov_b32 v12, 0 :: v_dual_lshlrev_b32 v11, 2, v11
	s_mov_b32 s6, 0
	s_delay_alu instid0(VALU_DEP_1) | instskip(NEXT) | instid1(VALU_DEP_3)
	v_mov_b32_e32 v21, v12
	v_add_co_u32 v13, vcc_lo, s8, v13
	s_delay_alu instid0(VALU_DEP_4)
	v_add_co_ci_u32_e32 v14, vcc_lo, s9, v14, vcc_lo
	v_mov_b32_e32 v23, v12
	v_mov_b32_e32 v24, v12
	;; [unrolled: 1-line block ×3, first 2 shown]
.LBB100_31:                             ; =>This Inner Loop Header: Depth=1
	global_load_b64 v[19:20], v[13:14], off
	global_load_b128 v[15:18], v[7:8], off
	s_waitcnt vmcnt(1)
	v_sub_co_u32 v19, vcc_lo, v19, s20
	v_subrev_co_ci_u32_e32 v20, vcc_lo, s15, v20, vcc_lo
	s_delay_alu instid0(VALU_DEP_1) | instskip(SKIP_1) | instid1(VALU_DEP_1)
	v_lshlrev_b64 v[19:20], 3, v[19:20]
	s_waitcnt lgkmcnt(0)
	v_add_co_u32 v19, vcc_lo, s4, v19
	s_delay_alu instid0(VALU_DEP_2)
	v_add_co_ci_u32_e32 v20, vcc_lo, s5, v20, vcc_lo
	global_load_b64 v[19:20], v[19:20], off
	global_load_b128 v[25:28], v[7:8], off offset:16
	v_add_co_u32 v7, vcc_lo, 0x80, v7
	v_add_co_ci_u32_e32 v8, vcc_lo, 0, v8, vcc_lo
	v_add_co_u32 v0, vcc_lo, v0, 4
	v_add_co_ci_u32_e32 v1, vcc_lo, 0, v1, vcc_lo
	v_add_co_u32 v13, vcc_lo, v13, 32
	v_add_co_ci_u32_e32 v14, vcc_lo, 0, v14, vcc_lo
	v_add_co_u32 v11, vcc_lo, v11, -4
	v_add_co_ci_u32_e32 v12, vcc_lo, -1, v12, vcc_lo
	s_delay_alu instid0(VALU_DEP_1)
	v_cmp_eq_u64_e32 vcc_lo, 0, v[11:12]
	s_or_b32 s6, vcc_lo, s6
	s_waitcnt vmcnt(1)
	v_fma_mix_f32 v22, v15, v19, v22 op_sel_hi:[1,1,0]
	v_fma_mix_f32 v15, v15, v19, v24 op_sel:[1,0,0] op_sel_hi:[1,1,0]
	v_fma_mix_f32 v23, v16, v19, v23 op_sel_hi:[1,1,0]
	v_fma_mix_f32 v16, v16, v19, v21 op_sel:[1,0,0] op_sel_hi:[1,1,0]
	s_delay_alu instid0(VALU_DEP_4) | instskip(NEXT) | instid1(VALU_DEP_4)
	v_fma_mix_f32 v21, v17, v19, v22 op_sel:[0,1,0] op_sel_hi:[1,1,0]
	v_fma_mix_f32 v15, v17, v19, v15 op_sel:[1,1,0] op_sel_hi:[1,1,0]
	s_delay_alu instid0(VALU_DEP_4) | instskip(NEXT) | instid1(VALU_DEP_4)
	v_fma_mix_f32 v17, v18, v19, v23 op_sel:[0,1,0] op_sel_hi:[1,1,0]
	v_fma_mix_f32 v16, v18, v19, v16 op_sel:[1,1,0] op_sel_hi:[1,1,0]
	s_waitcnt vmcnt(0)
	v_fma_mix_f32 v18, v25, v20, v21 op_sel_hi:[1,1,0]
	v_fma_mix_f32 v15, v25, v20, v15 op_sel:[1,0,0] op_sel_hi:[1,1,0]
	v_fma_mix_f32 v17, v26, v20, v17 op_sel_hi:[1,1,0]
	v_fma_mix_f32 v16, v26, v20, v16 op_sel:[1,0,0] op_sel_hi:[1,1,0]
	s_delay_alu instid0(VALU_DEP_4) | instskip(NEXT) | instid1(VALU_DEP_4)
	v_fma_mix_f32 v22, v27, v20, v18 op_sel:[0,1,0] op_sel_hi:[1,1,0]
	v_fma_mix_f32 v24, v27, v20, v15 op_sel:[1,1,0] op_sel_hi:[1,1,0]
	s_delay_alu instid0(VALU_DEP_4) | instskip(NEXT) | instid1(VALU_DEP_4)
	v_fma_mix_f32 v23, v28, v20, v17 op_sel:[0,1,0] op_sel_hi:[1,1,0]
	v_fma_mix_f32 v21, v28, v20, v16 op_sel:[1,1,0] op_sel_hi:[1,1,0]
	s_and_not1_b32 exec_lo, exec_lo, s6
	s_cbranch_execnz .LBB100_31
; %bb.32:
	s_or_b32 exec_lo, exec_lo, s6
.LBB100_33:
	s_delay_alu instid0(SALU_CYCLE_1) | instskip(NEXT) | instid1(SALU_CYCLE_1)
	s_or_b32 exec_lo, exec_lo, s2
	s_mov_b32 s6, exec_lo
	v_cmpx_lt_u64_e32 11, v[9:10]
	s_cbranch_execz .LBB100_37
; %bb.34:
	v_lshlrev_b64 v[9:10], 3, v[0:1]
	s_mov_b32 s7, 0
	s_delay_alu instid0(VALU_DEP_1) | instskip(NEXT) | instid1(VALU_DEP_2)
	v_add_co_u32 v9, vcc_lo, v9, s8
	v_add_co_ci_u32_e32 v10, vcc_lo, s9, v10, vcc_lo
	s_delay_alu instid0(VALU_DEP_2) | instskip(NEXT) | instid1(VALU_DEP_2)
	v_add_co_u32 v9, vcc_lo, v9, 64
	v_add_co_ci_u32_e32 v10, vcc_lo, 0, v10, vcc_lo
.LBB100_35:                             ; =>This Inner Loop Header: Depth=1
	s_clause 0x3
	global_load_b64 v[19:20], v[9:10], off offset:-64
	global_load_b64 v[45:46], v[9:10], off offset:-32
	global_load_b64 v[47:48], v[9:10], off
	global_load_b64 v[49:50], v[9:10], off offset:32
	s_clause 0x6
	global_load_b128 v[11:14], v[7:8], off
	global_load_b128 v[15:18], v[7:8], off offset:16
	global_load_b128 v[25:28], v[7:8], off offset:128
	;; [unrolled: 1-line block ×6, first 2 shown]
	s_waitcnt vmcnt(10)
	v_sub_co_u32 v19, vcc_lo, v19, s20
	v_subrev_co_ci_u32_e32 v20, vcc_lo, s15, v20, vcc_lo
	s_waitcnt vmcnt(9)
	v_sub_co_u32 v45, vcc_lo, v45, s20
	v_subrev_co_ci_u32_e32 v46, vcc_lo, s15, v46, vcc_lo
	s_delay_alu instid0(VALU_DEP_3) | instskip(SKIP_2) | instid1(VALU_DEP_3)
	v_lshlrev_b64 v[19:20], 3, v[19:20]
	s_waitcnt vmcnt(8)
	v_sub_co_u32 v47, vcc_lo, v47, s20
	v_lshlrev_b64 v[45:46], 3, v[45:46]
	v_subrev_co_ci_u32_e32 v48, vcc_lo, s15, v48, vcc_lo
	s_waitcnt lgkmcnt(0)
	v_add_co_u32 v19, s2, s4, v19
	s_delay_alu instid0(VALU_DEP_1) | instskip(NEXT) | instid1(VALU_DEP_4)
	v_add_co_ci_u32_e64 v20, s2, s5, v20, s2
	v_add_co_u32 v45, vcc_lo, s4, v45
	v_add_co_ci_u32_e32 v46, vcc_lo, s5, v46, vcc_lo
	s_clause 0x1
	global_load_b64 v[19:20], v[19:20], off
	global_load_b64 v[51:52], v[45:46], off
	v_lshlrev_b64 v[46:47], 3, v[47:48]
	s_waitcnt vmcnt(9)
	v_sub_co_u32 v45, vcc_lo, v49, s20
	s_delay_alu instid0(VALU_DEP_2) | instskip(NEXT) | instid1(VALU_DEP_1)
	v_add_co_u32 v46, s2, s4, v46
	v_add_co_ci_u32_e64 v47, s2, s5, v47, s2
	global_load_b64 v[53:54], v[46:47], off
	v_subrev_co_ci_u32_e32 v46, vcc_lo, s15, v50, vcc_lo
	s_delay_alu instid0(VALU_DEP_1) | instskip(NEXT) | instid1(VALU_DEP_1)
	v_lshlrev_b64 v[45:46], 3, v[45:46]
	v_add_co_u32 v45, vcc_lo, s4, v45
	s_delay_alu instid0(VALU_DEP_2)
	v_add_co_ci_u32_e32 v46, vcc_lo, s5, v46, vcc_lo
	global_load_b64 v[49:50], v[45:46], off
	global_load_b128 v[45:48], v[7:8], off offset:400
	v_add_co_u32 v7, vcc_lo, 0x200, v7
	v_add_co_ci_u32_e32 v8, vcc_lo, 0, v8, vcc_lo
	v_add_co_u32 v0, vcc_lo, v0, 16
	v_add_co_ci_u32_e32 v1, vcc_lo, 0, v1, vcc_lo
	;; [unrolled: 2-line block ×3, first 2 shown]
	s_delay_alu instid0(VALU_DEP_3)
	v_cmp_ge_i64_e32 vcc_lo, v[0:1], v[5:6]
	s_or_b32 s7, vcc_lo, s7
	s_waitcnt vmcnt(4)
	v_fma_mix_f32 v22, v11, v19, v22 op_sel_hi:[1,1,0]
	v_fma_mix_f32 v11, v11, v19, v24 op_sel:[1,0,0] op_sel_hi:[1,1,0]
	v_fma_mix_f32 v23, v12, v19, v23 op_sel_hi:[1,1,0]
	v_fma_mix_f32 v12, v12, v19, v21 op_sel:[1,0,0] op_sel_hi:[1,1,0]
	s_delay_alu instid0(VALU_DEP_4) | instskip(NEXT) | instid1(VALU_DEP_4)
	v_fma_mix_f32 v21, v13, v19, v22 op_sel:[0,1,0] op_sel_hi:[1,1,0]
	v_fma_mix_f32 v11, v13, v19, v11 op_sel:[1,1,0] op_sel_hi:[1,1,0]
	s_delay_alu instid0(VALU_DEP_4) | instskip(NEXT) | instid1(VALU_DEP_4)
	v_fma_mix_f32 v13, v14, v19, v23 op_sel:[0,1,0] op_sel_hi:[1,1,0]
	v_fma_mix_f32 v12, v14, v19, v12 op_sel:[1,1,0] op_sel_hi:[1,1,0]
	s_delay_alu instid0(VALU_DEP_4) | instskip(NEXT) | instid1(VALU_DEP_4)
	v_fma_mix_f32 v14, v15, v20, v21 op_sel_hi:[1,1,0]
	v_fma_mix_f32 v11, v15, v20, v11 op_sel:[1,0,0] op_sel_hi:[1,1,0]
	s_delay_alu instid0(VALU_DEP_4) | instskip(NEXT) | instid1(VALU_DEP_4)
	v_fma_mix_f32 v13, v16, v20, v13 op_sel_hi:[1,1,0]
	v_fma_mix_f32 v12, v16, v20, v12 op_sel:[1,0,0] op_sel_hi:[1,1,0]
	s_delay_alu instid0(VALU_DEP_4) | instskip(NEXT) | instid1(VALU_DEP_4)
	v_fma_mix_f32 v14, v17, v20, v14 op_sel:[0,1,0] op_sel_hi:[1,1,0]
	v_fma_mix_f32 v11, v17, v20, v11 op_sel:[1,1,0] op_sel_hi:[1,1,0]
	s_delay_alu instid0(VALU_DEP_4) | instskip(NEXT) | instid1(VALU_DEP_4)
	v_fma_mix_f32 v13, v18, v20, v13 op_sel:[0,1,0] op_sel_hi:[1,1,0]
	v_fma_mix_f32 v12, v18, v20, v12 op_sel:[1,1,0] op_sel_hi:[1,1,0]
	s_waitcnt vmcnt(3)
	v_fma_mix_f32 v14, v25, v51, v14 op_sel_hi:[1,1,0]
	v_fma_mix_f32 v11, v25, v51, v11 op_sel:[1,0,0] op_sel_hi:[1,1,0]
	v_fma_mix_f32 v13, v26, v51, v13 op_sel_hi:[1,1,0]
	v_fma_mix_f32 v12, v26, v51, v12 op_sel:[1,0,0] op_sel_hi:[1,1,0]
	s_delay_alu instid0(VALU_DEP_4) | instskip(NEXT) | instid1(VALU_DEP_4)
	v_fma_mix_f32 v14, v27, v51, v14 op_sel:[0,1,0] op_sel_hi:[1,1,0]
	v_fma_mix_f32 v11, v27, v51, v11 op_sel:[1,1,0] op_sel_hi:[1,1,0]
	s_delay_alu instid0(VALU_DEP_4) | instskip(NEXT) | instid1(VALU_DEP_4)
	v_fma_mix_f32 v13, v28, v51, v13 op_sel:[0,1,0] op_sel_hi:[1,1,0]
	v_fma_mix_f32 v12, v28, v51, v12 op_sel:[1,1,0] op_sel_hi:[1,1,0]
	s_delay_alu instid0(VALU_DEP_4) | instskip(NEXT) | instid1(VALU_DEP_4)
	v_fma_mix_f32 v14, v29, v52, v14 op_sel_hi:[1,1,0]
	v_fma_mix_f32 v11, v29, v52, v11 op_sel:[1,0,0] op_sel_hi:[1,1,0]
	s_delay_alu instid0(VALU_DEP_4) | instskip(NEXT) | instid1(VALU_DEP_4)
	v_fma_mix_f32 v13, v30, v52, v13 op_sel_hi:[1,1,0]
	v_fma_mix_f32 v12, v30, v52, v12 op_sel:[1,0,0] op_sel_hi:[1,1,0]
	s_delay_alu instid0(VALU_DEP_4) | instskip(NEXT) | instid1(VALU_DEP_4)
	v_fma_mix_f32 v14, v31, v52, v14 op_sel:[0,1,0] op_sel_hi:[1,1,0]
	v_fma_mix_f32 v11, v31, v52, v11 op_sel:[1,1,0] op_sel_hi:[1,1,0]
	s_delay_alu instid0(VALU_DEP_4) | instskip(NEXT) | instid1(VALU_DEP_4)
	v_fma_mix_f32 v13, v32, v52, v13 op_sel:[0,1,0] op_sel_hi:[1,1,0]
	v_fma_mix_f32 v12, v32, v52, v12 op_sel:[1,1,0] op_sel_hi:[1,1,0]
	;; [unrolled: 23-line block ×3, first 2 shown]
	s_waitcnt vmcnt(1)
	v_fma_mix_f32 v14, v41, v49, v14 op_sel_hi:[1,1,0]
	v_fma_mix_f32 v11, v41, v49, v11 op_sel:[1,0,0] op_sel_hi:[1,1,0]
	v_fma_mix_f32 v13, v42, v49, v13 op_sel_hi:[1,1,0]
	v_fma_mix_f32 v12, v42, v49, v12 op_sel:[1,0,0] op_sel_hi:[1,1,0]
	s_delay_alu instid0(VALU_DEP_4) | instskip(NEXT) | instid1(VALU_DEP_4)
	v_fma_mix_f32 v14, v43, v49, v14 op_sel:[0,1,0] op_sel_hi:[1,1,0]
	v_fma_mix_f32 v11, v43, v49, v11 op_sel:[1,1,0] op_sel_hi:[1,1,0]
	s_delay_alu instid0(VALU_DEP_4) | instskip(NEXT) | instid1(VALU_DEP_4)
	v_fma_mix_f32 v13, v44, v49, v13 op_sel:[0,1,0] op_sel_hi:[1,1,0]
	v_fma_mix_f32 v12, v44, v49, v12 op_sel:[1,1,0] op_sel_hi:[1,1,0]
	s_waitcnt vmcnt(0)
	v_fma_mix_f32 v14, v45, v50, v14 op_sel_hi:[1,1,0]
	v_fma_mix_f32 v11, v45, v50, v11 op_sel:[1,0,0] op_sel_hi:[1,1,0]
	v_fma_mix_f32 v13, v46, v50, v13 op_sel_hi:[1,1,0]
	v_fma_mix_f32 v12, v46, v50, v12 op_sel:[1,0,0] op_sel_hi:[1,1,0]
	s_delay_alu instid0(VALU_DEP_4) | instskip(NEXT) | instid1(VALU_DEP_4)
	v_fma_mix_f32 v22, v47, v50, v14 op_sel:[0,1,0] op_sel_hi:[1,1,0]
	v_fma_mix_f32 v24, v47, v50, v11 op_sel:[1,1,0] op_sel_hi:[1,1,0]
	s_delay_alu instid0(VALU_DEP_4) | instskip(NEXT) | instid1(VALU_DEP_4)
	v_fma_mix_f32 v23, v48, v50, v13 op_sel:[0,1,0] op_sel_hi:[1,1,0]
	v_fma_mix_f32 v21, v48, v50, v12 op_sel:[1,1,0] op_sel_hi:[1,1,0]
	s_and_not1_b32 exec_lo, exec_lo, s7
	s_cbranch_execnz .LBB100_35
; %bb.36:
	s_or_b32 exec_lo, exec_lo, s7
.LBB100_37:
	s_delay_alu instid0(SALU_CYCLE_1)
	s_or_b32 exec_lo, exec_lo, s6
.LBB100_38:
	s_delay_alu instid0(SALU_CYCLE_1)
	s_or_b32 exec_lo, exec_lo, s3
.LBB100_39:
	v_mbcnt_lo_u32_b32 v0, -1, 0
	s_mov_b32 s2, -1
	s_delay_alu instid0(VALU_DEP_1) | instskip(NEXT) | instid1(VALU_DEP_1)
	v_xor_b32_e32 v1, 2, v0
	v_cmp_gt_i32_e32 vcc_lo, 32, v1
	v_cndmask_b32_e32 v1, v0, v1, vcc_lo
	s_delay_alu instid0(VALU_DEP_1)
	v_lshlrev_b32_e32 v1, 2, v1
	ds_bpermute_b32 v5, v1, v22
	ds_bpermute_b32 v6, v1, v24
	;; [unrolled: 1-line block ×4, first 2 shown]
	v_xor_b32_e32 v1, 1, v0
	s_delay_alu instid0(VALU_DEP_1) | instskip(SKIP_2) | instid1(VALU_DEP_2)
	v_cmp_gt_i32_e32 vcc_lo, 32, v1
	v_cndmask_b32_e32 v0, v0, v1, vcc_lo
	v_cmp_eq_u32_e32 vcc_lo, 3, v2
	v_lshlrev_b32_e32 v10, 2, v0
	s_waitcnt lgkmcnt(0)
	v_dual_add_f32 v0, v22, v5 :: v_dual_add_f32 v1, v24, v6
	v_dual_add_f32 v5, v23, v7 :: v_dual_add_f32 v6, v21, v8
	ds_bpermute_b32 v7, v10, v0
	ds_bpermute_b32 v8, v10, v1
	;; [unrolled: 1-line block ×4, first 2 shown]
	s_and_b32 exec_lo, exec_lo, vcc_lo
	s_cbranch_execz .LBB100_10
; %bb.40:
	s_load_b64 s[0:1], s[0:1], 0x58
	s_waitcnt lgkmcnt(0)
	v_dual_add_f32 v0, v0, v7 :: v_dual_add_f32 v1, v1, v8
	v_add_f32_e32 v6, v6, v10
	v_cmp_eq_f32_e64 s3, s12, 0
	s_delay_alu instid0(VALU_DEP_3) | instskip(SKIP_4) | instid1(VALU_DEP_3)
	v_dual_mul_f32 v0, s16, v0 :: v_dual_mul_f32 v1, s16, v1
	v_add_f32_e32 v2, v5, v9
	v_lshlrev_b64 v[4:5], 4, v[3:4]
	v_mul_f32_e32 v3, s16, v6
	s_and_b32 vcc_lo, exec_lo, s3
	v_mul_f32_e32 v2, s16, v2
	s_cbranch_vccz .LBB100_42
; %bb.41:
	s_delay_alu instid0(VALU_DEP_3)
	v_add_co_u32 v6, vcc_lo, s0, v4
	v_add_co_ci_u32_e32 v7, vcc_lo, s1, v5, vcc_lo
	s_mov_b32 s2, 0
	global_store_b128 v[6:7], v[0:3], off
.LBB100_42:
	s_and_not1_b32 vcc_lo, exec_lo, s2
	s_cbranch_vccnz .LBB100_10
; %bb.43:
	v_add_co_u32 v8, vcc_lo, s0, v4
	v_add_co_ci_u32_e32 v9, vcc_lo, s1, v5, vcc_lo
	global_load_b128 v[4:7], v[8:9], off
	s_waitcnt vmcnt(0)
	v_dual_fmac_f32 v0, s12, v4 :: v_dual_fmac_f32 v1, s12, v5
	v_dual_fmac_f32 v2, s12, v6 :: v_dual_fmac_f32 v3, s12, v7
	global_store_b128 v[8:9], v[0:3], off
	s_nop 0
	s_sendmsg sendmsg(MSG_DEALLOC_VGPRS)
	s_endpgm
	.section	.rodata,"a",@progbits
	.p2align	6, 0x0
	.amdhsa_kernel _ZN9rocsparseL18bsrxmvn_4x4_kernelILj128ELj4EfllDF16_DF16_fEEvT3_20rocsparse_direction_NS_24const_host_device_scalarIT1_EES1_PKS1_PKT2_SA_S7_PKT4_PKT5_S5_PT6_21rocsparse_index_base_b
		.amdhsa_group_segment_fixed_size 0
		.amdhsa_private_segment_fixed_size 0
		.amdhsa_kernarg_size 104
		.amdhsa_user_sgpr_count 15
		.amdhsa_user_sgpr_dispatch_ptr 0
		.amdhsa_user_sgpr_queue_ptr 0
		.amdhsa_user_sgpr_kernarg_segment_ptr 1
		.amdhsa_user_sgpr_dispatch_id 0
		.amdhsa_user_sgpr_private_segment_size 0
		.amdhsa_wavefront_size32 1
		.amdhsa_uses_dynamic_stack 0
		.amdhsa_enable_private_segment 0
		.amdhsa_system_sgpr_workgroup_id_x 1
		.amdhsa_system_sgpr_workgroup_id_y 0
		.amdhsa_system_sgpr_workgroup_id_z 0
		.amdhsa_system_sgpr_workgroup_info 0
		.amdhsa_system_vgpr_workitem_id 0
		.amdhsa_next_free_vgpr 61
		.amdhsa_next_free_sgpr 22
		.amdhsa_reserve_vcc 1
		.amdhsa_float_round_mode_32 0
		.amdhsa_float_round_mode_16_64 0
		.amdhsa_float_denorm_mode_32 3
		.amdhsa_float_denorm_mode_16_64 3
		.amdhsa_dx10_clamp 1
		.amdhsa_ieee_mode 1
		.amdhsa_fp16_overflow 0
		.amdhsa_workgroup_processor_mode 1
		.amdhsa_memory_ordered 1
		.amdhsa_forward_progress 0
		.amdhsa_shared_vgpr_count 0
		.amdhsa_exception_fp_ieee_invalid_op 0
		.amdhsa_exception_fp_denorm_src 0
		.amdhsa_exception_fp_ieee_div_zero 0
		.amdhsa_exception_fp_ieee_overflow 0
		.amdhsa_exception_fp_ieee_underflow 0
		.amdhsa_exception_fp_ieee_inexact 0
		.amdhsa_exception_int_div_zero 0
	.end_amdhsa_kernel
	.section	.text._ZN9rocsparseL18bsrxmvn_4x4_kernelILj128ELj4EfllDF16_DF16_fEEvT3_20rocsparse_direction_NS_24const_host_device_scalarIT1_EES1_PKS1_PKT2_SA_S7_PKT4_PKT5_S5_PT6_21rocsparse_index_base_b,"axG",@progbits,_ZN9rocsparseL18bsrxmvn_4x4_kernelILj128ELj4EfllDF16_DF16_fEEvT3_20rocsparse_direction_NS_24const_host_device_scalarIT1_EES1_PKS1_PKT2_SA_S7_PKT4_PKT5_S5_PT6_21rocsparse_index_base_b,comdat
.Lfunc_end100:
	.size	_ZN9rocsparseL18bsrxmvn_4x4_kernelILj128ELj4EfllDF16_DF16_fEEvT3_20rocsparse_direction_NS_24const_host_device_scalarIT1_EES1_PKS1_PKT2_SA_S7_PKT4_PKT5_S5_PT6_21rocsparse_index_base_b, .Lfunc_end100-_ZN9rocsparseL18bsrxmvn_4x4_kernelILj128ELj4EfllDF16_DF16_fEEvT3_20rocsparse_direction_NS_24const_host_device_scalarIT1_EES1_PKS1_PKT2_SA_S7_PKT4_PKT5_S5_PT6_21rocsparse_index_base_b
                                        ; -- End function
	.section	.AMDGPU.csdata,"",@progbits
; Kernel info:
; codeLenInByte = 4156
; NumSgprs: 24
; NumVgprs: 61
; ScratchSize: 0
; MemoryBound: 0
; FloatMode: 240
; IeeeMode: 1
; LDSByteSize: 0 bytes/workgroup (compile time only)
; SGPRBlocks: 2
; VGPRBlocks: 7
; NumSGPRsForWavesPerEU: 24
; NumVGPRsForWavesPerEU: 61
; Occupancy: 16
; WaveLimiterHint : 1
; COMPUTE_PGM_RSRC2:SCRATCH_EN: 0
; COMPUTE_PGM_RSRC2:USER_SGPR: 15
; COMPUTE_PGM_RSRC2:TRAP_HANDLER: 0
; COMPUTE_PGM_RSRC2:TGID_X_EN: 1
; COMPUTE_PGM_RSRC2:TGID_Y_EN: 0
; COMPUTE_PGM_RSRC2:TGID_Z_EN: 0
; COMPUTE_PGM_RSRC2:TIDIG_COMP_CNT: 0
	.section	.text._ZN9rocsparseL18bsrxmvn_4x4_kernelILj128ELj8EfllDF16_DF16_fEEvT3_20rocsparse_direction_NS_24const_host_device_scalarIT1_EES1_PKS1_PKT2_SA_S7_PKT4_PKT5_S5_PT6_21rocsparse_index_base_b,"axG",@progbits,_ZN9rocsparseL18bsrxmvn_4x4_kernelILj128ELj8EfllDF16_DF16_fEEvT3_20rocsparse_direction_NS_24const_host_device_scalarIT1_EES1_PKS1_PKT2_SA_S7_PKT4_PKT5_S5_PT6_21rocsparse_index_base_b,comdat
	.globl	_ZN9rocsparseL18bsrxmvn_4x4_kernelILj128ELj8EfllDF16_DF16_fEEvT3_20rocsparse_direction_NS_24const_host_device_scalarIT1_EES1_PKS1_PKT2_SA_S7_PKT4_PKT5_S5_PT6_21rocsparse_index_base_b ; -- Begin function _ZN9rocsparseL18bsrxmvn_4x4_kernelILj128ELj8EfllDF16_DF16_fEEvT3_20rocsparse_direction_NS_24const_host_device_scalarIT1_EES1_PKS1_PKT2_SA_S7_PKT4_PKT5_S5_PT6_21rocsparse_index_base_b
	.p2align	8
	.type	_ZN9rocsparseL18bsrxmvn_4x4_kernelILj128ELj8EfllDF16_DF16_fEEvT3_20rocsparse_direction_NS_24const_host_device_scalarIT1_EES1_PKS1_PKT2_SA_S7_PKT4_PKT5_S5_PT6_21rocsparse_index_base_b,@function
_ZN9rocsparseL18bsrxmvn_4x4_kernelILj128ELj8EfllDF16_DF16_fEEvT3_20rocsparse_direction_NS_24const_host_device_scalarIT1_EES1_PKS1_PKT2_SA_S7_PKT4_PKT5_S5_PT6_21rocsparse_index_base_b: ; @_ZN9rocsparseL18bsrxmvn_4x4_kernelILj128ELj8EfllDF16_DF16_fEEvT3_20rocsparse_direction_NS_24const_host_device_scalarIT1_EES1_PKS1_PKT2_SA_S7_PKT4_PKT5_S5_PT6_21rocsparse_index_base_b
; %bb.0:
	s_clause 0x2
	s_load_b64 s[20:21], s[0:1], 0x60
	s_load_b128 s[16:19], s[0:1], 0x10
	s_load_b64 s[12:13], s[0:1], 0x50
	s_waitcnt lgkmcnt(0)
	s_bitcmp1_b32 s21, 0
	s_cselect_b32 s2, -1, 0
	s_delay_alu instid0(SALU_CYCLE_1)
	s_and_b32 vcc_lo, exec_lo, s2
	s_xor_b32 s2, s2, -1
	s_cbranch_vccnz .LBB101_2
; %bb.1:
	s_load_b32 s16, s[16:17], 0x0
.LBB101_2:
	s_and_not1_b32 vcc_lo, exec_lo, s2
	s_cbranch_vccnz .LBB101_4
; %bb.3:
	s_load_b32 s12, s[12:13], 0x0
.LBB101_4:
	s_waitcnt lgkmcnt(0)
	v_cmp_neq_f32_e64 s2, s16, 0
	v_cmp_neq_f32_e64 s3, s12, 1.0
	s_mov_b32 s4, 0
	s_delay_alu instid0(VALU_DEP_1) | instskip(NEXT) | instid1(SALU_CYCLE_1)
	s_or_b32 s2, s2, s3
	s_and_not1_b32 vcc_lo, exec_lo, s2
	s_cbranch_vccnz .LBB101_10
; %bb.5:
	s_load_b64 s[2:3], s[0:1], 0x20
	v_lshrrev_b32_e32 v1, 3, v0
	v_mov_b32_e32 v2, 0
	s_delay_alu instid0(VALU_DEP_2)
	v_lshl_or_b32 v1, s15, 4, v1
	s_waitcnt lgkmcnt(0)
	s_cmp_lg_u64 s[2:3], 0
	s_cbranch_scc0 .LBB101_11
; %bb.6:
	s_mov_b32 s5, 0
	s_mov_b32 s6, exec_lo
                                        ; implicit-def: $vgpr3_vgpr4
	v_cmpx_gt_i64_e64 s[18:19], v[1:2]
	s_xor_b32 s6, exec_lo, s6
                                        ; implicit-def: $sgpr14_sgpr15
	s_cbranch_execz .LBB101_8
; %bb.7:
	v_lshlrev_b64 v[3:4], 3, v[1:2]
	s_mov_b32 s4, exec_lo
	s_mov_b32 s15, 0
	s_delay_alu instid0(VALU_DEP_1) | instskip(NEXT) | instid1(VALU_DEP_2)
	v_add_co_u32 v3, vcc_lo, s2, v3
	v_add_co_ci_u32_e32 v4, vcc_lo, s3, v4, vcc_lo
	global_load_b64 v[3:4], v[3:4], off
	s_waitcnt vmcnt(0)
	v_sub_co_u32 v3, vcc_lo, v3, s20
	v_subrev_co_ci_u32_e32 v4, vcc_lo, 0, v4, vcc_lo
.LBB101_8:
	s_or_b32 exec_lo, exec_lo, s6
	s_delay_alu instid0(SALU_CYCLE_1)
	s_and_b32 vcc_lo, exec_lo, s5
	s_cbranch_vccnz .LBB101_12
.LBB101_9:
	s_and_saveexec_b32 s2, s4
	s_cbranch_execnz .LBB101_15
.LBB101_10:
	s_nop 0
	s_sendmsg sendmsg(MSG_DEALLOC_VGPRS)
	s_endpgm
.LBB101_11:
                                        ; implicit-def: $vgpr3_vgpr4
                                        ; implicit-def: $sgpr14_sgpr15
	s_cbranch_execz .LBB101_9
.LBB101_12:
	s_load_b64 s[2:3], s[0:1], 0x0
                                        ; implicit-def: $vgpr3_vgpr4
	s_waitcnt lgkmcnt(0)
	v_cmp_gt_i64_e32 vcc_lo, s[2:3], v[1:2]
	s_and_saveexec_b32 s2, vcc_lo
                                        ; implicit-def: $sgpr14_sgpr15
; %bb.13:
	v_dual_mov_b32 v4, v2 :: v_dual_mov_b32 v3, v1
	s_mov_b32 s15, 0
	s_or_b32 s4, s4, exec_lo
; %bb.14:
	s_or_b32 exec_lo, exec_lo, s2
	s_and_saveexec_b32 s2, s4
	s_cbranch_execz .LBB101_10
.LBB101_15:
	s_load_b256 s[4:11], s[0:1], 0x28
	v_lshlrev_b64 v[1:2], 3, v[3:4]
	s_load_b32 s3, s[0:1], 0x8
	v_mov_b32_e32 v21, 0
	s_waitcnt lgkmcnt(0)
	s_delay_alu instid0(VALU_DEP_2) | instskip(NEXT) | instid1(VALU_DEP_3)
	v_add_co_u32 v5, vcc_lo, s4, v1
	v_add_co_ci_u32_e32 v6, vcc_lo, s5, v2, vcc_lo
	v_add_co_u32 v1, vcc_lo, s6, v1
	v_add_co_ci_u32_e32 v2, vcc_lo, s7, v2, vcc_lo
	s_delay_alu instid0(VALU_DEP_4)
	v_add_co_u32 v7, vcc_lo, v5, 8
	global_load_b64 v[9:10], v[5:6], off
	v_add_co_ci_u32_e32 v8, vcc_lo, 0, v6, vcc_lo
	s_cmp_eq_u64 s[6:7], 0
	s_load_b64 s[4:5], s[0:1], 0x48
	s_cselect_b32 vcc_lo, -1, 0
	s_cmp_eq_u32 s3, 1
	v_dual_cndmask_b32 v2, v2, v8 :: v_dual_cndmask_b32 v1, v1, v7
	global_load_b64 v[5:6], v[1:2], off
	v_and_b32_e32 v2, 7, v0
	s_waitcnt vmcnt(1)
	v_sub_co_u32 v0, vcc_lo, v9, s20
	v_subrev_co_ci_u32_e32 v1, vcc_lo, s15, v10, vcc_lo
	s_delay_alu instid0(VALU_DEP_2) | instskip(NEXT) | instid1(VALU_DEP_2)
	v_add_co_u32 v0, vcc_lo, v0, v2
	v_add_co_ci_u32_e32 v1, vcc_lo, 0, v1, vcc_lo
	s_delay_alu instid0(VALU_DEP_1) | instskip(SKIP_3) | instid1(VALU_DEP_3)
	v_lshlrev_b64 v[7:8], 5, v[0:1]
	s_waitcnt vmcnt(0)
	v_sub_co_u32 v5, vcc_lo, v5, s20
	v_subrev_co_ci_u32_e32 v6, vcc_lo, s15, v6, vcc_lo
	v_add_co_u32 v7, vcc_lo, s10, v7
	s_delay_alu instid0(VALU_DEP_2)
	v_cmp_lt_i64_e64 s2, v[0:1], v[5:6]
	v_add_co_ci_u32_e32 v8, vcc_lo, s11, v8, vcc_lo
	s_cbranch_scc1 .LBB101_27
; %bb.16:
	v_dual_mov_b32 v23, 0 :: v_dual_mov_b32 v24, 0
	v_mov_b32_e32 v22, 0
	s_mov_b32 s6, 0
	s_and_saveexec_b32 s7, s2
	s_cbranch_execz .LBB101_26
; %bb.17:
	v_or_b32_e32 v11, 8, v2
	v_not_b32_e32 v14, v9
	v_not_b32_e32 v13, v10
	v_mov_b32_e32 v23, 0
	v_mov_b32_e32 v21, 0
	v_sub_co_u32 v11, s3, v11, s20
	s_delay_alu instid0(VALU_DEP_1) | instskip(SKIP_1) | instid1(VALU_DEP_3)
	v_sub_co_ci_u32_e64 v12, null, 0, s15, s3
	v_sub_co_u32 v15, s3, s20, v2
	v_add_co_u32 v11, vcc_lo, v11, v9
	s_delay_alu instid0(VALU_DEP_3) | instskip(SKIP_2) | instid1(VALU_DEP_2)
	v_add_co_ci_u32_e32 v12, vcc_lo, v12, v10, vcc_lo
	v_sub_co_ci_u32_e64 v16, null, s15, 0, s3
	s_mov_b32 s3, exec_lo
	v_cmp_gt_i64_e32 vcc_lo, v[11:12], v[5:6]
	v_mov_b32_e32 v22, 0
	v_mov_b32_e32 v24, 0
	v_dual_cndmask_b32 v12, v6, v12 :: v_dual_cndmask_b32 v11, v5, v11
	v_add_co_u32 v14, vcc_lo, v15, v14
	v_add_co_ci_u32_e32 v13, vcc_lo, v16, v13, vcc_lo
	s_delay_alu instid0(VALU_DEP_2) | instskip(NEXT) | instid1(VALU_DEP_2)
	v_add_co_u32 v15, vcc_lo, v14, v11
	v_add_co_ci_u32_e32 v16, vcc_lo, v13, v12, vcc_lo
	v_mov_b32_e32 v14, v8
	s_delay_alu instid0(VALU_DEP_3) | instskip(SKIP_1) | instid1(VALU_DEP_2)
	v_lshrrev_b32_e32 v11, 3, v15
	v_mov_b32_e32 v13, v7
	v_add_nc_u32_e32 v11, 1, v11
	s_delay_alu instid0(VALU_DEP_1) | instskip(SKIP_1) | instid1(VALU_DEP_2)
	v_dual_mov_b32 v12, v1 :: v_dual_and_b32 v17, 3, v11
	v_mov_b32_e32 v11, v0
	v_cmpx_ne_u32_e32 0, v17
	s_cbranch_execz .LBB101_21
; %bb.18:
	v_lshlrev_b64 v[11:12], 3, v[0:1]
	v_dual_mov_b32 v18, 0 :: v_dual_lshlrev_b32 v17, 2, v17
	v_dual_mov_b32 v14, v8 :: v_dual_mov_b32 v13, v7
	s_mov_b32 s10, 0
	s_delay_alu instid0(VALU_DEP_3) | instskip(NEXT) | instid1(VALU_DEP_4)
	v_add_co_u32 v19, vcc_lo, s8, v11
	v_add_co_ci_u32_e32 v20, vcc_lo, s9, v12, vcc_lo
	v_dual_mov_b32 v12, v1 :: v_dual_mov_b32 v11, v0
	v_mov_b32_e32 v21, v18
	v_mov_b32_e32 v23, v18
	;; [unrolled: 1-line block ×4, first 2 shown]
.LBB101_19:                             ; =>This Inner Loop Header: Depth=1
	global_load_b64 v[33:34], v[19:20], off
	s_clause 0x1
	global_load_b128 v[25:28], v[13:14], off
	global_load_b128 v[29:32], v[13:14], off offset:16
	s_waitcnt vmcnt(2)
	v_sub_co_u32 v33, vcc_lo, v33, s20
	v_subrev_co_ci_u32_e32 v34, vcc_lo, s15, v34, vcc_lo
	s_delay_alu instid0(VALU_DEP_1) | instskip(SKIP_1) | instid1(VALU_DEP_1)
	v_lshlrev_b64 v[33:34], 3, v[33:34]
	s_waitcnt lgkmcnt(0)
	v_add_co_u32 v33, vcc_lo, s4, v33
	s_delay_alu instid0(VALU_DEP_2)
	v_add_co_ci_u32_e32 v34, vcc_lo, s5, v34, vcc_lo
	v_add_co_u32 v13, vcc_lo, 0x100, v13
	v_add_co_ci_u32_e32 v14, vcc_lo, 0, v14, vcc_lo
	global_load_b64 v[33:34], v[33:34], off
	v_add_co_u32 v11, vcc_lo, v11, 8
	v_add_co_ci_u32_e32 v12, vcc_lo, 0, v12, vcc_lo
	v_add_co_u32 v19, vcc_lo, v19, 64
	v_add_co_ci_u32_e32 v20, vcc_lo, 0, v20, vcc_lo
	v_add_co_u32 v17, vcc_lo, v17, -4
	v_add_co_ci_u32_e32 v18, vcc_lo, -1, v18, vcc_lo
	s_delay_alu instid0(VALU_DEP_1)
	v_cmp_eq_u64_e32 vcc_lo, 0, v[17:18]
	s_or_b32 s10, vcc_lo, s10
	s_waitcnt vmcnt(0)
	v_fma_mix_f32 v22, v25, v33, v22 op_sel_hi:[1,1,0]
	v_fma_mix_f32 v24, v27, v33, v24 op_sel_hi:[1,1,0]
	;; [unrolled: 1-line block ×4, first 2 shown]
	s_delay_alu instid0(VALU_DEP_4) | instskip(NEXT) | instid1(VALU_DEP_4)
	v_fma_mix_f32 v22, v25, v33, v22 op_sel:[1,1,0] op_sel_hi:[1,1,0]
	v_fma_mix_f32 v24, v27, v33, v24 op_sel:[1,1,0] op_sel_hi:[1,1,0]
	s_delay_alu instid0(VALU_DEP_4) | instskip(NEXT) | instid1(VALU_DEP_4)
	v_fma_mix_f32 v23, v29, v33, v23 op_sel:[1,1,0] op_sel_hi:[1,1,0]
	v_fma_mix_f32 v21, v31, v33, v21 op_sel:[1,1,0] op_sel_hi:[1,1,0]
	s_delay_alu instid0(VALU_DEP_4) | instskip(NEXT) | instid1(VALU_DEP_4)
	v_fma_mix_f32 v22, v26, v34, v22 op_sel_hi:[1,1,0]
	v_fma_mix_f32 v24, v28, v34, v24 op_sel_hi:[1,1,0]
	s_delay_alu instid0(VALU_DEP_4) | instskip(NEXT) | instid1(VALU_DEP_4)
	v_fma_mix_f32 v23, v30, v34, v23 op_sel_hi:[1,1,0]
	v_fma_mix_f32 v21, v32, v34, v21 op_sel_hi:[1,1,0]
	s_delay_alu instid0(VALU_DEP_4) | instskip(NEXT) | instid1(VALU_DEP_4)
	v_fma_mix_f32 v22, v26, v34, v22 op_sel:[1,1,0] op_sel_hi:[1,1,0]
	v_fma_mix_f32 v24, v28, v34, v24 op_sel:[1,1,0] op_sel_hi:[1,1,0]
	s_delay_alu instid0(VALU_DEP_4) | instskip(NEXT) | instid1(VALU_DEP_4)
	v_fma_mix_f32 v23, v30, v34, v23 op_sel:[1,1,0] op_sel_hi:[1,1,0]
	v_fma_mix_f32 v21, v32, v34, v21 op_sel:[1,1,0] op_sel_hi:[1,1,0]
	s_and_not1_b32 exec_lo, exec_lo, s10
	s_cbranch_execnz .LBB101_19
; %bb.20:
	s_or_b32 exec_lo, exec_lo, s10
.LBB101_21:
	s_delay_alu instid0(SALU_CYCLE_1) | instskip(NEXT) | instid1(SALU_CYCLE_1)
	s_or_b32 exec_lo, exec_lo, s3
	s_mov_b32 s10, exec_lo
	v_cmpx_lt_u64_e32 23, v[15:16]
	s_cbranch_execz .LBB101_25
; %bb.22:
	v_lshlrev_b64 v[15:16], 3, v[11:12]
	s_mov_b32 s11, 0
	s_delay_alu instid0(VALU_DEP_1) | instskip(NEXT) | instid1(VALU_DEP_2)
	v_add_co_u32 v15, vcc_lo, v15, s8
	v_add_co_ci_u32_e32 v16, vcc_lo, s9, v16, vcc_lo
	s_delay_alu instid0(VALU_DEP_2) | instskip(NEXT) | instid1(VALU_DEP_2)
	v_add_co_u32 v15, vcc_lo, 0x80, v15
	v_add_co_ci_u32_e32 v16, vcc_lo, 0, v16, vcc_lo
.LBB101_23:                             ; =>This Inner Loop Header: Depth=1
	s_clause 0x3
	global_load_b64 v[53:54], v[15:16], off offset:-128
	global_load_b64 v[55:56], v[15:16], off offset:-64
	global_load_b64 v[57:58], v[15:16], off
	global_load_b64 v[59:60], v[15:16], off offset:64
	s_clause 0x7
	global_load_b128 v[17:20], v[13:14], off
	global_load_b128 v[25:28], v[13:14], off offset:16
	global_load_b128 v[29:32], v[13:14], off offset:256
	;; [unrolled: 1-line block ×7, first 2 shown]
	s_waitcnt vmcnt(11)
	v_sub_co_u32 v53, vcc_lo, v53, s20
	v_subrev_co_ci_u32_e32 v54, vcc_lo, s15, v54, vcc_lo
	s_waitcnt vmcnt(10)
	v_sub_co_u32 v55, vcc_lo, v55, s20
	v_subrev_co_ci_u32_e32 v56, vcc_lo, s15, v56, vcc_lo
	s_delay_alu instid0(VALU_DEP_3) | instskip(SKIP_2) | instid1(VALU_DEP_3)
	v_lshlrev_b64 v[53:54], 3, v[53:54]
	s_waitcnt vmcnt(9)
	v_sub_co_u32 v57, vcc_lo, v57, s20
	v_lshlrev_b64 v[55:56], 3, v[55:56]
	v_subrev_co_ci_u32_e32 v58, vcc_lo, s15, v58, vcc_lo
	s_waitcnt lgkmcnt(0)
	v_add_co_u32 v53, s3, s4, v53
	s_delay_alu instid0(VALU_DEP_1) | instskip(NEXT) | instid1(VALU_DEP_4)
	v_add_co_ci_u32_e64 v54, s3, s5, v54, s3
	v_add_co_u32 v55, vcc_lo, s4, v55
	v_add_co_ci_u32_e32 v56, vcc_lo, s5, v56, vcc_lo
	global_load_b64 v[53:54], v[53:54], off
	v_lshlrev_b64 v[57:58], 3, v[57:58]
	s_waitcnt vmcnt(9)
	v_sub_co_u32 v59, vcc_lo, v59, s20
	global_load_b64 v[55:56], v[55:56], off
	v_subrev_co_ci_u32_e32 v60, vcc_lo, s15, v60, vcc_lo
	v_add_co_u32 v57, s3, s4, v57
	s_delay_alu instid0(VALU_DEP_1) | instskip(NEXT) | instid1(VALU_DEP_3)
	v_add_co_ci_u32_e64 v58, s3, s5, v58, s3
	v_lshlrev_b64 v[59:60], 3, v[59:60]
	global_load_b64 v[57:58], v[57:58], off
	v_add_co_u32 v59, vcc_lo, s4, v59
	v_add_co_ci_u32_e32 v60, vcc_lo, s5, v60, vcc_lo
	v_add_co_u32 v13, vcc_lo, 0x400, v13
	v_add_co_ci_u32_e32 v14, vcc_lo, 0, v14, vcc_lo
	global_load_b64 v[59:60], v[59:60], off
	v_add_co_u32 v11, vcc_lo, v11, 32
	v_add_co_ci_u32_e32 v12, vcc_lo, 0, v12, vcc_lo
	v_add_co_u32 v15, vcc_lo, 0x100, v15
	v_add_co_ci_u32_e32 v16, vcc_lo, 0, v16, vcc_lo
	s_delay_alu instid0(VALU_DEP_3)
	v_cmp_ge_i64_e32 vcc_lo, v[11:12], v[5:6]
	s_or_b32 s11, vcc_lo, s11
	s_waitcnt vmcnt(3)
	v_fma_mix_f32 v22, v17, v53, v22 op_sel_hi:[1,1,0]
	v_fma_mix_f32 v24, v19, v53, v24 op_sel_hi:[1,1,0]
	v_fma_mix_f32 v23, v25, v53, v23 op_sel_hi:[1,1,0]
	v_fma_mix_f32 v21, v27, v53, v21 op_sel_hi:[1,1,0]
	s_delay_alu instid0(VALU_DEP_4) | instskip(NEXT) | instid1(VALU_DEP_4)
	v_fma_mix_f32 v17, v17, v53, v22 op_sel:[1,1,0] op_sel_hi:[1,1,0]
	v_fma_mix_f32 v19, v19, v53, v24 op_sel:[1,1,0] op_sel_hi:[1,1,0]
	s_delay_alu instid0(VALU_DEP_4) | instskip(NEXT) | instid1(VALU_DEP_4)
	v_fma_mix_f32 v22, v25, v53, v23 op_sel:[1,1,0] op_sel_hi:[1,1,0]
	v_fma_mix_f32 v21, v27, v53, v21 op_sel:[1,1,0] op_sel_hi:[1,1,0]
	s_delay_alu instid0(VALU_DEP_4) | instskip(NEXT) | instid1(VALU_DEP_4)
	v_fma_mix_f32 v17, v18, v54, v17 op_sel_hi:[1,1,0]
	v_fma_mix_f32 v19, v20, v54, v19 op_sel_hi:[1,1,0]
	s_delay_alu instid0(VALU_DEP_4) | instskip(NEXT) | instid1(VALU_DEP_4)
	v_fma_mix_f32 v22, v26, v54, v22 op_sel_hi:[1,1,0]
	v_fma_mix_f32 v21, v28, v54, v21 op_sel_hi:[1,1,0]
	s_delay_alu instid0(VALU_DEP_4) | instskip(NEXT) | instid1(VALU_DEP_4)
	v_fma_mix_f32 v17, v18, v54, v17 op_sel:[1,1,0] op_sel_hi:[1,1,0]
	v_fma_mix_f32 v18, v20, v54, v19 op_sel:[1,1,0] op_sel_hi:[1,1,0]
	s_delay_alu instid0(VALU_DEP_4) | instskip(NEXT) | instid1(VALU_DEP_4)
	v_fma_mix_f32 v19, v26, v54, v22 op_sel:[1,1,0] op_sel_hi:[1,1,0]
	v_fma_mix_f32 v20, v28, v54, v21 op_sel:[1,1,0] op_sel_hi:[1,1,0]
	s_waitcnt vmcnt(2)
	v_fma_mix_f32 v17, v29, v55, v17 op_sel_hi:[1,1,0]
	v_fma_mix_f32 v18, v31, v55, v18 op_sel_hi:[1,1,0]
	v_fma_mix_f32 v19, v33, v55, v19 op_sel_hi:[1,1,0]
	v_fma_mix_f32 v20, v35, v55, v20 op_sel_hi:[1,1,0]
	s_delay_alu instid0(VALU_DEP_4) | instskip(NEXT) | instid1(VALU_DEP_4)
	v_fma_mix_f32 v17, v29, v55, v17 op_sel:[1,1,0] op_sel_hi:[1,1,0]
	v_fma_mix_f32 v18, v31, v55, v18 op_sel:[1,1,0] op_sel_hi:[1,1,0]
	s_delay_alu instid0(VALU_DEP_4) | instskip(NEXT) | instid1(VALU_DEP_4)
	v_fma_mix_f32 v19, v33, v55, v19 op_sel:[1,1,0] op_sel_hi:[1,1,0]
	v_fma_mix_f32 v20, v35, v55, v20 op_sel:[1,1,0] op_sel_hi:[1,1,0]
	s_delay_alu instid0(VALU_DEP_4) | instskip(NEXT) | instid1(VALU_DEP_4)
	v_fma_mix_f32 v17, v30, v56, v17 op_sel_hi:[1,1,0]
	v_fma_mix_f32 v18, v32, v56, v18 op_sel_hi:[1,1,0]
	s_delay_alu instid0(VALU_DEP_4) | instskip(NEXT) | instid1(VALU_DEP_4)
	v_fma_mix_f32 v19, v34, v56, v19 op_sel_hi:[1,1,0]
	v_fma_mix_f32 v20, v36, v56, v20 op_sel_hi:[1,1,0]
	s_delay_alu instid0(VALU_DEP_4) | instskip(NEXT) | instid1(VALU_DEP_4)
	v_fma_mix_f32 v17, v30, v56, v17 op_sel:[1,1,0] op_sel_hi:[1,1,0]
	v_fma_mix_f32 v18, v32, v56, v18 op_sel:[1,1,0] op_sel_hi:[1,1,0]
	s_delay_alu instid0(VALU_DEP_4) | instskip(NEXT) | instid1(VALU_DEP_4)
	v_fma_mix_f32 v19, v34, v56, v19 op_sel:[1,1,0] op_sel_hi:[1,1,0]
	v_fma_mix_f32 v20, v36, v56, v20 op_sel:[1,1,0] op_sel_hi:[1,1,0]
	;; [unrolled: 23-line block ×4, first 2 shown]
	s_and_not1_b32 exec_lo, exec_lo, s11
	s_cbranch_execnz .LBB101_23
; %bb.24:
	s_or_b32 exec_lo, exec_lo, s11
.LBB101_25:
	s_delay_alu instid0(SALU_CYCLE_1)
	s_or_b32 exec_lo, exec_lo, s10
.LBB101_26:
	s_delay_alu instid0(SALU_CYCLE_1) | instskip(NEXT) | instid1(SALU_CYCLE_1)
	s_or_b32 exec_lo, exec_lo, s7
	s_and_not1_b32 vcc_lo, exec_lo, s6
	s_cbranch_vccz .LBB101_28
	s_branch .LBB101_39
.LBB101_27:
                                        ; implicit-def: $vgpr21
                                        ; implicit-def: $vgpr23
                                        ; implicit-def: $vgpr24
                                        ; implicit-def: $vgpr22
.LBB101_28:
	v_dual_mov_b32 v21, 0 :: v_dual_mov_b32 v24, 0
	v_dual_mov_b32 v23, 0 :: v_dual_mov_b32 v22, 0
	s_delay_alu instid0(VALU_DEP_4)
	s_and_saveexec_b32 s3, s2
	s_cbranch_execz .LBB101_38
; %bb.29:
	v_or_b32_e32 v11, 8, v2
	v_mov_b32_e32 v23, 0
	v_dual_mov_b32 v21, 0 :: v_dual_mov_b32 v22, 0
	v_mov_b32_e32 v24, 0
	s_delay_alu instid0(VALU_DEP_4) | instskip(NEXT) | instid1(VALU_DEP_1)
	v_sub_co_u32 v11, s2, v11, s20
	v_sub_co_ci_u32_e64 v12, null, 0, s15, s2
	v_sub_co_u32 v13, s2, s20, v2
	s_delay_alu instid0(VALU_DEP_3) | instskip(NEXT) | instid1(VALU_DEP_3)
	v_add_co_u32 v11, vcc_lo, v11, v9
	v_add_co_ci_u32_e32 v12, vcc_lo, v12, v10, vcc_lo
	v_not_b32_e32 v9, v9
	v_not_b32_e32 v10, v10
	v_sub_co_ci_u32_e64 v14, null, s15, 0, s2
	s_delay_alu instid0(VALU_DEP_4) | instskip(SKIP_4) | instid1(VALU_DEP_2)
	v_cmp_gt_i64_e32 vcc_lo, v[11:12], v[5:6]
	s_mov_b32 s2, exec_lo
	v_dual_cndmask_b32 v12, v6, v12 :: v_dual_cndmask_b32 v11, v5, v11
	v_add_co_u32 v9, vcc_lo, v13, v9
	v_add_co_ci_u32_e32 v10, vcc_lo, v14, v10, vcc_lo
	v_add_co_u32 v9, vcc_lo, v9, v11
	s_delay_alu instid0(VALU_DEP_2) | instskip(NEXT) | instid1(VALU_DEP_2)
	v_add_co_ci_u32_e32 v10, vcc_lo, v10, v12, vcc_lo
	v_lshrrev_b32_e32 v11, 3, v9
	s_delay_alu instid0(VALU_DEP_1) | instskip(NEXT) | instid1(VALU_DEP_1)
	v_add_nc_u32_e32 v11, 1, v11
	v_and_b32_e32 v11, 3, v11
	s_delay_alu instid0(VALU_DEP_1)
	v_cmpx_ne_u32_e32 0, v11
	s_cbranch_execz .LBB101_33
; %bb.30:
	v_lshlrev_b64 v[13:14], 3, v[0:1]
	v_dual_mov_b32 v12, 0 :: v_dual_lshlrev_b32 v11, 2, v11
	s_mov_b32 s6, 0
	s_delay_alu instid0(VALU_DEP_1) | instskip(NEXT) | instid1(VALU_DEP_3)
	v_mov_b32_e32 v21, v12
	v_add_co_u32 v13, vcc_lo, s8, v13
	s_delay_alu instid0(VALU_DEP_4)
	v_add_co_ci_u32_e32 v14, vcc_lo, s9, v14, vcc_lo
	v_mov_b32_e32 v23, v12
	v_mov_b32_e32 v24, v12
	;; [unrolled: 1-line block ×3, first 2 shown]
.LBB101_31:                             ; =>This Inner Loop Header: Depth=1
	global_load_b64 v[19:20], v[13:14], off
	global_load_b128 v[15:18], v[7:8], off
	s_waitcnt vmcnt(1)
	v_sub_co_u32 v19, vcc_lo, v19, s20
	v_subrev_co_ci_u32_e32 v20, vcc_lo, s15, v20, vcc_lo
	s_delay_alu instid0(VALU_DEP_1) | instskip(SKIP_1) | instid1(VALU_DEP_1)
	v_lshlrev_b64 v[19:20], 3, v[19:20]
	s_waitcnt lgkmcnt(0)
	v_add_co_u32 v19, vcc_lo, s4, v19
	s_delay_alu instid0(VALU_DEP_2)
	v_add_co_ci_u32_e32 v20, vcc_lo, s5, v20, vcc_lo
	global_load_b64 v[19:20], v[19:20], off
	global_load_b128 v[25:28], v[7:8], off offset:16
	v_add_co_u32 v7, vcc_lo, 0x100, v7
	v_add_co_ci_u32_e32 v8, vcc_lo, 0, v8, vcc_lo
	v_add_co_u32 v0, vcc_lo, v0, 8
	v_add_co_ci_u32_e32 v1, vcc_lo, 0, v1, vcc_lo
	v_add_co_u32 v13, vcc_lo, v13, 64
	v_add_co_ci_u32_e32 v14, vcc_lo, 0, v14, vcc_lo
	v_add_co_u32 v11, vcc_lo, v11, -4
	v_add_co_ci_u32_e32 v12, vcc_lo, -1, v12, vcc_lo
	s_delay_alu instid0(VALU_DEP_1)
	v_cmp_eq_u64_e32 vcc_lo, 0, v[11:12]
	s_or_b32 s6, vcc_lo, s6
	s_waitcnt vmcnt(1)
	v_fma_mix_f32 v22, v15, v19, v22 op_sel_hi:[1,1,0]
	v_fma_mix_f32 v15, v15, v19, v24 op_sel:[1,0,0] op_sel_hi:[1,1,0]
	v_fma_mix_f32 v23, v16, v19, v23 op_sel_hi:[1,1,0]
	v_fma_mix_f32 v16, v16, v19, v21 op_sel:[1,0,0] op_sel_hi:[1,1,0]
	s_delay_alu instid0(VALU_DEP_4) | instskip(NEXT) | instid1(VALU_DEP_4)
	v_fma_mix_f32 v21, v17, v19, v22 op_sel:[0,1,0] op_sel_hi:[1,1,0]
	v_fma_mix_f32 v15, v17, v19, v15 op_sel:[1,1,0] op_sel_hi:[1,1,0]
	s_delay_alu instid0(VALU_DEP_4) | instskip(NEXT) | instid1(VALU_DEP_4)
	v_fma_mix_f32 v17, v18, v19, v23 op_sel:[0,1,0] op_sel_hi:[1,1,0]
	v_fma_mix_f32 v16, v18, v19, v16 op_sel:[1,1,0] op_sel_hi:[1,1,0]
	s_waitcnt vmcnt(0)
	v_fma_mix_f32 v18, v25, v20, v21 op_sel_hi:[1,1,0]
	v_fma_mix_f32 v15, v25, v20, v15 op_sel:[1,0,0] op_sel_hi:[1,1,0]
	v_fma_mix_f32 v17, v26, v20, v17 op_sel_hi:[1,1,0]
	v_fma_mix_f32 v16, v26, v20, v16 op_sel:[1,0,0] op_sel_hi:[1,1,0]
	s_delay_alu instid0(VALU_DEP_4) | instskip(NEXT) | instid1(VALU_DEP_4)
	v_fma_mix_f32 v22, v27, v20, v18 op_sel:[0,1,0] op_sel_hi:[1,1,0]
	v_fma_mix_f32 v24, v27, v20, v15 op_sel:[1,1,0] op_sel_hi:[1,1,0]
	s_delay_alu instid0(VALU_DEP_4) | instskip(NEXT) | instid1(VALU_DEP_4)
	v_fma_mix_f32 v23, v28, v20, v17 op_sel:[0,1,0] op_sel_hi:[1,1,0]
	v_fma_mix_f32 v21, v28, v20, v16 op_sel:[1,1,0] op_sel_hi:[1,1,0]
	s_and_not1_b32 exec_lo, exec_lo, s6
	s_cbranch_execnz .LBB101_31
; %bb.32:
	s_or_b32 exec_lo, exec_lo, s6
.LBB101_33:
	s_delay_alu instid0(SALU_CYCLE_1) | instskip(NEXT) | instid1(SALU_CYCLE_1)
	s_or_b32 exec_lo, exec_lo, s2
	s_mov_b32 s6, exec_lo
	v_cmpx_lt_u64_e32 23, v[9:10]
	s_cbranch_execz .LBB101_37
; %bb.34:
	v_lshlrev_b64 v[9:10], 3, v[0:1]
	s_mov_b32 s7, 0
	s_delay_alu instid0(VALU_DEP_1) | instskip(NEXT) | instid1(VALU_DEP_2)
	v_add_co_u32 v9, vcc_lo, v9, s8
	v_add_co_ci_u32_e32 v10, vcc_lo, s9, v10, vcc_lo
	s_delay_alu instid0(VALU_DEP_2) | instskip(NEXT) | instid1(VALU_DEP_2)
	v_add_co_u32 v9, vcc_lo, 0x80, v9
	v_add_co_ci_u32_e32 v10, vcc_lo, 0, v10, vcc_lo
.LBB101_35:                             ; =>This Inner Loop Header: Depth=1
	s_clause 0x3
	global_load_b64 v[19:20], v[9:10], off offset:-128
	global_load_b64 v[45:46], v[9:10], off offset:-64
	global_load_b64 v[47:48], v[9:10], off
	global_load_b64 v[49:50], v[9:10], off offset:64
	s_clause 0x6
	global_load_b128 v[11:14], v[7:8], off
	global_load_b128 v[15:18], v[7:8], off offset:16
	global_load_b128 v[25:28], v[7:8], off offset:256
	;; [unrolled: 1-line block ×6, first 2 shown]
	s_waitcnt vmcnt(10)
	v_sub_co_u32 v19, vcc_lo, v19, s20
	v_subrev_co_ci_u32_e32 v20, vcc_lo, s15, v20, vcc_lo
	s_waitcnt vmcnt(9)
	v_sub_co_u32 v45, vcc_lo, v45, s20
	v_subrev_co_ci_u32_e32 v46, vcc_lo, s15, v46, vcc_lo
	s_delay_alu instid0(VALU_DEP_3) | instskip(SKIP_2) | instid1(VALU_DEP_3)
	v_lshlrev_b64 v[19:20], 3, v[19:20]
	s_waitcnt vmcnt(8)
	v_sub_co_u32 v47, vcc_lo, v47, s20
	v_lshlrev_b64 v[45:46], 3, v[45:46]
	v_subrev_co_ci_u32_e32 v48, vcc_lo, s15, v48, vcc_lo
	s_waitcnt lgkmcnt(0)
	v_add_co_u32 v19, s2, s4, v19
	s_delay_alu instid0(VALU_DEP_1) | instskip(NEXT) | instid1(VALU_DEP_4)
	v_add_co_ci_u32_e64 v20, s2, s5, v20, s2
	v_add_co_u32 v45, vcc_lo, s4, v45
	v_add_co_ci_u32_e32 v46, vcc_lo, s5, v46, vcc_lo
	s_clause 0x1
	global_load_b64 v[19:20], v[19:20], off
	global_load_b64 v[51:52], v[45:46], off
	v_lshlrev_b64 v[46:47], 3, v[47:48]
	s_waitcnt vmcnt(9)
	v_sub_co_u32 v45, vcc_lo, v49, s20
	s_delay_alu instid0(VALU_DEP_2) | instskip(NEXT) | instid1(VALU_DEP_1)
	v_add_co_u32 v46, s2, s4, v46
	v_add_co_ci_u32_e64 v47, s2, s5, v47, s2
	global_load_b64 v[53:54], v[46:47], off
	v_subrev_co_ci_u32_e32 v46, vcc_lo, s15, v50, vcc_lo
	s_delay_alu instid0(VALU_DEP_1) | instskip(NEXT) | instid1(VALU_DEP_1)
	v_lshlrev_b64 v[45:46], 3, v[45:46]
	v_add_co_u32 v45, vcc_lo, s4, v45
	s_delay_alu instid0(VALU_DEP_2)
	v_add_co_ci_u32_e32 v46, vcc_lo, s5, v46, vcc_lo
	global_load_b64 v[49:50], v[45:46], off
	global_load_b128 v[45:48], v[7:8], off offset:784
	v_add_co_u32 v7, vcc_lo, 0x400, v7
	v_add_co_ci_u32_e32 v8, vcc_lo, 0, v8, vcc_lo
	v_add_co_u32 v0, vcc_lo, v0, 32
	v_add_co_ci_u32_e32 v1, vcc_lo, 0, v1, vcc_lo
	;; [unrolled: 2-line block ×3, first 2 shown]
	s_delay_alu instid0(VALU_DEP_3)
	v_cmp_ge_i64_e32 vcc_lo, v[0:1], v[5:6]
	s_or_b32 s7, vcc_lo, s7
	s_waitcnt vmcnt(4)
	v_fma_mix_f32 v22, v11, v19, v22 op_sel_hi:[1,1,0]
	v_fma_mix_f32 v11, v11, v19, v24 op_sel:[1,0,0] op_sel_hi:[1,1,0]
	v_fma_mix_f32 v23, v12, v19, v23 op_sel_hi:[1,1,0]
	v_fma_mix_f32 v12, v12, v19, v21 op_sel:[1,0,0] op_sel_hi:[1,1,0]
	s_delay_alu instid0(VALU_DEP_4) | instskip(NEXT) | instid1(VALU_DEP_4)
	v_fma_mix_f32 v21, v13, v19, v22 op_sel:[0,1,0] op_sel_hi:[1,1,0]
	v_fma_mix_f32 v11, v13, v19, v11 op_sel:[1,1,0] op_sel_hi:[1,1,0]
	s_delay_alu instid0(VALU_DEP_4) | instskip(NEXT) | instid1(VALU_DEP_4)
	v_fma_mix_f32 v13, v14, v19, v23 op_sel:[0,1,0] op_sel_hi:[1,1,0]
	v_fma_mix_f32 v12, v14, v19, v12 op_sel:[1,1,0] op_sel_hi:[1,1,0]
	s_delay_alu instid0(VALU_DEP_4) | instskip(NEXT) | instid1(VALU_DEP_4)
	v_fma_mix_f32 v14, v15, v20, v21 op_sel_hi:[1,1,0]
	v_fma_mix_f32 v11, v15, v20, v11 op_sel:[1,0,0] op_sel_hi:[1,1,0]
	s_delay_alu instid0(VALU_DEP_4) | instskip(NEXT) | instid1(VALU_DEP_4)
	v_fma_mix_f32 v13, v16, v20, v13 op_sel_hi:[1,1,0]
	v_fma_mix_f32 v12, v16, v20, v12 op_sel:[1,0,0] op_sel_hi:[1,1,0]
	s_delay_alu instid0(VALU_DEP_4) | instskip(NEXT) | instid1(VALU_DEP_4)
	v_fma_mix_f32 v14, v17, v20, v14 op_sel:[0,1,0] op_sel_hi:[1,1,0]
	v_fma_mix_f32 v11, v17, v20, v11 op_sel:[1,1,0] op_sel_hi:[1,1,0]
	s_delay_alu instid0(VALU_DEP_4) | instskip(NEXT) | instid1(VALU_DEP_4)
	v_fma_mix_f32 v13, v18, v20, v13 op_sel:[0,1,0] op_sel_hi:[1,1,0]
	v_fma_mix_f32 v12, v18, v20, v12 op_sel:[1,1,0] op_sel_hi:[1,1,0]
	s_waitcnt vmcnt(3)
	v_fma_mix_f32 v14, v25, v51, v14 op_sel_hi:[1,1,0]
	v_fma_mix_f32 v11, v25, v51, v11 op_sel:[1,0,0] op_sel_hi:[1,1,0]
	v_fma_mix_f32 v13, v26, v51, v13 op_sel_hi:[1,1,0]
	v_fma_mix_f32 v12, v26, v51, v12 op_sel:[1,0,0] op_sel_hi:[1,1,0]
	s_delay_alu instid0(VALU_DEP_4) | instskip(NEXT) | instid1(VALU_DEP_4)
	v_fma_mix_f32 v14, v27, v51, v14 op_sel:[0,1,0] op_sel_hi:[1,1,0]
	v_fma_mix_f32 v11, v27, v51, v11 op_sel:[1,1,0] op_sel_hi:[1,1,0]
	s_delay_alu instid0(VALU_DEP_4) | instskip(NEXT) | instid1(VALU_DEP_4)
	v_fma_mix_f32 v13, v28, v51, v13 op_sel:[0,1,0] op_sel_hi:[1,1,0]
	v_fma_mix_f32 v12, v28, v51, v12 op_sel:[1,1,0] op_sel_hi:[1,1,0]
	s_delay_alu instid0(VALU_DEP_4) | instskip(NEXT) | instid1(VALU_DEP_4)
	v_fma_mix_f32 v14, v29, v52, v14 op_sel_hi:[1,1,0]
	v_fma_mix_f32 v11, v29, v52, v11 op_sel:[1,0,0] op_sel_hi:[1,1,0]
	s_delay_alu instid0(VALU_DEP_4) | instskip(NEXT) | instid1(VALU_DEP_4)
	v_fma_mix_f32 v13, v30, v52, v13 op_sel_hi:[1,1,0]
	v_fma_mix_f32 v12, v30, v52, v12 op_sel:[1,0,0] op_sel_hi:[1,1,0]
	s_delay_alu instid0(VALU_DEP_4) | instskip(NEXT) | instid1(VALU_DEP_4)
	v_fma_mix_f32 v14, v31, v52, v14 op_sel:[0,1,0] op_sel_hi:[1,1,0]
	v_fma_mix_f32 v11, v31, v52, v11 op_sel:[1,1,0] op_sel_hi:[1,1,0]
	s_delay_alu instid0(VALU_DEP_4) | instskip(NEXT) | instid1(VALU_DEP_4)
	v_fma_mix_f32 v13, v32, v52, v13 op_sel:[0,1,0] op_sel_hi:[1,1,0]
	v_fma_mix_f32 v12, v32, v52, v12 op_sel:[1,1,0] op_sel_hi:[1,1,0]
	;; [unrolled: 23-line block ×3, first 2 shown]
	s_waitcnt vmcnt(1)
	v_fma_mix_f32 v14, v41, v49, v14 op_sel_hi:[1,1,0]
	v_fma_mix_f32 v11, v41, v49, v11 op_sel:[1,0,0] op_sel_hi:[1,1,0]
	v_fma_mix_f32 v13, v42, v49, v13 op_sel_hi:[1,1,0]
	v_fma_mix_f32 v12, v42, v49, v12 op_sel:[1,0,0] op_sel_hi:[1,1,0]
	s_delay_alu instid0(VALU_DEP_4) | instskip(NEXT) | instid1(VALU_DEP_4)
	v_fma_mix_f32 v14, v43, v49, v14 op_sel:[0,1,0] op_sel_hi:[1,1,0]
	v_fma_mix_f32 v11, v43, v49, v11 op_sel:[1,1,0] op_sel_hi:[1,1,0]
	s_delay_alu instid0(VALU_DEP_4) | instskip(NEXT) | instid1(VALU_DEP_4)
	v_fma_mix_f32 v13, v44, v49, v13 op_sel:[0,1,0] op_sel_hi:[1,1,0]
	v_fma_mix_f32 v12, v44, v49, v12 op_sel:[1,1,0] op_sel_hi:[1,1,0]
	s_waitcnt vmcnt(0)
	v_fma_mix_f32 v14, v45, v50, v14 op_sel_hi:[1,1,0]
	v_fma_mix_f32 v11, v45, v50, v11 op_sel:[1,0,0] op_sel_hi:[1,1,0]
	v_fma_mix_f32 v13, v46, v50, v13 op_sel_hi:[1,1,0]
	v_fma_mix_f32 v12, v46, v50, v12 op_sel:[1,0,0] op_sel_hi:[1,1,0]
	s_delay_alu instid0(VALU_DEP_4) | instskip(NEXT) | instid1(VALU_DEP_4)
	v_fma_mix_f32 v22, v47, v50, v14 op_sel:[0,1,0] op_sel_hi:[1,1,0]
	v_fma_mix_f32 v24, v47, v50, v11 op_sel:[1,1,0] op_sel_hi:[1,1,0]
	s_delay_alu instid0(VALU_DEP_4) | instskip(NEXT) | instid1(VALU_DEP_4)
	v_fma_mix_f32 v23, v48, v50, v13 op_sel:[0,1,0] op_sel_hi:[1,1,0]
	v_fma_mix_f32 v21, v48, v50, v12 op_sel:[1,1,0] op_sel_hi:[1,1,0]
	s_and_not1_b32 exec_lo, exec_lo, s7
	s_cbranch_execnz .LBB101_35
; %bb.36:
	s_or_b32 exec_lo, exec_lo, s7
.LBB101_37:
	s_delay_alu instid0(SALU_CYCLE_1)
	s_or_b32 exec_lo, exec_lo, s6
.LBB101_38:
	s_delay_alu instid0(SALU_CYCLE_1)
	s_or_b32 exec_lo, exec_lo, s3
.LBB101_39:
	v_mbcnt_lo_u32_b32 v0, -1, 0
	s_mov_b32 s2, -1
	s_delay_alu instid0(VALU_DEP_1) | instskip(SKIP_2) | instid1(VALU_DEP_3)
	v_xor_b32_e32 v1, 4, v0
	v_xor_b32_e32 v8, 2, v0
	;; [unrolled: 1-line block ×3, first 2 shown]
	v_cmp_gt_i32_e32 vcc_lo, 32, v1
	v_cndmask_b32_e32 v1, v0, v1, vcc_lo
	s_delay_alu instid0(VALU_DEP_4) | instskip(SKIP_2) | instid1(VALU_DEP_2)
	v_cmp_gt_i32_e32 vcc_lo, 32, v8
	v_cndmask_b32_e32 v8, v0, v8, vcc_lo
	v_cmp_gt_i32_e32 vcc_lo, 32, v12
	v_lshlrev_b32_e32 v8, 2, v8
	v_dual_cndmask_b32 v0, v0, v12 :: v_dual_lshlrev_b32 v1, 2, v1
	v_cmp_eq_u32_e32 vcc_lo, 7, v2
	ds_bpermute_b32 v6, v1, v24
	v_lshlrev_b32_e32 v12, 2, v0
	s_waitcnt lgkmcnt(0)
	v_add_f32_e32 v6, v24, v6
	ds_bpermute_b32 v5, v1, v22
	ds_bpermute_b32 v7, v1, v23
	;; [unrolled: 1-line block ×4, first 2 shown]
	s_waitcnt lgkmcnt(3)
	v_add_f32_e32 v5, v22, v5
	s_waitcnt lgkmcnt(2)
	v_add_f32_e32 v7, v23, v7
	;; [unrolled: 2-line block ×3, first 2 shown]
	ds_bpermute_b32 v1, v8, v5
	ds_bpermute_b32 v11, v8, v7
	;; [unrolled: 1-line block ×3, first 2 shown]
	s_waitcnt lgkmcnt(2)
	v_dual_add_f32 v0, v5, v1 :: v_dual_add_f32 v1, v6, v10
	s_waitcnt lgkmcnt(0)
	v_dual_add_f32 v5, v7, v11 :: v_dual_add_f32 v6, v9, v8
	ds_bpermute_b32 v7, v12, v0
	ds_bpermute_b32 v8, v12, v1
	;; [unrolled: 1-line block ×4, first 2 shown]
	s_and_b32 exec_lo, exec_lo, vcc_lo
	s_cbranch_execz .LBB101_10
; %bb.40:
	s_load_b64 s[0:1], s[0:1], 0x58
	s_waitcnt lgkmcnt(0)
	v_dual_add_f32 v0, v0, v7 :: v_dual_add_f32 v1, v1, v8
	v_add_f32_e32 v6, v6, v10
	v_cmp_eq_f32_e64 s3, s12, 0
	s_delay_alu instid0(VALU_DEP_3) | instskip(SKIP_4) | instid1(VALU_DEP_3)
	v_dual_mul_f32 v0, s16, v0 :: v_dual_mul_f32 v1, s16, v1
	v_add_f32_e32 v2, v5, v9
	v_lshlrev_b64 v[4:5], 4, v[3:4]
	v_mul_f32_e32 v3, s16, v6
	s_and_b32 vcc_lo, exec_lo, s3
	v_mul_f32_e32 v2, s16, v2
	s_cbranch_vccz .LBB101_42
; %bb.41:
	s_delay_alu instid0(VALU_DEP_3)
	v_add_co_u32 v6, vcc_lo, s0, v4
	v_add_co_ci_u32_e32 v7, vcc_lo, s1, v5, vcc_lo
	s_mov_b32 s2, 0
	global_store_b128 v[6:7], v[0:3], off
.LBB101_42:
	s_and_not1_b32 vcc_lo, exec_lo, s2
	s_cbranch_vccnz .LBB101_10
; %bb.43:
	v_add_co_u32 v8, vcc_lo, s0, v4
	v_add_co_ci_u32_e32 v9, vcc_lo, s1, v5, vcc_lo
	global_load_b128 v[4:7], v[8:9], off
	s_waitcnt vmcnt(0)
	v_dual_fmac_f32 v0, s12, v4 :: v_dual_fmac_f32 v1, s12, v5
	v_dual_fmac_f32 v2, s12, v6 :: v_dual_fmac_f32 v3, s12, v7
	global_store_b128 v[8:9], v[0:3], off
	s_nop 0
	s_sendmsg sendmsg(MSG_DEALLOC_VGPRS)
	s_endpgm
	.section	.rodata,"a",@progbits
	.p2align	6, 0x0
	.amdhsa_kernel _ZN9rocsparseL18bsrxmvn_4x4_kernelILj128ELj8EfllDF16_DF16_fEEvT3_20rocsparse_direction_NS_24const_host_device_scalarIT1_EES1_PKS1_PKT2_SA_S7_PKT4_PKT5_S5_PT6_21rocsparse_index_base_b
		.amdhsa_group_segment_fixed_size 0
		.amdhsa_private_segment_fixed_size 0
		.amdhsa_kernarg_size 104
		.amdhsa_user_sgpr_count 15
		.amdhsa_user_sgpr_dispatch_ptr 0
		.amdhsa_user_sgpr_queue_ptr 0
		.amdhsa_user_sgpr_kernarg_segment_ptr 1
		.amdhsa_user_sgpr_dispatch_id 0
		.amdhsa_user_sgpr_private_segment_size 0
		.amdhsa_wavefront_size32 1
		.amdhsa_uses_dynamic_stack 0
		.amdhsa_enable_private_segment 0
		.amdhsa_system_sgpr_workgroup_id_x 1
		.amdhsa_system_sgpr_workgroup_id_y 0
		.amdhsa_system_sgpr_workgroup_id_z 0
		.amdhsa_system_sgpr_workgroup_info 0
		.amdhsa_system_vgpr_workitem_id 0
		.amdhsa_next_free_vgpr 61
		.amdhsa_next_free_sgpr 22
		.amdhsa_reserve_vcc 1
		.amdhsa_float_round_mode_32 0
		.amdhsa_float_round_mode_16_64 0
		.amdhsa_float_denorm_mode_32 3
		.amdhsa_float_denorm_mode_16_64 3
		.amdhsa_dx10_clamp 1
		.amdhsa_ieee_mode 1
		.amdhsa_fp16_overflow 0
		.amdhsa_workgroup_processor_mode 1
		.amdhsa_memory_ordered 1
		.amdhsa_forward_progress 0
		.amdhsa_shared_vgpr_count 0
		.amdhsa_exception_fp_ieee_invalid_op 0
		.amdhsa_exception_fp_denorm_src 0
		.amdhsa_exception_fp_ieee_div_zero 0
		.amdhsa_exception_fp_ieee_overflow 0
		.amdhsa_exception_fp_ieee_underflow 0
		.amdhsa_exception_fp_ieee_inexact 0
		.amdhsa_exception_int_div_zero 0
	.end_amdhsa_kernel
	.section	.text._ZN9rocsparseL18bsrxmvn_4x4_kernelILj128ELj8EfllDF16_DF16_fEEvT3_20rocsparse_direction_NS_24const_host_device_scalarIT1_EES1_PKS1_PKT2_SA_S7_PKT4_PKT5_S5_PT6_21rocsparse_index_base_b,"axG",@progbits,_ZN9rocsparseL18bsrxmvn_4x4_kernelILj128ELj8EfllDF16_DF16_fEEvT3_20rocsparse_direction_NS_24const_host_device_scalarIT1_EES1_PKS1_PKT2_SA_S7_PKT4_PKT5_S5_PT6_21rocsparse_index_base_b,comdat
.Lfunc_end101:
	.size	_ZN9rocsparseL18bsrxmvn_4x4_kernelILj128ELj8EfllDF16_DF16_fEEvT3_20rocsparse_direction_NS_24const_host_device_scalarIT1_EES1_PKS1_PKT2_SA_S7_PKT4_PKT5_S5_PT6_21rocsparse_index_base_b, .Lfunc_end101-_ZN9rocsparseL18bsrxmvn_4x4_kernelILj128ELj8EfllDF16_DF16_fEEvT3_20rocsparse_direction_NS_24const_host_device_scalarIT1_EES1_PKS1_PKT2_SA_S7_PKT4_PKT5_S5_PT6_21rocsparse_index_base_b
                                        ; -- End function
	.section	.AMDGPU.csdata,"",@progbits
; Kernel info:
; codeLenInByte = 4244
; NumSgprs: 24
; NumVgprs: 61
; ScratchSize: 0
; MemoryBound: 0
; FloatMode: 240
; IeeeMode: 1
; LDSByteSize: 0 bytes/workgroup (compile time only)
; SGPRBlocks: 2
; VGPRBlocks: 7
; NumSGPRsForWavesPerEU: 24
; NumVGPRsForWavesPerEU: 61
; Occupancy: 16
; WaveLimiterHint : 1
; COMPUTE_PGM_RSRC2:SCRATCH_EN: 0
; COMPUTE_PGM_RSRC2:USER_SGPR: 15
; COMPUTE_PGM_RSRC2:TRAP_HANDLER: 0
; COMPUTE_PGM_RSRC2:TGID_X_EN: 1
; COMPUTE_PGM_RSRC2:TGID_Y_EN: 0
; COMPUTE_PGM_RSRC2:TGID_Z_EN: 0
; COMPUTE_PGM_RSRC2:TIDIG_COMP_CNT: 0
	.section	.text._ZN9rocsparseL18bsrxmvn_4x4_kernelILj128ELj16EfllDF16_DF16_fEEvT3_20rocsparse_direction_NS_24const_host_device_scalarIT1_EES1_PKS1_PKT2_SA_S7_PKT4_PKT5_S5_PT6_21rocsparse_index_base_b,"axG",@progbits,_ZN9rocsparseL18bsrxmvn_4x4_kernelILj128ELj16EfllDF16_DF16_fEEvT3_20rocsparse_direction_NS_24const_host_device_scalarIT1_EES1_PKS1_PKT2_SA_S7_PKT4_PKT5_S5_PT6_21rocsparse_index_base_b,comdat
	.globl	_ZN9rocsparseL18bsrxmvn_4x4_kernelILj128ELj16EfllDF16_DF16_fEEvT3_20rocsparse_direction_NS_24const_host_device_scalarIT1_EES1_PKS1_PKT2_SA_S7_PKT4_PKT5_S5_PT6_21rocsparse_index_base_b ; -- Begin function _ZN9rocsparseL18bsrxmvn_4x4_kernelILj128ELj16EfllDF16_DF16_fEEvT3_20rocsparse_direction_NS_24const_host_device_scalarIT1_EES1_PKS1_PKT2_SA_S7_PKT4_PKT5_S5_PT6_21rocsparse_index_base_b
	.p2align	8
	.type	_ZN9rocsparseL18bsrxmvn_4x4_kernelILj128ELj16EfllDF16_DF16_fEEvT3_20rocsparse_direction_NS_24const_host_device_scalarIT1_EES1_PKS1_PKT2_SA_S7_PKT4_PKT5_S5_PT6_21rocsparse_index_base_b,@function
_ZN9rocsparseL18bsrxmvn_4x4_kernelILj128ELj16EfllDF16_DF16_fEEvT3_20rocsparse_direction_NS_24const_host_device_scalarIT1_EES1_PKS1_PKT2_SA_S7_PKT4_PKT5_S5_PT6_21rocsparse_index_base_b: ; @_ZN9rocsparseL18bsrxmvn_4x4_kernelILj128ELj16EfllDF16_DF16_fEEvT3_20rocsparse_direction_NS_24const_host_device_scalarIT1_EES1_PKS1_PKT2_SA_S7_PKT4_PKT5_S5_PT6_21rocsparse_index_base_b
; %bb.0:
	s_clause 0x2
	s_load_b64 s[20:21], s[0:1], 0x60
	s_load_b128 s[16:19], s[0:1], 0x10
	s_load_b64 s[12:13], s[0:1], 0x50
	s_waitcnt lgkmcnt(0)
	s_bitcmp1_b32 s21, 0
	s_cselect_b32 s2, -1, 0
	s_delay_alu instid0(SALU_CYCLE_1)
	s_and_b32 vcc_lo, exec_lo, s2
	s_xor_b32 s2, s2, -1
	s_cbranch_vccnz .LBB102_2
; %bb.1:
	s_load_b32 s16, s[16:17], 0x0
.LBB102_2:
	s_and_not1_b32 vcc_lo, exec_lo, s2
	s_cbranch_vccnz .LBB102_4
; %bb.3:
	s_load_b32 s12, s[12:13], 0x0
.LBB102_4:
	s_waitcnt lgkmcnt(0)
	v_cmp_neq_f32_e64 s2, s16, 0
	v_cmp_neq_f32_e64 s3, s12, 1.0
	s_mov_b32 s4, 0
	s_delay_alu instid0(VALU_DEP_1) | instskip(NEXT) | instid1(SALU_CYCLE_1)
	s_or_b32 s2, s2, s3
	s_and_not1_b32 vcc_lo, exec_lo, s2
	s_cbranch_vccnz .LBB102_10
; %bb.5:
	s_load_b64 s[2:3], s[0:1], 0x20
	v_lshrrev_b32_e32 v1, 4, v0
	v_mov_b32_e32 v2, 0
	s_delay_alu instid0(VALU_DEP_2)
	v_lshl_or_b32 v1, s15, 3, v1
	s_waitcnt lgkmcnt(0)
	s_cmp_lg_u64 s[2:3], 0
	s_cbranch_scc0 .LBB102_11
; %bb.6:
	s_mov_b32 s5, 0
	s_mov_b32 s6, exec_lo
                                        ; implicit-def: $vgpr3_vgpr4
	v_cmpx_gt_i64_e64 s[18:19], v[1:2]
	s_xor_b32 s6, exec_lo, s6
                                        ; implicit-def: $sgpr14_sgpr15
	s_cbranch_execz .LBB102_8
; %bb.7:
	v_lshlrev_b64 v[3:4], 3, v[1:2]
	s_mov_b32 s4, exec_lo
	s_mov_b32 s15, 0
	s_delay_alu instid0(VALU_DEP_1) | instskip(NEXT) | instid1(VALU_DEP_2)
	v_add_co_u32 v3, vcc_lo, s2, v3
	v_add_co_ci_u32_e32 v4, vcc_lo, s3, v4, vcc_lo
	global_load_b64 v[3:4], v[3:4], off
	s_waitcnt vmcnt(0)
	v_sub_co_u32 v3, vcc_lo, v3, s20
	v_subrev_co_ci_u32_e32 v4, vcc_lo, 0, v4, vcc_lo
.LBB102_8:
	s_or_b32 exec_lo, exec_lo, s6
	s_delay_alu instid0(SALU_CYCLE_1)
	s_and_b32 vcc_lo, exec_lo, s5
	s_cbranch_vccnz .LBB102_12
.LBB102_9:
	s_and_saveexec_b32 s2, s4
	s_cbranch_execnz .LBB102_15
.LBB102_10:
	s_nop 0
	s_sendmsg sendmsg(MSG_DEALLOC_VGPRS)
	s_endpgm
.LBB102_11:
                                        ; implicit-def: $vgpr3_vgpr4
                                        ; implicit-def: $sgpr14_sgpr15
	s_cbranch_execz .LBB102_9
.LBB102_12:
	s_load_b64 s[2:3], s[0:1], 0x0
                                        ; implicit-def: $vgpr3_vgpr4
	s_waitcnt lgkmcnt(0)
	v_cmp_gt_i64_e32 vcc_lo, s[2:3], v[1:2]
	s_and_saveexec_b32 s2, vcc_lo
                                        ; implicit-def: $sgpr14_sgpr15
; %bb.13:
	v_dual_mov_b32 v4, v2 :: v_dual_mov_b32 v3, v1
	s_mov_b32 s15, 0
	s_or_b32 s4, s4, exec_lo
; %bb.14:
	s_or_b32 exec_lo, exec_lo, s2
	s_and_saveexec_b32 s2, s4
	s_cbranch_execz .LBB102_10
.LBB102_15:
	s_load_b256 s[4:11], s[0:1], 0x28
	v_lshlrev_b64 v[1:2], 3, v[3:4]
	s_load_b32 s3, s[0:1], 0x8
	v_mov_b32_e32 v21, 0
	s_waitcnt lgkmcnt(0)
	s_delay_alu instid0(VALU_DEP_2) | instskip(NEXT) | instid1(VALU_DEP_3)
	v_add_co_u32 v5, vcc_lo, s4, v1
	v_add_co_ci_u32_e32 v6, vcc_lo, s5, v2, vcc_lo
	v_add_co_u32 v1, vcc_lo, s6, v1
	v_add_co_ci_u32_e32 v2, vcc_lo, s7, v2, vcc_lo
	s_delay_alu instid0(VALU_DEP_4)
	v_add_co_u32 v7, vcc_lo, v5, 8
	global_load_b64 v[9:10], v[5:6], off
	v_add_co_ci_u32_e32 v8, vcc_lo, 0, v6, vcc_lo
	s_cmp_eq_u64 s[6:7], 0
	s_load_b64 s[4:5], s[0:1], 0x48
	s_cselect_b32 vcc_lo, -1, 0
	s_cmp_eq_u32 s3, 1
	v_dual_cndmask_b32 v2, v2, v8 :: v_dual_cndmask_b32 v1, v1, v7
	global_load_b64 v[5:6], v[1:2], off
	v_and_b32_e32 v2, 15, v0
	s_waitcnt vmcnt(1)
	v_sub_co_u32 v0, vcc_lo, v9, s20
	v_subrev_co_ci_u32_e32 v1, vcc_lo, s15, v10, vcc_lo
	s_delay_alu instid0(VALU_DEP_2) | instskip(NEXT) | instid1(VALU_DEP_2)
	v_add_co_u32 v0, vcc_lo, v0, v2
	v_add_co_ci_u32_e32 v1, vcc_lo, 0, v1, vcc_lo
	s_delay_alu instid0(VALU_DEP_1) | instskip(SKIP_3) | instid1(VALU_DEP_3)
	v_lshlrev_b64 v[7:8], 5, v[0:1]
	s_waitcnt vmcnt(0)
	v_sub_co_u32 v5, vcc_lo, v5, s20
	v_subrev_co_ci_u32_e32 v6, vcc_lo, s15, v6, vcc_lo
	v_add_co_u32 v7, vcc_lo, s10, v7
	s_delay_alu instid0(VALU_DEP_2)
	v_cmp_lt_i64_e64 s2, v[0:1], v[5:6]
	v_add_co_ci_u32_e32 v8, vcc_lo, s11, v8, vcc_lo
	s_cbranch_scc1 .LBB102_27
; %bb.16:
	v_dual_mov_b32 v23, 0 :: v_dual_mov_b32 v24, 0
	v_mov_b32_e32 v22, 0
	s_mov_b32 s6, 0
	s_and_saveexec_b32 s7, s2
	s_cbranch_execz .LBB102_26
; %bb.17:
	v_or_b32_e32 v11, 16, v2
	v_not_b32_e32 v14, v9
	v_not_b32_e32 v13, v10
	v_mov_b32_e32 v23, 0
	v_mov_b32_e32 v21, 0
	v_sub_co_u32 v11, s3, v11, s20
	s_delay_alu instid0(VALU_DEP_1) | instskip(SKIP_1) | instid1(VALU_DEP_3)
	v_sub_co_ci_u32_e64 v12, null, 0, s15, s3
	v_sub_co_u32 v15, s3, s20, v2
	v_add_co_u32 v11, vcc_lo, v11, v9
	s_delay_alu instid0(VALU_DEP_3) | instskip(SKIP_2) | instid1(VALU_DEP_2)
	v_add_co_ci_u32_e32 v12, vcc_lo, v12, v10, vcc_lo
	v_sub_co_ci_u32_e64 v16, null, s15, 0, s3
	s_mov_b32 s3, exec_lo
	v_cmp_gt_i64_e32 vcc_lo, v[11:12], v[5:6]
	v_mov_b32_e32 v22, 0
	v_mov_b32_e32 v24, 0
	v_dual_cndmask_b32 v12, v6, v12 :: v_dual_cndmask_b32 v11, v5, v11
	v_add_co_u32 v14, vcc_lo, v15, v14
	v_add_co_ci_u32_e32 v13, vcc_lo, v16, v13, vcc_lo
	s_delay_alu instid0(VALU_DEP_2) | instskip(NEXT) | instid1(VALU_DEP_2)
	v_add_co_u32 v15, vcc_lo, v14, v11
	v_add_co_ci_u32_e32 v16, vcc_lo, v13, v12, vcc_lo
	v_mov_b32_e32 v14, v8
	s_delay_alu instid0(VALU_DEP_3) | instskip(SKIP_1) | instid1(VALU_DEP_2)
	v_lshrrev_b32_e32 v11, 4, v15
	v_mov_b32_e32 v13, v7
	v_add_nc_u32_e32 v11, 1, v11
	s_delay_alu instid0(VALU_DEP_1) | instskip(SKIP_1) | instid1(VALU_DEP_2)
	v_dual_mov_b32 v12, v1 :: v_dual_and_b32 v17, 3, v11
	v_mov_b32_e32 v11, v0
	v_cmpx_ne_u32_e32 0, v17
	s_cbranch_execz .LBB102_21
; %bb.18:
	v_lshlrev_b64 v[11:12], 3, v[0:1]
	v_dual_mov_b32 v18, 0 :: v_dual_lshlrev_b32 v17, 2, v17
	v_dual_mov_b32 v14, v8 :: v_dual_mov_b32 v13, v7
	s_mov_b32 s10, 0
	s_delay_alu instid0(VALU_DEP_3) | instskip(NEXT) | instid1(VALU_DEP_4)
	v_add_co_u32 v19, vcc_lo, s8, v11
	v_add_co_ci_u32_e32 v20, vcc_lo, s9, v12, vcc_lo
	v_dual_mov_b32 v12, v1 :: v_dual_mov_b32 v11, v0
	v_mov_b32_e32 v21, v18
	v_mov_b32_e32 v23, v18
	;; [unrolled: 1-line block ×4, first 2 shown]
.LBB102_19:                             ; =>This Inner Loop Header: Depth=1
	global_load_b64 v[33:34], v[19:20], off
	s_clause 0x1
	global_load_b128 v[25:28], v[13:14], off
	global_load_b128 v[29:32], v[13:14], off offset:16
	s_waitcnt vmcnt(2)
	v_sub_co_u32 v33, vcc_lo, v33, s20
	v_subrev_co_ci_u32_e32 v34, vcc_lo, s15, v34, vcc_lo
	s_delay_alu instid0(VALU_DEP_1) | instskip(SKIP_1) | instid1(VALU_DEP_1)
	v_lshlrev_b64 v[33:34], 3, v[33:34]
	s_waitcnt lgkmcnt(0)
	v_add_co_u32 v33, vcc_lo, s4, v33
	s_delay_alu instid0(VALU_DEP_2)
	v_add_co_ci_u32_e32 v34, vcc_lo, s5, v34, vcc_lo
	v_add_co_u32 v13, vcc_lo, 0x200, v13
	v_add_co_ci_u32_e32 v14, vcc_lo, 0, v14, vcc_lo
	global_load_b64 v[33:34], v[33:34], off
	v_add_co_u32 v11, vcc_lo, v11, 16
	v_add_co_ci_u32_e32 v12, vcc_lo, 0, v12, vcc_lo
	v_add_co_u32 v19, vcc_lo, 0x80, v19
	v_add_co_ci_u32_e32 v20, vcc_lo, 0, v20, vcc_lo
	v_add_co_u32 v17, vcc_lo, v17, -4
	v_add_co_ci_u32_e32 v18, vcc_lo, -1, v18, vcc_lo
	s_delay_alu instid0(VALU_DEP_1)
	v_cmp_eq_u64_e32 vcc_lo, 0, v[17:18]
	s_or_b32 s10, vcc_lo, s10
	s_waitcnt vmcnt(0)
	v_fma_mix_f32 v22, v25, v33, v22 op_sel_hi:[1,1,0]
	v_fma_mix_f32 v24, v27, v33, v24 op_sel_hi:[1,1,0]
	;; [unrolled: 1-line block ×4, first 2 shown]
	s_delay_alu instid0(VALU_DEP_4) | instskip(NEXT) | instid1(VALU_DEP_4)
	v_fma_mix_f32 v22, v25, v33, v22 op_sel:[1,1,0] op_sel_hi:[1,1,0]
	v_fma_mix_f32 v24, v27, v33, v24 op_sel:[1,1,0] op_sel_hi:[1,1,0]
	s_delay_alu instid0(VALU_DEP_4) | instskip(NEXT) | instid1(VALU_DEP_4)
	v_fma_mix_f32 v23, v29, v33, v23 op_sel:[1,1,0] op_sel_hi:[1,1,0]
	v_fma_mix_f32 v21, v31, v33, v21 op_sel:[1,1,0] op_sel_hi:[1,1,0]
	s_delay_alu instid0(VALU_DEP_4) | instskip(NEXT) | instid1(VALU_DEP_4)
	v_fma_mix_f32 v22, v26, v34, v22 op_sel_hi:[1,1,0]
	v_fma_mix_f32 v24, v28, v34, v24 op_sel_hi:[1,1,0]
	s_delay_alu instid0(VALU_DEP_4) | instskip(NEXT) | instid1(VALU_DEP_4)
	v_fma_mix_f32 v23, v30, v34, v23 op_sel_hi:[1,1,0]
	v_fma_mix_f32 v21, v32, v34, v21 op_sel_hi:[1,1,0]
	s_delay_alu instid0(VALU_DEP_4) | instskip(NEXT) | instid1(VALU_DEP_4)
	v_fma_mix_f32 v22, v26, v34, v22 op_sel:[1,1,0] op_sel_hi:[1,1,0]
	v_fma_mix_f32 v24, v28, v34, v24 op_sel:[1,1,0] op_sel_hi:[1,1,0]
	s_delay_alu instid0(VALU_DEP_4) | instskip(NEXT) | instid1(VALU_DEP_4)
	v_fma_mix_f32 v23, v30, v34, v23 op_sel:[1,1,0] op_sel_hi:[1,1,0]
	v_fma_mix_f32 v21, v32, v34, v21 op_sel:[1,1,0] op_sel_hi:[1,1,0]
	s_and_not1_b32 exec_lo, exec_lo, s10
	s_cbranch_execnz .LBB102_19
; %bb.20:
	s_or_b32 exec_lo, exec_lo, s10
.LBB102_21:
	s_delay_alu instid0(SALU_CYCLE_1) | instskip(NEXT) | instid1(SALU_CYCLE_1)
	s_or_b32 exec_lo, exec_lo, s3
	s_mov_b32 s10, exec_lo
	v_cmpx_lt_u64_e32 47, v[15:16]
	s_cbranch_execz .LBB102_25
; %bb.22:
	v_lshlrev_b64 v[15:16], 3, v[11:12]
	s_mov_b32 s11, 0
	s_delay_alu instid0(VALU_DEP_1) | instskip(NEXT) | instid1(VALU_DEP_2)
	v_add_co_u32 v15, vcc_lo, v15, s8
	v_add_co_ci_u32_e32 v16, vcc_lo, s9, v16, vcc_lo
	s_delay_alu instid0(VALU_DEP_2) | instskip(NEXT) | instid1(VALU_DEP_2)
	v_add_co_u32 v15, vcc_lo, 0x100, v15
	v_add_co_ci_u32_e32 v16, vcc_lo, 0, v16, vcc_lo
.LBB102_23:                             ; =>This Inner Loop Header: Depth=1
	s_clause 0x3
	global_load_b64 v[53:54], v[15:16], off offset:-256
	global_load_b64 v[55:56], v[15:16], off offset:-128
	global_load_b64 v[57:58], v[15:16], off
	global_load_b64 v[59:60], v[15:16], off offset:128
	s_clause 0x7
	global_load_b128 v[17:20], v[13:14], off
	global_load_b128 v[25:28], v[13:14], off offset:16
	global_load_b128 v[29:32], v[13:14], off offset:512
	;; [unrolled: 1-line block ×7, first 2 shown]
	s_waitcnt vmcnt(11)
	v_sub_co_u32 v53, vcc_lo, v53, s20
	v_subrev_co_ci_u32_e32 v54, vcc_lo, s15, v54, vcc_lo
	s_waitcnt vmcnt(10)
	v_sub_co_u32 v55, vcc_lo, v55, s20
	v_subrev_co_ci_u32_e32 v56, vcc_lo, s15, v56, vcc_lo
	s_delay_alu instid0(VALU_DEP_3) | instskip(SKIP_2) | instid1(VALU_DEP_3)
	v_lshlrev_b64 v[53:54], 3, v[53:54]
	s_waitcnt vmcnt(9)
	v_sub_co_u32 v57, vcc_lo, v57, s20
	v_lshlrev_b64 v[55:56], 3, v[55:56]
	v_subrev_co_ci_u32_e32 v58, vcc_lo, s15, v58, vcc_lo
	s_waitcnt lgkmcnt(0)
	v_add_co_u32 v53, s3, s4, v53
	s_delay_alu instid0(VALU_DEP_1) | instskip(NEXT) | instid1(VALU_DEP_4)
	v_add_co_ci_u32_e64 v54, s3, s5, v54, s3
	v_add_co_u32 v55, vcc_lo, s4, v55
	v_add_co_ci_u32_e32 v56, vcc_lo, s5, v56, vcc_lo
	global_load_b64 v[53:54], v[53:54], off
	v_lshlrev_b64 v[57:58], 3, v[57:58]
	s_waitcnt vmcnt(9)
	v_sub_co_u32 v59, vcc_lo, v59, s20
	global_load_b64 v[55:56], v[55:56], off
	v_subrev_co_ci_u32_e32 v60, vcc_lo, s15, v60, vcc_lo
	v_add_co_u32 v57, s3, s4, v57
	s_delay_alu instid0(VALU_DEP_1) | instskip(NEXT) | instid1(VALU_DEP_3)
	v_add_co_ci_u32_e64 v58, s3, s5, v58, s3
	v_lshlrev_b64 v[59:60], 3, v[59:60]
	global_load_b64 v[57:58], v[57:58], off
	v_add_co_u32 v59, vcc_lo, s4, v59
	v_add_co_ci_u32_e32 v60, vcc_lo, s5, v60, vcc_lo
	v_add_co_u32 v13, vcc_lo, 0x800, v13
	v_add_co_ci_u32_e32 v14, vcc_lo, 0, v14, vcc_lo
	global_load_b64 v[59:60], v[59:60], off
	v_add_co_u32 v11, vcc_lo, v11, 64
	v_add_co_ci_u32_e32 v12, vcc_lo, 0, v12, vcc_lo
	v_add_co_u32 v15, vcc_lo, 0x200, v15
	v_add_co_ci_u32_e32 v16, vcc_lo, 0, v16, vcc_lo
	s_delay_alu instid0(VALU_DEP_3)
	v_cmp_ge_i64_e32 vcc_lo, v[11:12], v[5:6]
	s_or_b32 s11, vcc_lo, s11
	s_waitcnt vmcnt(3)
	v_fma_mix_f32 v22, v17, v53, v22 op_sel_hi:[1,1,0]
	v_fma_mix_f32 v24, v19, v53, v24 op_sel_hi:[1,1,0]
	v_fma_mix_f32 v23, v25, v53, v23 op_sel_hi:[1,1,0]
	v_fma_mix_f32 v21, v27, v53, v21 op_sel_hi:[1,1,0]
	s_delay_alu instid0(VALU_DEP_4) | instskip(NEXT) | instid1(VALU_DEP_4)
	v_fma_mix_f32 v17, v17, v53, v22 op_sel:[1,1,0] op_sel_hi:[1,1,0]
	v_fma_mix_f32 v19, v19, v53, v24 op_sel:[1,1,0] op_sel_hi:[1,1,0]
	s_delay_alu instid0(VALU_DEP_4) | instskip(NEXT) | instid1(VALU_DEP_4)
	v_fma_mix_f32 v22, v25, v53, v23 op_sel:[1,1,0] op_sel_hi:[1,1,0]
	v_fma_mix_f32 v21, v27, v53, v21 op_sel:[1,1,0] op_sel_hi:[1,1,0]
	s_delay_alu instid0(VALU_DEP_4) | instskip(NEXT) | instid1(VALU_DEP_4)
	v_fma_mix_f32 v17, v18, v54, v17 op_sel_hi:[1,1,0]
	v_fma_mix_f32 v19, v20, v54, v19 op_sel_hi:[1,1,0]
	s_delay_alu instid0(VALU_DEP_4) | instskip(NEXT) | instid1(VALU_DEP_4)
	v_fma_mix_f32 v22, v26, v54, v22 op_sel_hi:[1,1,0]
	v_fma_mix_f32 v21, v28, v54, v21 op_sel_hi:[1,1,0]
	s_delay_alu instid0(VALU_DEP_4) | instskip(NEXT) | instid1(VALU_DEP_4)
	v_fma_mix_f32 v17, v18, v54, v17 op_sel:[1,1,0] op_sel_hi:[1,1,0]
	v_fma_mix_f32 v18, v20, v54, v19 op_sel:[1,1,0] op_sel_hi:[1,1,0]
	s_delay_alu instid0(VALU_DEP_4) | instskip(NEXT) | instid1(VALU_DEP_4)
	v_fma_mix_f32 v19, v26, v54, v22 op_sel:[1,1,0] op_sel_hi:[1,1,0]
	v_fma_mix_f32 v20, v28, v54, v21 op_sel:[1,1,0] op_sel_hi:[1,1,0]
	s_waitcnt vmcnt(2)
	v_fma_mix_f32 v17, v29, v55, v17 op_sel_hi:[1,1,0]
	v_fma_mix_f32 v18, v31, v55, v18 op_sel_hi:[1,1,0]
	v_fma_mix_f32 v19, v33, v55, v19 op_sel_hi:[1,1,0]
	v_fma_mix_f32 v20, v35, v55, v20 op_sel_hi:[1,1,0]
	s_delay_alu instid0(VALU_DEP_4) | instskip(NEXT) | instid1(VALU_DEP_4)
	v_fma_mix_f32 v17, v29, v55, v17 op_sel:[1,1,0] op_sel_hi:[1,1,0]
	v_fma_mix_f32 v18, v31, v55, v18 op_sel:[1,1,0] op_sel_hi:[1,1,0]
	s_delay_alu instid0(VALU_DEP_4) | instskip(NEXT) | instid1(VALU_DEP_4)
	v_fma_mix_f32 v19, v33, v55, v19 op_sel:[1,1,0] op_sel_hi:[1,1,0]
	v_fma_mix_f32 v20, v35, v55, v20 op_sel:[1,1,0] op_sel_hi:[1,1,0]
	s_delay_alu instid0(VALU_DEP_4) | instskip(NEXT) | instid1(VALU_DEP_4)
	v_fma_mix_f32 v17, v30, v56, v17 op_sel_hi:[1,1,0]
	v_fma_mix_f32 v18, v32, v56, v18 op_sel_hi:[1,1,0]
	s_delay_alu instid0(VALU_DEP_4) | instskip(NEXT) | instid1(VALU_DEP_4)
	v_fma_mix_f32 v19, v34, v56, v19 op_sel_hi:[1,1,0]
	v_fma_mix_f32 v20, v36, v56, v20 op_sel_hi:[1,1,0]
	s_delay_alu instid0(VALU_DEP_4) | instskip(NEXT) | instid1(VALU_DEP_4)
	v_fma_mix_f32 v17, v30, v56, v17 op_sel:[1,1,0] op_sel_hi:[1,1,0]
	v_fma_mix_f32 v18, v32, v56, v18 op_sel:[1,1,0] op_sel_hi:[1,1,0]
	s_delay_alu instid0(VALU_DEP_4) | instskip(NEXT) | instid1(VALU_DEP_4)
	v_fma_mix_f32 v19, v34, v56, v19 op_sel:[1,1,0] op_sel_hi:[1,1,0]
	v_fma_mix_f32 v20, v36, v56, v20 op_sel:[1,1,0] op_sel_hi:[1,1,0]
	;; [unrolled: 23-line block ×4, first 2 shown]
	s_and_not1_b32 exec_lo, exec_lo, s11
	s_cbranch_execnz .LBB102_23
; %bb.24:
	s_or_b32 exec_lo, exec_lo, s11
.LBB102_25:
	s_delay_alu instid0(SALU_CYCLE_1)
	s_or_b32 exec_lo, exec_lo, s10
.LBB102_26:
	s_delay_alu instid0(SALU_CYCLE_1) | instskip(NEXT) | instid1(SALU_CYCLE_1)
	s_or_b32 exec_lo, exec_lo, s7
	s_and_not1_b32 vcc_lo, exec_lo, s6
	s_cbranch_vccz .LBB102_28
	s_branch .LBB102_39
.LBB102_27:
                                        ; implicit-def: $vgpr21
                                        ; implicit-def: $vgpr23
                                        ; implicit-def: $vgpr24
                                        ; implicit-def: $vgpr22
.LBB102_28:
	v_dual_mov_b32 v21, 0 :: v_dual_mov_b32 v24, 0
	v_dual_mov_b32 v23, 0 :: v_dual_mov_b32 v22, 0
	s_delay_alu instid0(VALU_DEP_4)
	s_and_saveexec_b32 s3, s2
	s_cbranch_execz .LBB102_38
; %bb.29:
	v_or_b32_e32 v11, 16, v2
	v_mov_b32_e32 v23, 0
	v_dual_mov_b32 v21, 0 :: v_dual_mov_b32 v22, 0
	v_mov_b32_e32 v24, 0
	s_delay_alu instid0(VALU_DEP_4) | instskip(NEXT) | instid1(VALU_DEP_1)
	v_sub_co_u32 v11, s2, v11, s20
	v_sub_co_ci_u32_e64 v12, null, 0, s15, s2
	v_sub_co_u32 v13, s2, s20, v2
	s_delay_alu instid0(VALU_DEP_3) | instskip(NEXT) | instid1(VALU_DEP_3)
	v_add_co_u32 v11, vcc_lo, v11, v9
	v_add_co_ci_u32_e32 v12, vcc_lo, v12, v10, vcc_lo
	v_not_b32_e32 v9, v9
	v_not_b32_e32 v10, v10
	v_sub_co_ci_u32_e64 v14, null, s15, 0, s2
	s_delay_alu instid0(VALU_DEP_4) | instskip(SKIP_4) | instid1(VALU_DEP_2)
	v_cmp_gt_i64_e32 vcc_lo, v[11:12], v[5:6]
	s_mov_b32 s2, exec_lo
	v_dual_cndmask_b32 v12, v6, v12 :: v_dual_cndmask_b32 v11, v5, v11
	v_add_co_u32 v9, vcc_lo, v13, v9
	v_add_co_ci_u32_e32 v10, vcc_lo, v14, v10, vcc_lo
	v_add_co_u32 v9, vcc_lo, v9, v11
	s_delay_alu instid0(VALU_DEP_2) | instskip(NEXT) | instid1(VALU_DEP_2)
	v_add_co_ci_u32_e32 v10, vcc_lo, v10, v12, vcc_lo
	v_lshrrev_b32_e32 v11, 4, v9
	s_delay_alu instid0(VALU_DEP_1) | instskip(NEXT) | instid1(VALU_DEP_1)
	v_add_nc_u32_e32 v11, 1, v11
	v_and_b32_e32 v11, 3, v11
	s_delay_alu instid0(VALU_DEP_1)
	v_cmpx_ne_u32_e32 0, v11
	s_cbranch_execz .LBB102_33
; %bb.30:
	v_lshlrev_b64 v[13:14], 3, v[0:1]
	v_dual_mov_b32 v12, 0 :: v_dual_lshlrev_b32 v11, 2, v11
	s_mov_b32 s6, 0
	s_delay_alu instid0(VALU_DEP_1) | instskip(NEXT) | instid1(VALU_DEP_3)
	v_mov_b32_e32 v21, v12
	v_add_co_u32 v13, vcc_lo, s8, v13
	s_delay_alu instid0(VALU_DEP_4)
	v_add_co_ci_u32_e32 v14, vcc_lo, s9, v14, vcc_lo
	v_mov_b32_e32 v23, v12
	v_mov_b32_e32 v24, v12
	;; [unrolled: 1-line block ×3, first 2 shown]
.LBB102_31:                             ; =>This Inner Loop Header: Depth=1
	global_load_b64 v[19:20], v[13:14], off
	global_load_b128 v[15:18], v[7:8], off
	s_waitcnt vmcnt(1)
	v_sub_co_u32 v19, vcc_lo, v19, s20
	v_subrev_co_ci_u32_e32 v20, vcc_lo, s15, v20, vcc_lo
	s_delay_alu instid0(VALU_DEP_1) | instskip(SKIP_1) | instid1(VALU_DEP_1)
	v_lshlrev_b64 v[19:20], 3, v[19:20]
	s_waitcnt lgkmcnt(0)
	v_add_co_u32 v19, vcc_lo, s4, v19
	s_delay_alu instid0(VALU_DEP_2)
	v_add_co_ci_u32_e32 v20, vcc_lo, s5, v20, vcc_lo
	global_load_b64 v[19:20], v[19:20], off
	global_load_b128 v[25:28], v[7:8], off offset:16
	v_add_co_u32 v7, vcc_lo, 0x200, v7
	v_add_co_ci_u32_e32 v8, vcc_lo, 0, v8, vcc_lo
	v_add_co_u32 v0, vcc_lo, v0, 16
	v_add_co_ci_u32_e32 v1, vcc_lo, 0, v1, vcc_lo
	;; [unrolled: 2-line block ×3, first 2 shown]
	v_add_co_u32 v11, vcc_lo, v11, -4
	v_add_co_ci_u32_e32 v12, vcc_lo, -1, v12, vcc_lo
	s_delay_alu instid0(VALU_DEP_1)
	v_cmp_eq_u64_e32 vcc_lo, 0, v[11:12]
	s_or_b32 s6, vcc_lo, s6
	s_waitcnt vmcnt(1)
	v_fma_mix_f32 v22, v15, v19, v22 op_sel_hi:[1,1,0]
	v_fma_mix_f32 v15, v15, v19, v24 op_sel:[1,0,0] op_sel_hi:[1,1,0]
	v_fma_mix_f32 v23, v16, v19, v23 op_sel_hi:[1,1,0]
	v_fma_mix_f32 v16, v16, v19, v21 op_sel:[1,0,0] op_sel_hi:[1,1,0]
	s_delay_alu instid0(VALU_DEP_4) | instskip(NEXT) | instid1(VALU_DEP_4)
	v_fma_mix_f32 v21, v17, v19, v22 op_sel:[0,1,0] op_sel_hi:[1,1,0]
	v_fma_mix_f32 v15, v17, v19, v15 op_sel:[1,1,0] op_sel_hi:[1,1,0]
	s_delay_alu instid0(VALU_DEP_4) | instskip(NEXT) | instid1(VALU_DEP_4)
	v_fma_mix_f32 v17, v18, v19, v23 op_sel:[0,1,0] op_sel_hi:[1,1,0]
	v_fma_mix_f32 v16, v18, v19, v16 op_sel:[1,1,0] op_sel_hi:[1,1,0]
	s_waitcnt vmcnt(0)
	v_fma_mix_f32 v18, v25, v20, v21 op_sel_hi:[1,1,0]
	v_fma_mix_f32 v15, v25, v20, v15 op_sel:[1,0,0] op_sel_hi:[1,1,0]
	v_fma_mix_f32 v17, v26, v20, v17 op_sel_hi:[1,1,0]
	v_fma_mix_f32 v16, v26, v20, v16 op_sel:[1,0,0] op_sel_hi:[1,1,0]
	s_delay_alu instid0(VALU_DEP_4) | instskip(NEXT) | instid1(VALU_DEP_4)
	v_fma_mix_f32 v22, v27, v20, v18 op_sel:[0,1,0] op_sel_hi:[1,1,0]
	v_fma_mix_f32 v24, v27, v20, v15 op_sel:[1,1,0] op_sel_hi:[1,1,0]
	s_delay_alu instid0(VALU_DEP_4) | instskip(NEXT) | instid1(VALU_DEP_4)
	v_fma_mix_f32 v23, v28, v20, v17 op_sel:[0,1,0] op_sel_hi:[1,1,0]
	v_fma_mix_f32 v21, v28, v20, v16 op_sel:[1,1,0] op_sel_hi:[1,1,0]
	s_and_not1_b32 exec_lo, exec_lo, s6
	s_cbranch_execnz .LBB102_31
; %bb.32:
	s_or_b32 exec_lo, exec_lo, s6
.LBB102_33:
	s_delay_alu instid0(SALU_CYCLE_1) | instskip(NEXT) | instid1(SALU_CYCLE_1)
	s_or_b32 exec_lo, exec_lo, s2
	s_mov_b32 s6, exec_lo
	v_cmpx_lt_u64_e32 47, v[9:10]
	s_cbranch_execz .LBB102_37
; %bb.34:
	v_lshlrev_b64 v[9:10], 3, v[0:1]
	s_mov_b32 s7, 0
	s_delay_alu instid0(VALU_DEP_1) | instskip(NEXT) | instid1(VALU_DEP_2)
	v_add_co_u32 v9, vcc_lo, v9, s8
	v_add_co_ci_u32_e32 v10, vcc_lo, s9, v10, vcc_lo
	s_delay_alu instid0(VALU_DEP_2) | instskip(NEXT) | instid1(VALU_DEP_2)
	v_add_co_u32 v9, vcc_lo, 0x100, v9
	v_add_co_ci_u32_e32 v10, vcc_lo, 0, v10, vcc_lo
.LBB102_35:                             ; =>This Inner Loop Header: Depth=1
	s_clause 0x3
	global_load_b64 v[19:20], v[9:10], off offset:-256
	global_load_b64 v[45:46], v[9:10], off offset:-128
	global_load_b64 v[47:48], v[9:10], off
	global_load_b64 v[49:50], v[9:10], off offset:128
	s_clause 0x6
	global_load_b128 v[11:14], v[7:8], off
	global_load_b128 v[15:18], v[7:8], off offset:16
	global_load_b128 v[25:28], v[7:8], off offset:512
	;; [unrolled: 1-line block ×6, first 2 shown]
	s_waitcnt vmcnt(10)
	v_sub_co_u32 v19, vcc_lo, v19, s20
	v_subrev_co_ci_u32_e32 v20, vcc_lo, s15, v20, vcc_lo
	s_waitcnt vmcnt(9)
	v_sub_co_u32 v45, vcc_lo, v45, s20
	v_subrev_co_ci_u32_e32 v46, vcc_lo, s15, v46, vcc_lo
	s_delay_alu instid0(VALU_DEP_3) | instskip(SKIP_2) | instid1(VALU_DEP_3)
	v_lshlrev_b64 v[19:20], 3, v[19:20]
	s_waitcnt vmcnt(8)
	v_sub_co_u32 v47, vcc_lo, v47, s20
	v_lshlrev_b64 v[45:46], 3, v[45:46]
	v_subrev_co_ci_u32_e32 v48, vcc_lo, s15, v48, vcc_lo
	s_waitcnt lgkmcnt(0)
	v_add_co_u32 v19, s2, s4, v19
	s_delay_alu instid0(VALU_DEP_1) | instskip(NEXT) | instid1(VALU_DEP_4)
	v_add_co_ci_u32_e64 v20, s2, s5, v20, s2
	v_add_co_u32 v45, vcc_lo, s4, v45
	v_add_co_ci_u32_e32 v46, vcc_lo, s5, v46, vcc_lo
	s_clause 0x1
	global_load_b64 v[19:20], v[19:20], off
	global_load_b64 v[51:52], v[45:46], off
	v_lshlrev_b64 v[46:47], 3, v[47:48]
	s_waitcnt vmcnt(9)
	v_sub_co_u32 v45, vcc_lo, v49, s20
	s_delay_alu instid0(VALU_DEP_2) | instskip(NEXT) | instid1(VALU_DEP_1)
	v_add_co_u32 v46, s2, s4, v46
	v_add_co_ci_u32_e64 v47, s2, s5, v47, s2
	global_load_b64 v[53:54], v[46:47], off
	v_subrev_co_ci_u32_e32 v46, vcc_lo, s15, v50, vcc_lo
	s_delay_alu instid0(VALU_DEP_1) | instskip(NEXT) | instid1(VALU_DEP_1)
	v_lshlrev_b64 v[45:46], 3, v[45:46]
	v_add_co_u32 v45, vcc_lo, s4, v45
	s_delay_alu instid0(VALU_DEP_2)
	v_add_co_ci_u32_e32 v46, vcc_lo, s5, v46, vcc_lo
	global_load_b64 v[49:50], v[45:46], off
	global_load_b128 v[45:48], v[7:8], off offset:1552
	v_add_co_u32 v7, vcc_lo, 0x800, v7
	v_add_co_ci_u32_e32 v8, vcc_lo, 0, v8, vcc_lo
	v_add_co_u32 v0, vcc_lo, v0, 64
	v_add_co_ci_u32_e32 v1, vcc_lo, 0, v1, vcc_lo
	v_add_co_u32 v9, vcc_lo, 0x200, v9
	v_add_co_ci_u32_e32 v10, vcc_lo, 0, v10, vcc_lo
	s_delay_alu instid0(VALU_DEP_3)
	v_cmp_ge_i64_e32 vcc_lo, v[0:1], v[5:6]
	s_or_b32 s7, vcc_lo, s7
	s_waitcnt vmcnt(4)
	v_fma_mix_f32 v22, v11, v19, v22 op_sel_hi:[1,1,0]
	v_fma_mix_f32 v11, v11, v19, v24 op_sel:[1,0,0] op_sel_hi:[1,1,0]
	v_fma_mix_f32 v23, v12, v19, v23 op_sel_hi:[1,1,0]
	v_fma_mix_f32 v12, v12, v19, v21 op_sel:[1,0,0] op_sel_hi:[1,1,0]
	s_delay_alu instid0(VALU_DEP_4) | instskip(NEXT) | instid1(VALU_DEP_4)
	v_fma_mix_f32 v21, v13, v19, v22 op_sel:[0,1,0] op_sel_hi:[1,1,0]
	v_fma_mix_f32 v11, v13, v19, v11 op_sel:[1,1,0] op_sel_hi:[1,1,0]
	s_delay_alu instid0(VALU_DEP_4) | instskip(NEXT) | instid1(VALU_DEP_4)
	v_fma_mix_f32 v13, v14, v19, v23 op_sel:[0,1,0] op_sel_hi:[1,1,0]
	v_fma_mix_f32 v12, v14, v19, v12 op_sel:[1,1,0] op_sel_hi:[1,1,0]
	s_delay_alu instid0(VALU_DEP_4) | instskip(NEXT) | instid1(VALU_DEP_4)
	v_fma_mix_f32 v14, v15, v20, v21 op_sel_hi:[1,1,0]
	v_fma_mix_f32 v11, v15, v20, v11 op_sel:[1,0,0] op_sel_hi:[1,1,0]
	s_delay_alu instid0(VALU_DEP_4) | instskip(NEXT) | instid1(VALU_DEP_4)
	v_fma_mix_f32 v13, v16, v20, v13 op_sel_hi:[1,1,0]
	v_fma_mix_f32 v12, v16, v20, v12 op_sel:[1,0,0] op_sel_hi:[1,1,0]
	s_delay_alu instid0(VALU_DEP_4) | instskip(NEXT) | instid1(VALU_DEP_4)
	v_fma_mix_f32 v14, v17, v20, v14 op_sel:[0,1,0] op_sel_hi:[1,1,0]
	v_fma_mix_f32 v11, v17, v20, v11 op_sel:[1,1,0] op_sel_hi:[1,1,0]
	s_delay_alu instid0(VALU_DEP_4) | instskip(NEXT) | instid1(VALU_DEP_4)
	v_fma_mix_f32 v13, v18, v20, v13 op_sel:[0,1,0] op_sel_hi:[1,1,0]
	v_fma_mix_f32 v12, v18, v20, v12 op_sel:[1,1,0] op_sel_hi:[1,1,0]
	s_waitcnt vmcnt(3)
	v_fma_mix_f32 v14, v25, v51, v14 op_sel_hi:[1,1,0]
	v_fma_mix_f32 v11, v25, v51, v11 op_sel:[1,0,0] op_sel_hi:[1,1,0]
	v_fma_mix_f32 v13, v26, v51, v13 op_sel_hi:[1,1,0]
	v_fma_mix_f32 v12, v26, v51, v12 op_sel:[1,0,0] op_sel_hi:[1,1,0]
	s_delay_alu instid0(VALU_DEP_4) | instskip(NEXT) | instid1(VALU_DEP_4)
	v_fma_mix_f32 v14, v27, v51, v14 op_sel:[0,1,0] op_sel_hi:[1,1,0]
	v_fma_mix_f32 v11, v27, v51, v11 op_sel:[1,1,0] op_sel_hi:[1,1,0]
	s_delay_alu instid0(VALU_DEP_4) | instskip(NEXT) | instid1(VALU_DEP_4)
	v_fma_mix_f32 v13, v28, v51, v13 op_sel:[0,1,0] op_sel_hi:[1,1,0]
	v_fma_mix_f32 v12, v28, v51, v12 op_sel:[1,1,0] op_sel_hi:[1,1,0]
	s_delay_alu instid0(VALU_DEP_4) | instskip(NEXT) | instid1(VALU_DEP_4)
	v_fma_mix_f32 v14, v29, v52, v14 op_sel_hi:[1,1,0]
	v_fma_mix_f32 v11, v29, v52, v11 op_sel:[1,0,0] op_sel_hi:[1,1,0]
	s_delay_alu instid0(VALU_DEP_4) | instskip(NEXT) | instid1(VALU_DEP_4)
	v_fma_mix_f32 v13, v30, v52, v13 op_sel_hi:[1,1,0]
	v_fma_mix_f32 v12, v30, v52, v12 op_sel:[1,0,0] op_sel_hi:[1,1,0]
	s_delay_alu instid0(VALU_DEP_4) | instskip(NEXT) | instid1(VALU_DEP_4)
	v_fma_mix_f32 v14, v31, v52, v14 op_sel:[0,1,0] op_sel_hi:[1,1,0]
	v_fma_mix_f32 v11, v31, v52, v11 op_sel:[1,1,0] op_sel_hi:[1,1,0]
	s_delay_alu instid0(VALU_DEP_4) | instskip(NEXT) | instid1(VALU_DEP_4)
	v_fma_mix_f32 v13, v32, v52, v13 op_sel:[0,1,0] op_sel_hi:[1,1,0]
	v_fma_mix_f32 v12, v32, v52, v12 op_sel:[1,1,0] op_sel_hi:[1,1,0]
	;; [unrolled: 23-line block ×3, first 2 shown]
	s_waitcnt vmcnt(1)
	v_fma_mix_f32 v14, v41, v49, v14 op_sel_hi:[1,1,0]
	v_fma_mix_f32 v11, v41, v49, v11 op_sel:[1,0,0] op_sel_hi:[1,1,0]
	v_fma_mix_f32 v13, v42, v49, v13 op_sel_hi:[1,1,0]
	v_fma_mix_f32 v12, v42, v49, v12 op_sel:[1,0,0] op_sel_hi:[1,1,0]
	s_delay_alu instid0(VALU_DEP_4) | instskip(NEXT) | instid1(VALU_DEP_4)
	v_fma_mix_f32 v14, v43, v49, v14 op_sel:[0,1,0] op_sel_hi:[1,1,0]
	v_fma_mix_f32 v11, v43, v49, v11 op_sel:[1,1,0] op_sel_hi:[1,1,0]
	s_delay_alu instid0(VALU_DEP_4) | instskip(NEXT) | instid1(VALU_DEP_4)
	v_fma_mix_f32 v13, v44, v49, v13 op_sel:[0,1,0] op_sel_hi:[1,1,0]
	v_fma_mix_f32 v12, v44, v49, v12 op_sel:[1,1,0] op_sel_hi:[1,1,0]
	s_waitcnt vmcnt(0)
	v_fma_mix_f32 v14, v45, v50, v14 op_sel_hi:[1,1,0]
	v_fma_mix_f32 v11, v45, v50, v11 op_sel:[1,0,0] op_sel_hi:[1,1,0]
	v_fma_mix_f32 v13, v46, v50, v13 op_sel_hi:[1,1,0]
	v_fma_mix_f32 v12, v46, v50, v12 op_sel:[1,0,0] op_sel_hi:[1,1,0]
	s_delay_alu instid0(VALU_DEP_4) | instskip(NEXT) | instid1(VALU_DEP_4)
	v_fma_mix_f32 v22, v47, v50, v14 op_sel:[0,1,0] op_sel_hi:[1,1,0]
	v_fma_mix_f32 v24, v47, v50, v11 op_sel:[1,1,0] op_sel_hi:[1,1,0]
	s_delay_alu instid0(VALU_DEP_4) | instskip(NEXT) | instid1(VALU_DEP_4)
	v_fma_mix_f32 v23, v48, v50, v13 op_sel:[0,1,0] op_sel_hi:[1,1,0]
	v_fma_mix_f32 v21, v48, v50, v12 op_sel:[1,1,0] op_sel_hi:[1,1,0]
	s_and_not1_b32 exec_lo, exec_lo, s7
	s_cbranch_execnz .LBB102_35
; %bb.36:
	s_or_b32 exec_lo, exec_lo, s7
.LBB102_37:
	s_delay_alu instid0(SALU_CYCLE_1)
	s_or_b32 exec_lo, exec_lo, s6
.LBB102_38:
	s_delay_alu instid0(SALU_CYCLE_1)
	s_or_b32 exec_lo, exec_lo, s3
.LBB102_39:
	v_mbcnt_lo_u32_b32 v0, -1, 0
	s_mov_b32 s2, -1
	s_delay_alu instid0(VALU_DEP_1) | instskip(SKIP_2) | instid1(VALU_DEP_3)
	v_xor_b32_e32 v1, 8, v0
	v_xor_b32_e32 v8, 4, v0
	;; [unrolled: 1-line block ×3, first 2 shown]
	v_cmp_gt_i32_e32 vcc_lo, 32, v1
	v_cndmask_b32_e32 v1, v0, v1, vcc_lo
	s_delay_alu instid0(VALU_DEP_4) | instskip(SKIP_2) | instid1(VALU_DEP_2)
	v_cmp_gt_i32_e32 vcc_lo, 32, v8
	v_cndmask_b32_e32 v8, v0, v8, vcc_lo
	v_cmp_gt_i32_e32 vcc_lo, 32, v12
	v_lshlrev_b32_e32 v8, 2, v8
	v_dual_cndmask_b32 v12, v0, v12 :: v_dual_lshlrev_b32 v1, 2, v1
	ds_bpermute_b32 v6, v1, v24
	v_lshlrev_b32_e32 v12, 2, v12
	s_waitcnt lgkmcnt(0)
	v_add_f32_e32 v6, v24, v6
	ds_bpermute_b32 v5, v1, v22
	ds_bpermute_b32 v7, v1, v23
	;; [unrolled: 1-line block ×4, first 2 shown]
	s_waitcnt lgkmcnt(3)
	v_add_f32_e32 v5, v22, v5
	s_waitcnt lgkmcnt(2)
	v_add_f32_e32 v7, v23, v7
	s_waitcnt lgkmcnt(0)
	v_dual_add_f32 v1, v21, v1 :: v_dual_add_f32 v6, v6, v10
	ds_bpermute_b32 v9, v8, v5
	ds_bpermute_b32 v11, v8, v7
	;; [unrolled: 1-line block ×3, first 2 shown]
	s_waitcnt lgkmcnt(2)
	v_add_f32_e32 v5, v5, v9
	s_waitcnt lgkmcnt(0)
	v_dual_add_f32 v7, v7, v11 :: v_dual_add_f32 v8, v1, v8
	ds_bpermute_b32 v9, v12, v6
	ds_bpermute_b32 v1, v12, v5
	;; [unrolled: 1-line block ×4, first 2 shown]
	v_xor_b32_e32 v12, 1, v0
	s_delay_alu instid0(VALU_DEP_1) | instskip(SKIP_2) | instid1(VALU_DEP_2)
	v_cmp_gt_i32_e32 vcc_lo, 32, v12
	v_cndmask_b32_e32 v0, v0, v12, vcc_lo
	v_cmp_eq_u32_e32 vcc_lo, 15, v2
	v_lshlrev_b32_e32 v12, 2, v0
	s_waitcnt lgkmcnt(1)
	v_dual_add_f32 v0, v5, v1 :: v_dual_add_f32 v5, v7, v10
	s_waitcnt lgkmcnt(0)
	v_dual_add_f32 v1, v6, v9 :: v_dual_add_f32 v6, v8, v11
	ds_bpermute_b32 v7, v12, v0
	ds_bpermute_b32 v9, v12, v5
	;; [unrolled: 1-line block ×4, first 2 shown]
	s_and_b32 exec_lo, exec_lo, vcc_lo
	s_cbranch_execz .LBB102_10
; %bb.40:
	s_load_b64 s[0:1], s[0:1], 0x58
	s_waitcnt lgkmcnt(0)
	v_dual_add_f32 v0, v0, v7 :: v_dual_add_f32 v1, v1, v8
	v_add_f32_e32 v6, v6, v10
	v_cmp_eq_f32_e64 s3, s12, 0
	s_delay_alu instid0(VALU_DEP_3) | instskip(SKIP_4) | instid1(VALU_DEP_3)
	v_dual_mul_f32 v0, s16, v0 :: v_dual_mul_f32 v1, s16, v1
	v_add_f32_e32 v2, v5, v9
	v_lshlrev_b64 v[4:5], 4, v[3:4]
	v_mul_f32_e32 v3, s16, v6
	s_and_b32 vcc_lo, exec_lo, s3
	v_mul_f32_e32 v2, s16, v2
	s_cbranch_vccz .LBB102_42
; %bb.41:
	s_delay_alu instid0(VALU_DEP_3)
	v_add_co_u32 v6, vcc_lo, s0, v4
	v_add_co_ci_u32_e32 v7, vcc_lo, s1, v5, vcc_lo
	s_mov_b32 s2, 0
	global_store_b128 v[6:7], v[0:3], off
.LBB102_42:
	s_and_not1_b32 vcc_lo, exec_lo, s2
	s_cbranch_vccnz .LBB102_10
; %bb.43:
	v_add_co_u32 v8, vcc_lo, s0, v4
	v_add_co_ci_u32_e32 v9, vcc_lo, s1, v5, vcc_lo
	global_load_b128 v[4:7], v[8:9], off
	s_waitcnt vmcnt(0)
	v_dual_fmac_f32 v0, s12, v4 :: v_dual_fmac_f32 v1, s12, v5
	v_dual_fmac_f32 v2, s12, v6 :: v_dual_fmac_f32 v3, s12, v7
	global_store_b128 v[8:9], v[0:3], off
	s_nop 0
	s_sendmsg sendmsg(MSG_DEALLOC_VGPRS)
	s_endpgm
	.section	.rodata,"a",@progbits
	.p2align	6, 0x0
	.amdhsa_kernel _ZN9rocsparseL18bsrxmvn_4x4_kernelILj128ELj16EfllDF16_DF16_fEEvT3_20rocsparse_direction_NS_24const_host_device_scalarIT1_EES1_PKS1_PKT2_SA_S7_PKT4_PKT5_S5_PT6_21rocsparse_index_base_b
		.amdhsa_group_segment_fixed_size 0
		.amdhsa_private_segment_fixed_size 0
		.amdhsa_kernarg_size 104
		.amdhsa_user_sgpr_count 15
		.amdhsa_user_sgpr_dispatch_ptr 0
		.amdhsa_user_sgpr_queue_ptr 0
		.amdhsa_user_sgpr_kernarg_segment_ptr 1
		.amdhsa_user_sgpr_dispatch_id 0
		.amdhsa_user_sgpr_private_segment_size 0
		.amdhsa_wavefront_size32 1
		.amdhsa_uses_dynamic_stack 0
		.amdhsa_enable_private_segment 0
		.amdhsa_system_sgpr_workgroup_id_x 1
		.amdhsa_system_sgpr_workgroup_id_y 0
		.amdhsa_system_sgpr_workgroup_id_z 0
		.amdhsa_system_sgpr_workgroup_info 0
		.amdhsa_system_vgpr_workitem_id 0
		.amdhsa_next_free_vgpr 61
		.amdhsa_next_free_sgpr 22
		.amdhsa_reserve_vcc 1
		.amdhsa_float_round_mode_32 0
		.amdhsa_float_round_mode_16_64 0
		.amdhsa_float_denorm_mode_32 3
		.amdhsa_float_denorm_mode_16_64 3
		.amdhsa_dx10_clamp 1
		.amdhsa_ieee_mode 1
		.amdhsa_fp16_overflow 0
		.amdhsa_workgroup_processor_mode 1
		.amdhsa_memory_ordered 1
		.amdhsa_forward_progress 0
		.amdhsa_shared_vgpr_count 0
		.amdhsa_exception_fp_ieee_invalid_op 0
		.amdhsa_exception_fp_denorm_src 0
		.amdhsa_exception_fp_ieee_div_zero 0
		.amdhsa_exception_fp_ieee_overflow 0
		.amdhsa_exception_fp_ieee_underflow 0
		.amdhsa_exception_fp_ieee_inexact 0
		.amdhsa_exception_int_div_zero 0
	.end_amdhsa_kernel
	.section	.text._ZN9rocsparseL18bsrxmvn_4x4_kernelILj128ELj16EfllDF16_DF16_fEEvT3_20rocsparse_direction_NS_24const_host_device_scalarIT1_EES1_PKS1_PKT2_SA_S7_PKT4_PKT5_S5_PT6_21rocsparse_index_base_b,"axG",@progbits,_ZN9rocsparseL18bsrxmvn_4x4_kernelILj128ELj16EfllDF16_DF16_fEEvT3_20rocsparse_direction_NS_24const_host_device_scalarIT1_EES1_PKS1_PKT2_SA_S7_PKT4_PKT5_S5_PT6_21rocsparse_index_base_b,comdat
.Lfunc_end102:
	.size	_ZN9rocsparseL18bsrxmvn_4x4_kernelILj128ELj16EfllDF16_DF16_fEEvT3_20rocsparse_direction_NS_24const_host_device_scalarIT1_EES1_PKS1_PKT2_SA_S7_PKT4_PKT5_S5_PT6_21rocsparse_index_base_b, .Lfunc_end102-_ZN9rocsparseL18bsrxmvn_4x4_kernelILj128ELj16EfllDF16_DF16_fEEvT3_20rocsparse_direction_NS_24const_host_device_scalarIT1_EES1_PKS1_PKT2_SA_S7_PKT4_PKT5_S5_PT6_21rocsparse_index_base_b
                                        ; -- End function
	.section	.AMDGPU.csdata,"",@progbits
; Kernel info:
; codeLenInByte = 4328
; NumSgprs: 24
; NumVgprs: 61
; ScratchSize: 0
; MemoryBound: 0
; FloatMode: 240
; IeeeMode: 1
; LDSByteSize: 0 bytes/workgroup (compile time only)
; SGPRBlocks: 2
; VGPRBlocks: 7
; NumSGPRsForWavesPerEU: 24
; NumVGPRsForWavesPerEU: 61
; Occupancy: 16
; WaveLimiterHint : 1
; COMPUTE_PGM_RSRC2:SCRATCH_EN: 0
; COMPUTE_PGM_RSRC2:USER_SGPR: 15
; COMPUTE_PGM_RSRC2:TRAP_HANDLER: 0
; COMPUTE_PGM_RSRC2:TGID_X_EN: 1
; COMPUTE_PGM_RSRC2:TGID_Y_EN: 0
; COMPUTE_PGM_RSRC2:TGID_Z_EN: 0
; COMPUTE_PGM_RSRC2:TIDIG_COMP_CNT: 0
	.section	.text._ZN9rocsparseL18bsrxmvn_4x4_kernelILj128ELj32EfllDF16_DF16_fEEvT3_20rocsparse_direction_NS_24const_host_device_scalarIT1_EES1_PKS1_PKT2_SA_S7_PKT4_PKT5_S5_PT6_21rocsparse_index_base_b,"axG",@progbits,_ZN9rocsparseL18bsrxmvn_4x4_kernelILj128ELj32EfllDF16_DF16_fEEvT3_20rocsparse_direction_NS_24const_host_device_scalarIT1_EES1_PKS1_PKT2_SA_S7_PKT4_PKT5_S5_PT6_21rocsparse_index_base_b,comdat
	.globl	_ZN9rocsparseL18bsrxmvn_4x4_kernelILj128ELj32EfllDF16_DF16_fEEvT3_20rocsparse_direction_NS_24const_host_device_scalarIT1_EES1_PKS1_PKT2_SA_S7_PKT4_PKT5_S5_PT6_21rocsparse_index_base_b ; -- Begin function _ZN9rocsparseL18bsrxmvn_4x4_kernelILj128ELj32EfllDF16_DF16_fEEvT3_20rocsparse_direction_NS_24const_host_device_scalarIT1_EES1_PKS1_PKT2_SA_S7_PKT4_PKT5_S5_PT6_21rocsparse_index_base_b
	.p2align	8
	.type	_ZN9rocsparseL18bsrxmvn_4x4_kernelILj128ELj32EfllDF16_DF16_fEEvT3_20rocsparse_direction_NS_24const_host_device_scalarIT1_EES1_PKS1_PKT2_SA_S7_PKT4_PKT5_S5_PT6_21rocsparse_index_base_b,@function
_ZN9rocsparseL18bsrxmvn_4x4_kernelILj128ELj32EfllDF16_DF16_fEEvT3_20rocsparse_direction_NS_24const_host_device_scalarIT1_EES1_PKS1_PKT2_SA_S7_PKT4_PKT5_S5_PT6_21rocsparse_index_base_b: ; @_ZN9rocsparseL18bsrxmvn_4x4_kernelILj128ELj32EfllDF16_DF16_fEEvT3_20rocsparse_direction_NS_24const_host_device_scalarIT1_EES1_PKS1_PKT2_SA_S7_PKT4_PKT5_S5_PT6_21rocsparse_index_base_b
; %bb.0:
	s_clause 0x2
	s_load_b64 s[20:21], s[0:1], 0x60
	s_load_b128 s[16:19], s[0:1], 0x10
	s_load_b64 s[12:13], s[0:1], 0x50
	s_waitcnt lgkmcnt(0)
	s_bitcmp1_b32 s21, 0
	s_cselect_b32 s2, -1, 0
	s_delay_alu instid0(SALU_CYCLE_1)
	s_and_b32 vcc_lo, exec_lo, s2
	s_xor_b32 s2, s2, -1
	s_cbranch_vccnz .LBB103_2
; %bb.1:
	s_load_b32 s16, s[16:17], 0x0
.LBB103_2:
	s_and_not1_b32 vcc_lo, exec_lo, s2
	s_cbranch_vccnz .LBB103_4
; %bb.3:
	s_load_b32 s12, s[12:13], 0x0
.LBB103_4:
	s_waitcnt lgkmcnt(0)
	v_cmp_neq_f32_e64 s2, s16, 0
	v_cmp_neq_f32_e64 s3, s12, 1.0
	s_mov_b32 s4, 0
	s_delay_alu instid0(VALU_DEP_1) | instskip(NEXT) | instid1(SALU_CYCLE_1)
	s_or_b32 s2, s2, s3
	s_and_not1_b32 vcc_lo, exec_lo, s2
	s_cbranch_vccnz .LBB103_10
; %bb.5:
	s_load_b64 s[2:3], s[0:1], 0x20
	v_lshrrev_b32_e32 v1, 5, v0
	v_mov_b32_e32 v2, 0
	s_delay_alu instid0(VALU_DEP_2)
	v_lshl_or_b32 v1, s15, 2, v1
	s_waitcnt lgkmcnt(0)
	s_cmp_lg_u64 s[2:3], 0
	s_cbranch_scc0 .LBB103_11
; %bb.6:
	s_mov_b32 s5, 0
	s_mov_b32 s6, exec_lo
                                        ; implicit-def: $vgpr3_vgpr4
	v_cmpx_gt_i64_e64 s[18:19], v[1:2]
	s_xor_b32 s6, exec_lo, s6
                                        ; implicit-def: $sgpr14_sgpr15
	s_cbranch_execz .LBB103_8
; %bb.7:
	v_lshlrev_b64 v[3:4], 3, v[1:2]
	s_mov_b32 s4, exec_lo
	s_mov_b32 s15, 0
	s_delay_alu instid0(VALU_DEP_1) | instskip(NEXT) | instid1(VALU_DEP_2)
	v_add_co_u32 v3, vcc_lo, s2, v3
	v_add_co_ci_u32_e32 v4, vcc_lo, s3, v4, vcc_lo
	global_load_b64 v[3:4], v[3:4], off
	s_waitcnt vmcnt(0)
	v_sub_co_u32 v3, vcc_lo, v3, s20
	v_subrev_co_ci_u32_e32 v4, vcc_lo, 0, v4, vcc_lo
.LBB103_8:
	s_or_b32 exec_lo, exec_lo, s6
	s_delay_alu instid0(SALU_CYCLE_1)
	s_and_b32 vcc_lo, exec_lo, s5
	s_cbranch_vccnz .LBB103_12
.LBB103_9:
	s_and_saveexec_b32 s2, s4
	s_cbranch_execnz .LBB103_15
.LBB103_10:
	s_nop 0
	s_sendmsg sendmsg(MSG_DEALLOC_VGPRS)
	s_endpgm
.LBB103_11:
                                        ; implicit-def: $vgpr3_vgpr4
                                        ; implicit-def: $sgpr14_sgpr15
	s_cbranch_execz .LBB103_9
.LBB103_12:
	s_load_b64 s[2:3], s[0:1], 0x0
                                        ; implicit-def: $vgpr3_vgpr4
	s_waitcnt lgkmcnt(0)
	v_cmp_gt_i64_e32 vcc_lo, s[2:3], v[1:2]
	s_and_saveexec_b32 s2, vcc_lo
                                        ; implicit-def: $sgpr14_sgpr15
; %bb.13:
	v_dual_mov_b32 v4, v2 :: v_dual_mov_b32 v3, v1
	s_mov_b32 s15, 0
	s_or_b32 s4, s4, exec_lo
; %bb.14:
	s_or_b32 exec_lo, exec_lo, s2
	s_and_saveexec_b32 s2, s4
	s_cbranch_execz .LBB103_10
.LBB103_15:
	s_load_b256 s[4:11], s[0:1], 0x28
	v_lshlrev_b64 v[1:2], 3, v[3:4]
	s_load_b32 s3, s[0:1], 0x8
	v_mov_b32_e32 v21, 0
	s_waitcnt lgkmcnt(0)
	s_delay_alu instid0(VALU_DEP_2) | instskip(NEXT) | instid1(VALU_DEP_3)
	v_add_co_u32 v5, vcc_lo, s4, v1
	v_add_co_ci_u32_e32 v6, vcc_lo, s5, v2, vcc_lo
	v_add_co_u32 v1, vcc_lo, s6, v1
	v_add_co_ci_u32_e32 v2, vcc_lo, s7, v2, vcc_lo
	s_delay_alu instid0(VALU_DEP_4)
	v_add_co_u32 v7, vcc_lo, v5, 8
	global_load_b64 v[9:10], v[5:6], off
	v_add_co_ci_u32_e32 v8, vcc_lo, 0, v6, vcc_lo
	s_cmp_eq_u64 s[6:7], 0
	s_load_b64 s[4:5], s[0:1], 0x48
	s_cselect_b32 vcc_lo, -1, 0
	s_cmp_eq_u32 s3, 1
	v_dual_cndmask_b32 v2, v2, v8 :: v_dual_cndmask_b32 v1, v1, v7
	global_load_b64 v[5:6], v[1:2], off
	v_and_b32_e32 v2, 31, v0
	s_waitcnt vmcnt(1)
	v_sub_co_u32 v0, vcc_lo, v9, s20
	v_subrev_co_ci_u32_e32 v1, vcc_lo, s15, v10, vcc_lo
	s_delay_alu instid0(VALU_DEP_2) | instskip(NEXT) | instid1(VALU_DEP_2)
	v_add_co_u32 v0, vcc_lo, v0, v2
	v_add_co_ci_u32_e32 v1, vcc_lo, 0, v1, vcc_lo
	s_delay_alu instid0(VALU_DEP_1) | instskip(SKIP_3) | instid1(VALU_DEP_3)
	v_lshlrev_b64 v[7:8], 5, v[0:1]
	s_waitcnt vmcnt(0)
	v_sub_co_u32 v5, vcc_lo, v5, s20
	v_subrev_co_ci_u32_e32 v6, vcc_lo, s15, v6, vcc_lo
	v_add_co_u32 v7, vcc_lo, s10, v7
	s_delay_alu instid0(VALU_DEP_2)
	v_cmp_lt_i64_e64 s2, v[0:1], v[5:6]
	v_add_co_ci_u32_e32 v8, vcc_lo, s11, v8, vcc_lo
	s_cbranch_scc1 .LBB103_27
; %bb.16:
	v_dual_mov_b32 v23, 0 :: v_dual_mov_b32 v24, 0
	v_mov_b32_e32 v22, 0
	s_mov_b32 s6, 0
	s_and_saveexec_b32 s7, s2
	s_cbranch_execz .LBB103_26
; %bb.17:
	v_or_b32_e32 v11, 32, v2
	v_not_b32_e32 v14, v9
	v_not_b32_e32 v13, v10
	v_mov_b32_e32 v23, 0
	v_mov_b32_e32 v21, 0
	v_sub_co_u32 v11, s3, v11, s20
	s_delay_alu instid0(VALU_DEP_1) | instskip(SKIP_1) | instid1(VALU_DEP_3)
	v_sub_co_ci_u32_e64 v12, null, 0, s15, s3
	v_sub_co_u32 v15, s3, s20, v2
	v_add_co_u32 v11, vcc_lo, v11, v9
	s_delay_alu instid0(VALU_DEP_3) | instskip(SKIP_2) | instid1(VALU_DEP_2)
	v_add_co_ci_u32_e32 v12, vcc_lo, v12, v10, vcc_lo
	v_sub_co_ci_u32_e64 v16, null, s15, 0, s3
	s_mov_b32 s3, exec_lo
	v_cmp_gt_i64_e32 vcc_lo, v[11:12], v[5:6]
	v_mov_b32_e32 v22, 0
	v_mov_b32_e32 v24, 0
	v_dual_cndmask_b32 v12, v6, v12 :: v_dual_cndmask_b32 v11, v5, v11
	v_add_co_u32 v14, vcc_lo, v15, v14
	v_add_co_ci_u32_e32 v13, vcc_lo, v16, v13, vcc_lo
	s_delay_alu instid0(VALU_DEP_2) | instskip(NEXT) | instid1(VALU_DEP_2)
	v_add_co_u32 v15, vcc_lo, v14, v11
	v_add_co_ci_u32_e32 v16, vcc_lo, v13, v12, vcc_lo
	v_mov_b32_e32 v14, v8
	s_delay_alu instid0(VALU_DEP_3) | instskip(SKIP_1) | instid1(VALU_DEP_2)
	v_lshrrev_b32_e32 v11, 5, v15
	v_mov_b32_e32 v13, v7
	v_add_nc_u32_e32 v11, 1, v11
	s_delay_alu instid0(VALU_DEP_1) | instskip(SKIP_1) | instid1(VALU_DEP_2)
	v_dual_mov_b32 v12, v1 :: v_dual_and_b32 v17, 3, v11
	v_mov_b32_e32 v11, v0
	v_cmpx_ne_u32_e32 0, v17
	s_cbranch_execz .LBB103_21
; %bb.18:
	v_lshlrev_b64 v[11:12], 3, v[0:1]
	v_dual_mov_b32 v18, 0 :: v_dual_lshlrev_b32 v17, 2, v17
	v_dual_mov_b32 v14, v8 :: v_dual_mov_b32 v13, v7
	s_mov_b32 s10, 0
	s_delay_alu instid0(VALU_DEP_3) | instskip(NEXT) | instid1(VALU_DEP_4)
	v_add_co_u32 v19, vcc_lo, s8, v11
	v_add_co_ci_u32_e32 v20, vcc_lo, s9, v12, vcc_lo
	v_dual_mov_b32 v12, v1 :: v_dual_mov_b32 v11, v0
	v_mov_b32_e32 v21, v18
	v_mov_b32_e32 v23, v18
	v_mov_b32_e32 v24, v18
	v_mov_b32_e32 v22, v18
.LBB103_19:                             ; =>This Inner Loop Header: Depth=1
	global_load_b64 v[33:34], v[19:20], off
	s_clause 0x1
	global_load_b128 v[25:28], v[13:14], off
	global_load_b128 v[29:32], v[13:14], off offset:16
	s_waitcnt vmcnt(2)
	v_sub_co_u32 v33, vcc_lo, v33, s20
	v_subrev_co_ci_u32_e32 v34, vcc_lo, s15, v34, vcc_lo
	s_delay_alu instid0(VALU_DEP_1) | instskip(SKIP_1) | instid1(VALU_DEP_1)
	v_lshlrev_b64 v[33:34], 3, v[33:34]
	s_waitcnt lgkmcnt(0)
	v_add_co_u32 v33, vcc_lo, s4, v33
	s_delay_alu instid0(VALU_DEP_2)
	v_add_co_ci_u32_e32 v34, vcc_lo, s5, v34, vcc_lo
	v_add_co_u32 v13, vcc_lo, 0x400, v13
	v_add_co_ci_u32_e32 v14, vcc_lo, 0, v14, vcc_lo
	global_load_b64 v[33:34], v[33:34], off
	v_add_co_u32 v11, vcc_lo, v11, 32
	v_add_co_ci_u32_e32 v12, vcc_lo, 0, v12, vcc_lo
	v_add_co_u32 v19, vcc_lo, 0x100, v19
	v_add_co_ci_u32_e32 v20, vcc_lo, 0, v20, vcc_lo
	v_add_co_u32 v17, vcc_lo, v17, -4
	v_add_co_ci_u32_e32 v18, vcc_lo, -1, v18, vcc_lo
	s_delay_alu instid0(VALU_DEP_1)
	v_cmp_eq_u64_e32 vcc_lo, 0, v[17:18]
	s_or_b32 s10, vcc_lo, s10
	s_waitcnt vmcnt(0)
	v_fma_mix_f32 v22, v25, v33, v22 op_sel_hi:[1,1,0]
	v_fma_mix_f32 v24, v27, v33, v24 op_sel_hi:[1,1,0]
	;; [unrolled: 1-line block ×4, first 2 shown]
	s_delay_alu instid0(VALU_DEP_4) | instskip(NEXT) | instid1(VALU_DEP_4)
	v_fma_mix_f32 v22, v25, v33, v22 op_sel:[1,1,0] op_sel_hi:[1,1,0]
	v_fma_mix_f32 v24, v27, v33, v24 op_sel:[1,1,0] op_sel_hi:[1,1,0]
	s_delay_alu instid0(VALU_DEP_4) | instskip(NEXT) | instid1(VALU_DEP_4)
	v_fma_mix_f32 v23, v29, v33, v23 op_sel:[1,1,0] op_sel_hi:[1,1,0]
	v_fma_mix_f32 v21, v31, v33, v21 op_sel:[1,1,0] op_sel_hi:[1,1,0]
	s_delay_alu instid0(VALU_DEP_4) | instskip(NEXT) | instid1(VALU_DEP_4)
	v_fma_mix_f32 v22, v26, v34, v22 op_sel_hi:[1,1,0]
	v_fma_mix_f32 v24, v28, v34, v24 op_sel_hi:[1,1,0]
	s_delay_alu instid0(VALU_DEP_4) | instskip(NEXT) | instid1(VALU_DEP_4)
	v_fma_mix_f32 v23, v30, v34, v23 op_sel_hi:[1,1,0]
	v_fma_mix_f32 v21, v32, v34, v21 op_sel_hi:[1,1,0]
	s_delay_alu instid0(VALU_DEP_4) | instskip(NEXT) | instid1(VALU_DEP_4)
	v_fma_mix_f32 v22, v26, v34, v22 op_sel:[1,1,0] op_sel_hi:[1,1,0]
	v_fma_mix_f32 v24, v28, v34, v24 op_sel:[1,1,0] op_sel_hi:[1,1,0]
	s_delay_alu instid0(VALU_DEP_4) | instskip(NEXT) | instid1(VALU_DEP_4)
	v_fma_mix_f32 v23, v30, v34, v23 op_sel:[1,1,0] op_sel_hi:[1,1,0]
	v_fma_mix_f32 v21, v32, v34, v21 op_sel:[1,1,0] op_sel_hi:[1,1,0]
	s_and_not1_b32 exec_lo, exec_lo, s10
	s_cbranch_execnz .LBB103_19
; %bb.20:
	s_or_b32 exec_lo, exec_lo, s10
.LBB103_21:
	s_delay_alu instid0(SALU_CYCLE_1) | instskip(NEXT) | instid1(SALU_CYCLE_1)
	s_or_b32 exec_lo, exec_lo, s3
	s_mov_b32 s10, exec_lo
	v_cmpx_lt_u64_e32 0x5f, v[15:16]
	s_cbranch_execz .LBB103_25
; %bb.22:
	v_lshlrev_b64 v[15:16], 3, v[11:12]
	s_mov_b32 s11, 0
	s_delay_alu instid0(VALU_DEP_1) | instskip(NEXT) | instid1(VALU_DEP_2)
	v_add_co_u32 v15, vcc_lo, v15, s8
	v_add_co_ci_u32_e32 v16, vcc_lo, s9, v16, vcc_lo
	s_delay_alu instid0(VALU_DEP_2) | instskip(NEXT) | instid1(VALU_DEP_2)
	v_add_co_u32 v15, vcc_lo, 0x200, v15
	v_add_co_ci_u32_e32 v16, vcc_lo, 0, v16, vcc_lo
.LBB103_23:                             ; =>This Inner Loop Header: Depth=1
	s_clause 0x3
	global_load_b64 v[53:54], v[15:16], off offset:-512
	global_load_b64 v[55:56], v[15:16], off offset:-256
	global_load_b64 v[57:58], v[15:16], off
	global_load_b64 v[59:60], v[15:16], off offset:256
	s_clause 0x7
	global_load_b128 v[17:20], v[13:14], off
	global_load_b128 v[25:28], v[13:14], off offset:16
	global_load_b128 v[29:32], v[13:14], off offset:1024
	;; [unrolled: 1-line block ×7, first 2 shown]
	s_waitcnt vmcnt(11)
	v_sub_co_u32 v53, vcc_lo, v53, s20
	v_subrev_co_ci_u32_e32 v54, vcc_lo, s15, v54, vcc_lo
	s_waitcnt vmcnt(10)
	v_sub_co_u32 v55, vcc_lo, v55, s20
	v_subrev_co_ci_u32_e32 v56, vcc_lo, s15, v56, vcc_lo
	s_delay_alu instid0(VALU_DEP_3) | instskip(SKIP_2) | instid1(VALU_DEP_3)
	v_lshlrev_b64 v[53:54], 3, v[53:54]
	s_waitcnt vmcnt(9)
	v_sub_co_u32 v57, vcc_lo, v57, s20
	v_lshlrev_b64 v[55:56], 3, v[55:56]
	v_subrev_co_ci_u32_e32 v58, vcc_lo, s15, v58, vcc_lo
	s_waitcnt lgkmcnt(0)
	v_add_co_u32 v53, s3, s4, v53
	s_delay_alu instid0(VALU_DEP_1) | instskip(NEXT) | instid1(VALU_DEP_4)
	v_add_co_ci_u32_e64 v54, s3, s5, v54, s3
	v_add_co_u32 v55, vcc_lo, s4, v55
	v_add_co_ci_u32_e32 v56, vcc_lo, s5, v56, vcc_lo
	global_load_b64 v[53:54], v[53:54], off
	v_lshlrev_b64 v[57:58], 3, v[57:58]
	s_waitcnt vmcnt(9)
	v_sub_co_u32 v59, vcc_lo, v59, s20
	global_load_b64 v[55:56], v[55:56], off
	v_subrev_co_ci_u32_e32 v60, vcc_lo, s15, v60, vcc_lo
	v_add_co_u32 v57, s3, s4, v57
	s_delay_alu instid0(VALU_DEP_1) | instskip(NEXT) | instid1(VALU_DEP_3)
	v_add_co_ci_u32_e64 v58, s3, s5, v58, s3
	v_lshlrev_b64 v[59:60], 3, v[59:60]
	global_load_b64 v[57:58], v[57:58], off
	v_add_co_u32 v59, vcc_lo, s4, v59
	v_add_co_ci_u32_e32 v60, vcc_lo, s5, v60, vcc_lo
	v_add_co_u32 v13, vcc_lo, 0x1000, v13
	v_add_co_ci_u32_e32 v14, vcc_lo, 0, v14, vcc_lo
	global_load_b64 v[59:60], v[59:60], off
	v_add_co_u32 v11, vcc_lo, 0x80, v11
	v_add_co_ci_u32_e32 v12, vcc_lo, 0, v12, vcc_lo
	v_add_co_u32 v15, vcc_lo, 0x400, v15
	v_add_co_ci_u32_e32 v16, vcc_lo, 0, v16, vcc_lo
	s_delay_alu instid0(VALU_DEP_3)
	v_cmp_ge_i64_e32 vcc_lo, v[11:12], v[5:6]
	s_or_b32 s11, vcc_lo, s11
	s_waitcnt vmcnt(3)
	v_fma_mix_f32 v22, v17, v53, v22 op_sel_hi:[1,1,0]
	v_fma_mix_f32 v24, v19, v53, v24 op_sel_hi:[1,1,0]
	v_fma_mix_f32 v23, v25, v53, v23 op_sel_hi:[1,1,0]
	v_fma_mix_f32 v21, v27, v53, v21 op_sel_hi:[1,1,0]
	s_delay_alu instid0(VALU_DEP_4) | instskip(NEXT) | instid1(VALU_DEP_4)
	v_fma_mix_f32 v17, v17, v53, v22 op_sel:[1,1,0] op_sel_hi:[1,1,0]
	v_fma_mix_f32 v19, v19, v53, v24 op_sel:[1,1,0] op_sel_hi:[1,1,0]
	s_delay_alu instid0(VALU_DEP_4) | instskip(NEXT) | instid1(VALU_DEP_4)
	v_fma_mix_f32 v22, v25, v53, v23 op_sel:[1,1,0] op_sel_hi:[1,1,0]
	v_fma_mix_f32 v21, v27, v53, v21 op_sel:[1,1,0] op_sel_hi:[1,1,0]
	s_delay_alu instid0(VALU_DEP_4) | instskip(NEXT) | instid1(VALU_DEP_4)
	v_fma_mix_f32 v17, v18, v54, v17 op_sel_hi:[1,1,0]
	v_fma_mix_f32 v19, v20, v54, v19 op_sel_hi:[1,1,0]
	s_delay_alu instid0(VALU_DEP_4) | instskip(NEXT) | instid1(VALU_DEP_4)
	v_fma_mix_f32 v22, v26, v54, v22 op_sel_hi:[1,1,0]
	v_fma_mix_f32 v21, v28, v54, v21 op_sel_hi:[1,1,0]
	s_delay_alu instid0(VALU_DEP_4) | instskip(NEXT) | instid1(VALU_DEP_4)
	v_fma_mix_f32 v17, v18, v54, v17 op_sel:[1,1,0] op_sel_hi:[1,1,0]
	v_fma_mix_f32 v18, v20, v54, v19 op_sel:[1,1,0] op_sel_hi:[1,1,0]
	s_delay_alu instid0(VALU_DEP_4) | instskip(NEXT) | instid1(VALU_DEP_4)
	v_fma_mix_f32 v19, v26, v54, v22 op_sel:[1,1,0] op_sel_hi:[1,1,0]
	v_fma_mix_f32 v20, v28, v54, v21 op_sel:[1,1,0] op_sel_hi:[1,1,0]
	s_waitcnt vmcnt(2)
	v_fma_mix_f32 v17, v29, v55, v17 op_sel_hi:[1,1,0]
	v_fma_mix_f32 v18, v31, v55, v18 op_sel_hi:[1,1,0]
	v_fma_mix_f32 v19, v33, v55, v19 op_sel_hi:[1,1,0]
	v_fma_mix_f32 v20, v35, v55, v20 op_sel_hi:[1,1,0]
	s_delay_alu instid0(VALU_DEP_4) | instskip(NEXT) | instid1(VALU_DEP_4)
	v_fma_mix_f32 v17, v29, v55, v17 op_sel:[1,1,0] op_sel_hi:[1,1,0]
	v_fma_mix_f32 v18, v31, v55, v18 op_sel:[1,1,0] op_sel_hi:[1,1,0]
	s_delay_alu instid0(VALU_DEP_4) | instskip(NEXT) | instid1(VALU_DEP_4)
	v_fma_mix_f32 v19, v33, v55, v19 op_sel:[1,1,0] op_sel_hi:[1,1,0]
	v_fma_mix_f32 v20, v35, v55, v20 op_sel:[1,1,0] op_sel_hi:[1,1,0]
	s_delay_alu instid0(VALU_DEP_4) | instskip(NEXT) | instid1(VALU_DEP_4)
	v_fma_mix_f32 v17, v30, v56, v17 op_sel_hi:[1,1,0]
	v_fma_mix_f32 v18, v32, v56, v18 op_sel_hi:[1,1,0]
	s_delay_alu instid0(VALU_DEP_4) | instskip(NEXT) | instid1(VALU_DEP_4)
	v_fma_mix_f32 v19, v34, v56, v19 op_sel_hi:[1,1,0]
	v_fma_mix_f32 v20, v36, v56, v20 op_sel_hi:[1,1,0]
	s_delay_alu instid0(VALU_DEP_4) | instskip(NEXT) | instid1(VALU_DEP_4)
	v_fma_mix_f32 v17, v30, v56, v17 op_sel:[1,1,0] op_sel_hi:[1,1,0]
	v_fma_mix_f32 v18, v32, v56, v18 op_sel:[1,1,0] op_sel_hi:[1,1,0]
	s_delay_alu instid0(VALU_DEP_4) | instskip(NEXT) | instid1(VALU_DEP_4)
	v_fma_mix_f32 v19, v34, v56, v19 op_sel:[1,1,0] op_sel_hi:[1,1,0]
	v_fma_mix_f32 v20, v36, v56, v20 op_sel:[1,1,0] op_sel_hi:[1,1,0]
	;; [unrolled: 23-line block ×4, first 2 shown]
	s_and_not1_b32 exec_lo, exec_lo, s11
	s_cbranch_execnz .LBB103_23
; %bb.24:
	s_or_b32 exec_lo, exec_lo, s11
.LBB103_25:
	s_delay_alu instid0(SALU_CYCLE_1)
	s_or_b32 exec_lo, exec_lo, s10
.LBB103_26:
	s_delay_alu instid0(SALU_CYCLE_1) | instskip(NEXT) | instid1(SALU_CYCLE_1)
	s_or_b32 exec_lo, exec_lo, s7
	s_and_not1_b32 vcc_lo, exec_lo, s6
	s_cbranch_vccz .LBB103_28
	s_branch .LBB103_39
.LBB103_27:
                                        ; implicit-def: $vgpr21
                                        ; implicit-def: $vgpr23
                                        ; implicit-def: $vgpr24
                                        ; implicit-def: $vgpr22
.LBB103_28:
	v_dual_mov_b32 v21, 0 :: v_dual_mov_b32 v24, 0
	v_dual_mov_b32 v23, 0 :: v_dual_mov_b32 v22, 0
	s_delay_alu instid0(VALU_DEP_4)
	s_and_saveexec_b32 s3, s2
	s_cbranch_execz .LBB103_38
; %bb.29:
	v_or_b32_e32 v11, 32, v2
	v_mov_b32_e32 v23, 0
	v_dual_mov_b32 v21, 0 :: v_dual_mov_b32 v22, 0
	v_mov_b32_e32 v24, 0
	s_delay_alu instid0(VALU_DEP_4) | instskip(NEXT) | instid1(VALU_DEP_1)
	v_sub_co_u32 v11, s2, v11, s20
	v_sub_co_ci_u32_e64 v12, null, 0, s15, s2
	v_sub_co_u32 v13, s2, s20, v2
	s_delay_alu instid0(VALU_DEP_3) | instskip(NEXT) | instid1(VALU_DEP_3)
	v_add_co_u32 v11, vcc_lo, v11, v9
	v_add_co_ci_u32_e32 v12, vcc_lo, v12, v10, vcc_lo
	v_not_b32_e32 v9, v9
	v_not_b32_e32 v10, v10
	v_sub_co_ci_u32_e64 v14, null, s15, 0, s2
	s_delay_alu instid0(VALU_DEP_4) | instskip(SKIP_4) | instid1(VALU_DEP_2)
	v_cmp_gt_i64_e32 vcc_lo, v[11:12], v[5:6]
	s_mov_b32 s2, exec_lo
	v_dual_cndmask_b32 v12, v6, v12 :: v_dual_cndmask_b32 v11, v5, v11
	v_add_co_u32 v9, vcc_lo, v13, v9
	v_add_co_ci_u32_e32 v10, vcc_lo, v14, v10, vcc_lo
	v_add_co_u32 v9, vcc_lo, v9, v11
	s_delay_alu instid0(VALU_DEP_2) | instskip(NEXT) | instid1(VALU_DEP_2)
	v_add_co_ci_u32_e32 v10, vcc_lo, v10, v12, vcc_lo
	v_lshrrev_b32_e32 v11, 5, v9
	s_delay_alu instid0(VALU_DEP_1) | instskip(NEXT) | instid1(VALU_DEP_1)
	v_add_nc_u32_e32 v11, 1, v11
	v_and_b32_e32 v11, 3, v11
	s_delay_alu instid0(VALU_DEP_1)
	v_cmpx_ne_u32_e32 0, v11
	s_cbranch_execz .LBB103_33
; %bb.30:
	v_lshlrev_b64 v[13:14], 3, v[0:1]
	v_dual_mov_b32 v12, 0 :: v_dual_lshlrev_b32 v11, 2, v11
	s_mov_b32 s6, 0
	s_delay_alu instid0(VALU_DEP_1) | instskip(NEXT) | instid1(VALU_DEP_3)
	v_mov_b32_e32 v21, v12
	v_add_co_u32 v13, vcc_lo, s8, v13
	s_delay_alu instid0(VALU_DEP_4)
	v_add_co_ci_u32_e32 v14, vcc_lo, s9, v14, vcc_lo
	v_mov_b32_e32 v23, v12
	v_mov_b32_e32 v24, v12
	;; [unrolled: 1-line block ×3, first 2 shown]
.LBB103_31:                             ; =>This Inner Loop Header: Depth=1
	global_load_b64 v[19:20], v[13:14], off
	global_load_b128 v[15:18], v[7:8], off
	s_waitcnt vmcnt(1)
	v_sub_co_u32 v19, vcc_lo, v19, s20
	v_subrev_co_ci_u32_e32 v20, vcc_lo, s15, v20, vcc_lo
	s_delay_alu instid0(VALU_DEP_1) | instskip(SKIP_1) | instid1(VALU_DEP_1)
	v_lshlrev_b64 v[19:20], 3, v[19:20]
	s_waitcnt lgkmcnt(0)
	v_add_co_u32 v19, vcc_lo, s4, v19
	s_delay_alu instid0(VALU_DEP_2)
	v_add_co_ci_u32_e32 v20, vcc_lo, s5, v20, vcc_lo
	global_load_b64 v[19:20], v[19:20], off
	global_load_b128 v[25:28], v[7:8], off offset:16
	v_add_co_u32 v7, vcc_lo, 0x400, v7
	v_add_co_ci_u32_e32 v8, vcc_lo, 0, v8, vcc_lo
	v_add_co_u32 v0, vcc_lo, v0, 32
	v_add_co_ci_u32_e32 v1, vcc_lo, 0, v1, vcc_lo
	;; [unrolled: 2-line block ×3, first 2 shown]
	v_add_co_u32 v11, vcc_lo, v11, -4
	v_add_co_ci_u32_e32 v12, vcc_lo, -1, v12, vcc_lo
	s_delay_alu instid0(VALU_DEP_1)
	v_cmp_eq_u64_e32 vcc_lo, 0, v[11:12]
	s_or_b32 s6, vcc_lo, s6
	s_waitcnt vmcnt(1)
	v_fma_mix_f32 v22, v15, v19, v22 op_sel_hi:[1,1,0]
	v_fma_mix_f32 v15, v15, v19, v24 op_sel:[1,0,0] op_sel_hi:[1,1,0]
	v_fma_mix_f32 v23, v16, v19, v23 op_sel_hi:[1,1,0]
	v_fma_mix_f32 v16, v16, v19, v21 op_sel:[1,0,0] op_sel_hi:[1,1,0]
	s_delay_alu instid0(VALU_DEP_4) | instskip(NEXT) | instid1(VALU_DEP_4)
	v_fma_mix_f32 v21, v17, v19, v22 op_sel:[0,1,0] op_sel_hi:[1,1,0]
	v_fma_mix_f32 v15, v17, v19, v15 op_sel:[1,1,0] op_sel_hi:[1,1,0]
	s_delay_alu instid0(VALU_DEP_4) | instskip(NEXT) | instid1(VALU_DEP_4)
	v_fma_mix_f32 v17, v18, v19, v23 op_sel:[0,1,0] op_sel_hi:[1,1,0]
	v_fma_mix_f32 v16, v18, v19, v16 op_sel:[1,1,0] op_sel_hi:[1,1,0]
	s_waitcnt vmcnt(0)
	v_fma_mix_f32 v18, v25, v20, v21 op_sel_hi:[1,1,0]
	v_fma_mix_f32 v15, v25, v20, v15 op_sel:[1,0,0] op_sel_hi:[1,1,0]
	v_fma_mix_f32 v17, v26, v20, v17 op_sel_hi:[1,1,0]
	v_fma_mix_f32 v16, v26, v20, v16 op_sel:[1,0,0] op_sel_hi:[1,1,0]
	s_delay_alu instid0(VALU_DEP_4) | instskip(NEXT) | instid1(VALU_DEP_4)
	v_fma_mix_f32 v22, v27, v20, v18 op_sel:[0,1,0] op_sel_hi:[1,1,0]
	v_fma_mix_f32 v24, v27, v20, v15 op_sel:[1,1,0] op_sel_hi:[1,1,0]
	s_delay_alu instid0(VALU_DEP_4) | instskip(NEXT) | instid1(VALU_DEP_4)
	v_fma_mix_f32 v23, v28, v20, v17 op_sel:[0,1,0] op_sel_hi:[1,1,0]
	v_fma_mix_f32 v21, v28, v20, v16 op_sel:[1,1,0] op_sel_hi:[1,1,0]
	s_and_not1_b32 exec_lo, exec_lo, s6
	s_cbranch_execnz .LBB103_31
; %bb.32:
	s_or_b32 exec_lo, exec_lo, s6
.LBB103_33:
	s_delay_alu instid0(SALU_CYCLE_1) | instskip(NEXT) | instid1(SALU_CYCLE_1)
	s_or_b32 exec_lo, exec_lo, s2
	s_mov_b32 s6, exec_lo
	v_cmpx_lt_u64_e32 0x5f, v[9:10]
	s_cbranch_execz .LBB103_37
; %bb.34:
	v_lshlrev_b64 v[9:10], 3, v[0:1]
	s_mov_b32 s7, 0
	s_delay_alu instid0(VALU_DEP_1) | instskip(NEXT) | instid1(VALU_DEP_2)
	v_add_co_u32 v9, vcc_lo, v9, s8
	v_add_co_ci_u32_e32 v10, vcc_lo, s9, v10, vcc_lo
	s_delay_alu instid0(VALU_DEP_2) | instskip(NEXT) | instid1(VALU_DEP_2)
	v_add_co_u32 v9, vcc_lo, 0x200, v9
	v_add_co_ci_u32_e32 v10, vcc_lo, 0, v10, vcc_lo
.LBB103_35:                             ; =>This Inner Loop Header: Depth=1
	s_clause 0x3
	global_load_b64 v[19:20], v[9:10], off offset:-512
	global_load_b64 v[45:46], v[9:10], off offset:-256
	global_load_b64 v[47:48], v[9:10], off
	global_load_b64 v[49:50], v[9:10], off offset:256
	s_clause 0x6
	global_load_b128 v[11:14], v[7:8], off
	global_load_b128 v[15:18], v[7:8], off offset:16
	global_load_b128 v[25:28], v[7:8], off offset:1024
	;; [unrolled: 1-line block ×6, first 2 shown]
	s_waitcnt vmcnt(10)
	v_sub_co_u32 v19, vcc_lo, v19, s20
	v_subrev_co_ci_u32_e32 v20, vcc_lo, s15, v20, vcc_lo
	s_waitcnt vmcnt(9)
	v_sub_co_u32 v45, vcc_lo, v45, s20
	v_subrev_co_ci_u32_e32 v46, vcc_lo, s15, v46, vcc_lo
	s_delay_alu instid0(VALU_DEP_3) | instskip(SKIP_2) | instid1(VALU_DEP_3)
	v_lshlrev_b64 v[19:20], 3, v[19:20]
	s_waitcnt vmcnt(8)
	v_sub_co_u32 v47, vcc_lo, v47, s20
	v_lshlrev_b64 v[45:46], 3, v[45:46]
	v_subrev_co_ci_u32_e32 v48, vcc_lo, s15, v48, vcc_lo
	s_waitcnt lgkmcnt(0)
	v_add_co_u32 v19, s2, s4, v19
	s_delay_alu instid0(VALU_DEP_1) | instskip(NEXT) | instid1(VALU_DEP_4)
	v_add_co_ci_u32_e64 v20, s2, s5, v20, s2
	v_add_co_u32 v45, vcc_lo, s4, v45
	v_add_co_ci_u32_e32 v46, vcc_lo, s5, v46, vcc_lo
	s_clause 0x1
	global_load_b64 v[19:20], v[19:20], off
	global_load_b64 v[51:52], v[45:46], off
	v_lshlrev_b64 v[46:47], 3, v[47:48]
	s_waitcnt vmcnt(9)
	v_sub_co_u32 v45, vcc_lo, v49, s20
	s_delay_alu instid0(VALU_DEP_2) | instskip(NEXT) | instid1(VALU_DEP_1)
	v_add_co_u32 v46, s2, s4, v46
	v_add_co_ci_u32_e64 v47, s2, s5, v47, s2
	global_load_b64 v[53:54], v[46:47], off
	v_subrev_co_ci_u32_e32 v46, vcc_lo, s15, v50, vcc_lo
	s_delay_alu instid0(VALU_DEP_1) | instskip(NEXT) | instid1(VALU_DEP_1)
	v_lshlrev_b64 v[45:46], 3, v[45:46]
	v_add_co_u32 v45, vcc_lo, s4, v45
	s_delay_alu instid0(VALU_DEP_2)
	v_add_co_ci_u32_e32 v46, vcc_lo, s5, v46, vcc_lo
	global_load_b64 v[49:50], v[45:46], off
	global_load_b128 v[45:48], v[7:8], off offset:3088
	v_add_co_u32 v7, vcc_lo, 0x1000, v7
	v_add_co_ci_u32_e32 v8, vcc_lo, 0, v8, vcc_lo
	v_add_co_u32 v0, vcc_lo, 0x80, v0
	v_add_co_ci_u32_e32 v1, vcc_lo, 0, v1, vcc_lo
	;; [unrolled: 2-line block ×3, first 2 shown]
	s_delay_alu instid0(VALU_DEP_3)
	v_cmp_ge_i64_e32 vcc_lo, v[0:1], v[5:6]
	s_or_b32 s7, vcc_lo, s7
	s_waitcnt vmcnt(4)
	v_fma_mix_f32 v22, v11, v19, v22 op_sel_hi:[1,1,0]
	v_fma_mix_f32 v11, v11, v19, v24 op_sel:[1,0,0] op_sel_hi:[1,1,0]
	v_fma_mix_f32 v23, v12, v19, v23 op_sel_hi:[1,1,0]
	v_fma_mix_f32 v12, v12, v19, v21 op_sel:[1,0,0] op_sel_hi:[1,1,0]
	s_delay_alu instid0(VALU_DEP_4) | instskip(NEXT) | instid1(VALU_DEP_4)
	v_fma_mix_f32 v21, v13, v19, v22 op_sel:[0,1,0] op_sel_hi:[1,1,0]
	v_fma_mix_f32 v11, v13, v19, v11 op_sel:[1,1,0] op_sel_hi:[1,1,0]
	s_delay_alu instid0(VALU_DEP_4) | instskip(NEXT) | instid1(VALU_DEP_4)
	v_fma_mix_f32 v13, v14, v19, v23 op_sel:[0,1,0] op_sel_hi:[1,1,0]
	v_fma_mix_f32 v12, v14, v19, v12 op_sel:[1,1,0] op_sel_hi:[1,1,0]
	s_delay_alu instid0(VALU_DEP_4) | instskip(NEXT) | instid1(VALU_DEP_4)
	v_fma_mix_f32 v14, v15, v20, v21 op_sel_hi:[1,1,0]
	v_fma_mix_f32 v11, v15, v20, v11 op_sel:[1,0,0] op_sel_hi:[1,1,0]
	s_delay_alu instid0(VALU_DEP_4) | instskip(NEXT) | instid1(VALU_DEP_4)
	v_fma_mix_f32 v13, v16, v20, v13 op_sel_hi:[1,1,0]
	v_fma_mix_f32 v12, v16, v20, v12 op_sel:[1,0,0] op_sel_hi:[1,1,0]
	s_delay_alu instid0(VALU_DEP_4) | instskip(NEXT) | instid1(VALU_DEP_4)
	v_fma_mix_f32 v14, v17, v20, v14 op_sel:[0,1,0] op_sel_hi:[1,1,0]
	v_fma_mix_f32 v11, v17, v20, v11 op_sel:[1,1,0] op_sel_hi:[1,1,0]
	s_delay_alu instid0(VALU_DEP_4) | instskip(NEXT) | instid1(VALU_DEP_4)
	v_fma_mix_f32 v13, v18, v20, v13 op_sel:[0,1,0] op_sel_hi:[1,1,0]
	v_fma_mix_f32 v12, v18, v20, v12 op_sel:[1,1,0] op_sel_hi:[1,1,0]
	s_waitcnt vmcnt(3)
	v_fma_mix_f32 v14, v25, v51, v14 op_sel_hi:[1,1,0]
	v_fma_mix_f32 v11, v25, v51, v11 op_sel:[1,0,0] op_sel_hi:[1,1,0]
	v_fma_mix_f32 v13, v26, v51, v13 op_sel_hi:[1,1,0]
	v_fma_mix_f32 v12, v26, v51, v12 op_sel:[1,0,0] op_sel_hi:[1,1,0]
	s_delay_alu instid0(VALU_DEP_4) | instskip(NEXT) | instid1(VALU_DEP_4)
	v_fma_mix_f32 v14, v27, v51, v14 op_sel:[0,1,0] op_sel_hi:[1,1,0]
	v_fma_mix_f32 v11, v27, v51, v11 op_sel:[1,1,0] op_sel_hi:[1,1,0]
	s_delay_alu instid0(VALU_DEP_4) | instskip(NEXT) | instid1(VALU_DEP_4)
	v_fma_mix_f32 v13, v28, v51, v13 op_sel:[0,1,0] op_sel_hi:[1,1,0]
	v_fma_mix_f32 v12, v28, v51, v12 op_sel:[1,1,0] op_sel_hi:[1,1,0]
	s_delay_alu instid0(VALU_DEP_4) | instskip(NEXT) | instid1(VALU_DEP_4)
	v_fma_mix_f32 v14, v29, v52, v14 op_sel_hi:[1,1,0]
	v_fma_mix_f32 v11, v29, v52, v11 op_sel:[1,0,0] op_sel_hi:[1,1,0]
	s_delay_alu instid0(VALU_DEP_4) | instskip(NEXT) | instid1(VALU_DEP_4)
	v_fma_mix_f32 v13, v30, v52, v13 op_sel_hi:[1,1,0]
	v_fma_mix_f32 v12, v30, v52, v12 op_sel:[1,0,0] op_sel_hi:[1,1,0]
	s_delay_alu instid0(VALU_DEP_4) | instskip(NEXT) | instid1(VALU_DEP_4)
	v_fma_mix_f32 v14, v31, v52, v14 op_sel:[0,1,0] op_sel_hi:[1,1,0]
	v_fma_mix_f32 v11, v31, v52, v11 op_sel:[1,1,0] op_sel_hi:[1,1,0]
	s_delay_alu instid0(VALU_DEP_4) | instskip(NEXT) | instid1(VALU_DEP_4)
	v_fma_mix_f32 v13, v32, v52, v13 op_sel:[0,1,0] op_sel_hi:[1,1,0]
	v_fma_mix_f32 v12, v32, v52, v12 op_sel:[1,1,0] op_sel_hi:[1,1,0]
	;; [unrolled: 23-line block ×3, first 2 shown]
	s_waitcnt vmcnt(1)
	v_fma_mix_f32 v14, v41, v49, v14 op_sel_hi:[1,1,0]
	v_fma_mix_f32 v11, v41, v49, v11 op_sel:[1,0,0] op_sel_hi:[1,1,0]
	v_fma_mix_f32 v13, v42, v49, v13 op_sel_hi:[1,1,0]
	v_fma_mix_f32 v12, v42, v49, v12 op_sel:[1,0,0] op_sel_hi:[1,1,0]
	s_delay_alu instid0(VALU_DEP_4) | instskip(NEXT) | instid1(VALU_DEP_4)
	v_fma_mix_f32 v14, v43, v49, v14 op_sel:[0,1,0] op_sel_hi:[1,1,0]
	v_fma_mix_f32 v11, v43, v49, v11 op_sel:[1,1,0] op_sel_hi:[1,1,0]
	s_delay_alu instid0(VALU_DEP_4) | instskip(NEXT) | instid1(VALU_DEP_4)
	v_fma_mix_f32 v13, v44, v49, v13 op_sel:[0,1,0] op_sel_hi:[1,1,0]
	v_fma_mix_f32 v12, v44, v49, v12 op_sel:[1,1,0] op_sel_hi:[1,1,0]
	s_waitcnt vmcnt(0)
	v_fma_mix_f32 v14, v45, v50, v14 op_sel_hi:[1,1,0]
	v_fma_mix_f32 v11, v45, v50, v11 op_sel:[1,0,0] op_sel_hi:[1,1,0]
	v_fma_mix_f32 v13, v46, v50, v13 op_sel_hi:[1,1,0]
	v_fma_mix_f32 v12, v46, v50, v12 op_sel:[1,0,0] op_sel_hi:[1,1,0]
	s_delay_alu instid0(VALU_DEP_4) | instskip(NEXT) | instid1(VALU_DEP_4)
	v_fma_mix_f32 v22, v47, v50, v14 op_sel:[0,1,0] op_sel_hi:[1,1,0]
	v_fma_mix_f32 v24, v47, v50, v11 op_sel:[1,1,0] op_sel_hi:[1,1,0]
	s_delay_alu instid0(VALU_DEP_4) | instskip(NEXT) | instid1(VALU_DEP_4)
	v_fma_mix_f32 v23, v48, v50, v13 op_sel:[0,1,0] op_sel_hi:[1,1,0]
	v_fma_mix_f32 v21, v48, v50, v12 op_sel:[1,1,0] op_sel_hi:[1,1,0]
	s_and_not1_b32 exec_lo, exec_lo, s7
	s_cbranch_execnz .LBB103_35
; %bb.36:
	s_or_b32 exec_lo, exec_lo, s7
.LBB103_37:
	s_delay_alu instid0(SALU_CYCLE_1)
	s_or_b32 exec_lo, exec_lo, s6
.LBB103_38:
	s_delay_alu instid0(SALU_CYCLE_1)
	s_or_b32 exec_lo, exec_lo, s3
.LBB103_39:
	v_mbcnt_lo_u32_b32 v0, -1, 0
	s_mov_b32 s2, -1
	s_delay_alu instid0(VALU_DEP_1) | instskip(SKIP_2) | instid1(VALU_DEP_3)
	v_xor_b32_e32 v1, 16, v0
	v_xor_b32_e32 v8, 8, v0
	;; [unrolled: 1-line block ×3, first 2 shown]
	v_cmp_gt_i32_e32 vcc_lo, 32, v1
	v_cndmask_b32_e32 v1, v0, v1, vcc_lo
	s_delay_alu instid0(VALU_DEP_4) | instskip(SKIP_2) | instid1(VALU_DEP_2)
	v_cmp_gt_i32_e32 vcc_lo, 32, v8
	v_cndmask_b32_e32 v8, v0, v8, vcc_lo
	v_cmp_gt_i32_e32 vcc_lo, 32, v12
	v_lshlrev_b32_e32 v8, 2, v8
	v_dual_cndmask_b32 v12, v0, v12 :: v_dual_lshlrev_b32 v1, 2, v1
	ds_bpermute_b32 v6, v1, v24
	v_lshlrev_b32_e32 v12, 2, v12
	s_waitcnt lgkmcnt(0)
	v_add_f32_e32 v6, v24, v6
	ds_bpermute_b32 v5, v1, v22
	ds_bpermute_b32 v7, v1, v23
	ds_bpermute_b32 v1, v1, v21
	ds_bpermute_b32 v10, v8, v6
	s_waitcnt lgkmcnt(3)
	v_add_f32_e32 v5, v22, v5
	s_waitcnt lgkmcnt(2)
	v_add_f32_e32 v7, v23, v7
	s_waitcnt lgkmcnt(0)
	v_dual_add_f32 v1, v21, v1 :: v_dual_add_f32 v6, v6, v10
	ds_bpermute_b32 v9, v8, v5
	ds_bpermute_b32 v11, v8, v7
	ds_bpermute_b32 v8, v8, v1
	s_waitcnt lgkmcnt(2)
	v_add_f32_e32 v5, v5, v9
	s_waitcnt lgkmcnt(1)
	v_add_f32_e32 v7, v7, v11
	ds_bpermute_b32 v9, v12, v6
	s_waitcnt lgkmcnt(1)
	v_add_f32_e32 v1, v1, v8
	ds_bpermute_b32 v8, v12, v5
	ds_bpermute_b32 v10, v12, v7
	s_waitcnt lgkmcnt(2)
	v_add_f32_e32 v6, v6, v9
	ds_bpermute_b32 v11, v12, v1
	v_xor_b32_e32 v12, 2, v0
	s_waitcnt lgkmcnt(2)
	v_add_f32_e32 v5, v5, v8
	s_delay_alu instid0(VALU_DEP_2) | instskip(SKIP_2) | instid1(VALU_DEP_1)
	v_cmp_gt_i32_e32 vcc_lo, 32, v12
	s_waitcnt lgkmcnt(1)
	v_dual_cndmask_b32 v12, v0, v12 :: v_dual_add_f32 v7, v7, v10
	v_lshlrev_b32_e32 v12, 2, v12
	ds_bpermute_b32 v9, v12, v6
	s_waitcnt lgkmcnt(1)
	v_add_f32_e32 v8, v1, v11
	ds_bpermute_b32 v1, v12, v5
	ds_bpermute_b32 v10, v12, v7
	;; [unrolled: 1-line block ×3, first 2 shown]
	v_xor_b32_e32 v12, 1, v0
	s_delay_alu instid0(VALU_DEP_1) | instskip(SKIP_2) | instid1(VALU_DEP_2)
	v_cmp_gt_i32_e32 vcc_lo, 32, v12
	v_cndmask_b32_e32 v0, v0, v12, vcc_lo
	v_cmp_eq_u32_e32 vcc_lo, 31, v2
	v_lshlrev_b32_e32 v12, 2, v0
	s_waitcnt lgkmcnt(1)
	v_dual_add_f32 v0, v5, v1 :: v_dual_add_f32 v5, v7, v10
	s_waitcnt lgkmcnt(0)
	v_dual_add_f32 v1, v6, v9 :: v_dual_add_f32 v6, v8, v11
	ds_bpermute_b32 v7, v12, v0
	ds_bpermute_b32 v9, v12, v5
	;; [unrolled: 1-line block ×4, first 2 shown]
	s_and_b32 exec_lo, exec_lo, vcc_lo
	s_cbranch_execz .LBB103_10
; %bb.40:
	s_load_b64 s[0:1], s[0:1], 0x58
	s_waitcnt lgkmcnt(0)
	v_dual_add_f32 v0, v0, v7 :: v_dual_add_f32 v1, v1, v8
	v_add_f32_e32 v6, v6, v10
	v_cmp_eq_f32_e64 s3, s12, 0
	s_delay_alu instid0(VALU_DEP_3) | instskip(SKIP_4) | instid1(VALU_DEP_3)
	v_dual_mul_f32 v0, s16, v0 :: v_dual_mul_f32 v1, s16, v1
	v_add_f32_e32 v2, v5, v9
	v_lshlrev_b64 v[4:5], 4, v[3:4]
	v_mul_f32_e32 v3, s16, v6
	s_and_b32 vcc_lo, exec_lo, s3
	v_mul_f32_e32 v2, s16, v2
	s_cbranch_vccz .LBB103_42
; %bb.41:
	s_delay_alu instid0(VALU_DEP_3)
	v_add_co_u32 v6, vcc_lo, s0, v4
	v_add_co_ci_u32_e32 v7, vcc_lo, s1, v5, vcc_lo
	s_mov_b32 s2, 0
	global_store_b128 v[6:7], v[0:3], off
.LBB103_42:
	s_and_not1_b32 vcc_lo, exec_lo, s2
	s_cbranch_vccnz .LBB103_10
; %bb.43:
	v_add_co_u32 v8, vcc_lo, s0, v4
	v_add_co_ci_u32_e32 v9, vcc_lo, s1, v5, vcc_lo
	global_load_b128 v[4:7], v[8:9], off
	s_waitcnt vmcnt(0)
	v_dual_fmac_f32 v0, s12, v4 :: v_dual_fmac_f32 v1, s12, v5
	v_dual_fmac_f32 v2, s12, v6 :: v_dual_fmac_f32 v3, s12, v7
	global_store_b128 v[8:9], v[0:3], off
	s_nop 0
	s_sendmsg sendmsg(MSG_DEALLOC_VGPRS)
	s_endpgm
	.section	.rodata,"a",@progbits
	.p2align	6, 0x0
	.amdhsa_kernel _ZN9rocsparseL18bsrxmvn_4x4_kernelILj128ELj32EfllDF16_DF16_fEEvT3_20rocsparse_direction_NS_24const_host_device_scalarIT1_EES1_PKS1_PKT2_SA_S7_PKT4_PKT5_S5_PT6_21rocsparse_index_base_b
		.amdhsa_group_segment_fixed_size 0
		.amdhsa_private_segment_fixed_size 0
		.amdhsa_kernarg_size 104
		.amdhsa_user_sgpr_count 15
		.amdhsa_user_sgpr_dispatch_ptr 0
		.amdhsa_user_sgpr_queue_ptr 0
		.amdhsa_user_sgpr_kernarg_segment_ptr 1
		.amdhsa_user_sgpr_dispatch_id 0
		.amdhsa_user_sgpr_private_segment_size 0
		.amdhsa_wavefront_size32 1
		.amdhsa_uses_dynamic_stack 0
		.amdhsa_enable_private_segment 0
		.amdhsa_system_sgpr_workgroup_id_x 1
		.amdhsa_system_sgpr_workgroup_id_y 0
		.amdhsa_system_sgpr_workgroup_id_z 0
		.amdhsa_system_sgpr_workgroup_info 0
		.amdhsa_system_vgpr_workitem_id 0
		.amdhsa_next_free_vgpr 61
		.amdhsa_next_free_sgpr 22
		.amdhsa_reserve_vcc 1
		.amdhsa_float_round_mode_32 0
		.amdhsa_float_round_mode_16_64 0
		.amdhsa_float_denorm_mode_32 3
		.amdhsa_float_denorm_mode_16_64 3
		.amdhsa_dx10_clamp 1
		.amdhsa_ieee_mode 1
		.amdhsa_fp16_overflow 0
		.amdhsa_workgroup_processor_mode 1
		.amdhsa_memory_ordered 1
		.amdhsa_forward_progress 0
		.amdhsa_shared_vgpr_count 0
		.amdhsa_exception_fp_ieee_invalid_op 0
		.amdhsa_exception_fp_denorm_src 0
		.amdhsa_exception_fp_ieee_div_zero 0
		.amdhsa_exception_fp_ieee_overflow 0
		.amdhsa_exception_fp_ieee_underflow 0
		.amdhsa_exception_fp_ieee_inexact 0
		.amdhsa_exception_int_div_zero 0
	.end_amdhsa_kernel
	.section	.text._ZN9rocsparseL18bsrxmvn_4x4_kernelILj128ELj32EfllDF16_DF16_fEEvT3_20rocsparse_direction_NS_24const_host_device_scalarIT1_EES1_PKS1_PKT2_SA_S7_PKT4_PKT5_S5_PT6_21rocsparse_index_base_b,"axG",@progbits,_ZN9rocsparseL18bsrxmvn_4x4_kernelILj128ELj32EfllDF16_DF16_fEEvT3_20rocsparse_direction_NS_24const_host_device_scalarIT1_EES1_PKS1_PKT2_SA_S7_PKT4_PKT5_S5_PT6_21rocsparse_index_base_b,comdat
.Lfunc_end103:
	.size	_ZN9rocsparseL18bsrxmvn_4x4_kernelILj128ELj32EfllDF16_DF16_fEEvT3_20rocsparse_direction_NS_24const_host_device_scalarIT1_EES1_PKS1_PKT2_SA_S7_PKT4_PKT5_S5_PT6_21rocsparse_index_base_b, .Lfunc_end103-_ZN9rocsparseL18bsrxmvn_4x4_kernelILj128ELj32EfllDF16_DF16_fEEvT3_20rocsparse_direction_NS_24const_host_device_scalarIT1_EES1_PKS1_PKT2_SA_S7_PKT4_PKT5_S5_PT6_21rocsparse_index_base_b
                                        ; -- End function
	.section	.AMDGPU.csdata,"",@progbits
; Kernel info:
; codeLenInByte = 4432
; NumSgprs: 24
; NumVgprs: 61
; ScratchSize: 0
; MemoryBound: 0
; FloatMode: 240
; IeeeMode: 1
; LDSByteSize: 0 bytes/workgroup (compile time only)
; SGPRBlocks: 2
; VGPRBlocks: 7
; NumSGPRsForWavesPerEU: 24
; NumVGPRsForWavesPerEU: 61
; Occupancy: 16
; WaveLimiterHint : 1
; COMPUTE_PGM_RSRC2:SCRATCH_EN: 0
; COMPUTE_PGM_RSRC2:USER_SGPR: 15
; COMPUTE_PGM_RSRC2:TRAP_HANDLER: 0
; COMPUTE_PGM_RSRC2:TGID_X_EN: 1
; COMPUTE_PGM_RSRC2:TGID_Y_EN: 0
; COMPUTE_PGM_RSRC2:TGID_Z_EN: 0
; COMPUTE_PGM_RSRC2:TIDIG_COMP_CNT: 0
	.section	.text._ZN9rocsparseL18bsrxmvn_4x4_kernelILj128ELj64EfllDF16_DF16_fEEvT3_20rocsparse_direction_NS_24const_host_device_scalarIT1_EES1_PKS1_PKT2_SA_S7_PKT4_PKT5_S5_PT6_21rocsparse_index_base_b,"axG",@progbits,_ZN9rocsparseL18bsrxmvn_4x4_kernelILj128ELj64EfllDF16_DF16_fEEvT3_20rocsparse_direction_NS_24const_host_device_scalarIT1_EES1_PKS1_PKT2_SA_S7_PKT4_PKT5_S5_PT6_21rocsparse_index_base_b,comdat
	.globl	_ZN9rocsparseL18bsrxmvn_4x4_kernelILj128ELj64EfllDF16_DF16_fEEvT3_20rocsparse_direction_NS_24const_host_device_scalarIT1_EES1_PKS1_PKT2_SA_S7_PKT4_PKT5_S5_PT6_21rocsparse_index_base_b ; -- Begin function _ZN9rocsparseL18bsrxmvn_4x4_kernelILj128ELj64EfllDF16_DF16_fEEvT3_20rocsparse_direction_NS_24const_host_device_scalarIT1_EES1_PKS1_PKT2_SA_S7_PKT4_PKT5_S5_PT6_21rocsparse_index_base_b
	.p2align	8
	.type	_ZN9rocsparseL18bsrxmvn_4x4_kernelILj128ELj64EfllDF16_DF16_fEEvT3_20rocsparse_direction_NS_24const_host_device_scalarIT1_EES1_PKS1_PKT2_SA_S7_PKT4_PKT5_S5_PT6_21rocsparse_index_base_b,@function
_ZN9rocsparseL18bsrxmvn_4x4_kernelILj128ELj64EfllDF16_DF16_fEEvT3_20rocsparse_direction_NS_24const_host_device_scalarIT1_EES1_PKS1_PKT2_SA_S7_PKT4_PKT5_S5_PT6_21rocsparse_index_base_b: ; @_ZN9rocsparseL18bsrxmvn_4x4_kernelILj128ELj64EfllDF16_DF16_fEEvT3_20rocsparse_direction_NS_24const_host_device_scalarIT1_EES1_PKS1_PKT2_SA_S7_PKT4_PKT5_S5_PT6_21rocsparse_index_base_b
; %bb.0:
	s_clause 0x2
	s_load_b64 s[20:21], s[0:1], 0x60
	s_load_b128 s[16:19], s[0:1], 0x10
	s_load_b64 s[12:13], s[0:1], 0x50
	s_waitcnt lgkmcnt(0)
	s_bitcmp1_b32 s21, 0
	s_cselect_b32 s2, -1, 0
	s_delay_alu instid0(SALU_CYCLE_1)
	s_and_b32 vcc_lo, exec_lo, s2
	s_xor_b32 s2, s2, -1
	s_cbranch_vccnz .LBB104_2
; %bb.1:
	s_load_b32 s16, s[16:17], 0x0
.LBB104_2:
	s_and_not1_b32 vcc_lo, exec_lo, s2
	s_cbranch_vccnz .LBB104_4
; %bb.3:
	s_load_b32 s12, s[12:13], 0x0
.LBB104_4:
	s_waitcnt lgkmcnt(0)
	v_cmp_neq_f32_e64 s2, s16, 0
	v_cmp_neq_f32_e64 s3, s12, 1.0
	s_mov_b32 s4, 0
	s_delay_alu instid0(VALU_DEP_1) | instskip(NEXT) | instid1(SALU_CYCLE_1)
	s_or_b32 s2, s2, s3
	s_and_not1_b32 vcc_lo, exec_lo, s2
	s_cbranch_vccnz .LBB104_10
; %bb.5:
	s_load_b64 s[2:3], s[0:1], 0x20
	v_lshrrev_b32_e32 v1, 6, v0
	v_mov_b32_e32 v2, 0
	s_delay_alu instid0(VALU_DEP_2)
	v_lshl_or_b32 v1, s15, 1, v1
	s_waitcnt lgkmcnt(0)
	s_cmp_lg_u64 s[2:3], 0
	s_cbranch_scc0 .LBB104_11
; %bb.6:
	s_mov_b32 s5, 0
	s_mov_b32 s6, exec_lo
                                        ; implicit-def: $vgpr3_vgpr4
	v_cmpx_gt_i64_e64 s[18:19], v[1:2]
	s_xor_b32 s6, exec_lo, s6
                                        ; implicit-def: $sgpr14_sgpr15
	s_cbranch_execz .LBB104_8
; %bb.7:
	v_lshlrev_b64 v[3:4], 3, v[1:2]
	s_mov_b32 s4, exec_lo
	s_mov_b32 s15, 0
	s_delay_alu instid0(VALU_DEP_1) | instskip(NEXT) | instid1(VALU_DEP_2)
	v_add_co_u32 v3, vcc_lo, s2, v3
	v_add_co_ci_u32_e32 v4, vcc_lo, s3, v4, vcc_lo
	global_load_b64 v[3:4], v[3:4], off
	s_waitcnt vmcnt(0)
	v_sub_co_u32 v3, vcc_lo, v3, s20
	v_subrev_co_ci_u32_e32 v4, vcc_lo, 0, v4, vcc_lo
.LBB104_8:
	s_or_b32 exec_lo, exec_lo, s6
	s_delay_alu instid0(SALU_CYCLE_1)
	s_and_b32 vcc_lo, exec_lo, s5
	s_cbranch_vccnz .LBB104_12
.LBB104_9:
	s_and_saveexec_b32 s2, s4
	s_cbranch_execnz .LBB104_15
.LBB104_10:
	s_nop 0
	s_sendmsg sendmsg(MSG_DEALLOC_VGPRS)
	s_endpgm
.LBB104_11:
                                        ; implicit-def: $vgpr3_vgpr4
                                        ; implicit-def: $sgpr14_sgpr15
	s_cbranch_execz .LBB104_9
.LBB104_12:
	s_load_b64 s[2:3], s[0:1], 0x0
                                        ; implicit-def: $vgpr3_vgpr4
	s_waitcnt lgkmcnt(0)
	v_cmp_gt_i64_e32 vcc_lo, s[2:3], v[1:2]
	s_and_saveexec_b32 s2, vcc_lo
                                        ; implicit-def: $sgpr14_sgpr15
; %bb.13:
	v_dual_mov_b32 v4, v2 :: v_dual_mov_b32 v3, v1
	s_mov_b32 s15, 0
	s_or_b32 s4, s4, exec_lo
; %bb.14:
	s_or_b32 exec_lo, exec_lo, s2
	s_and_saveexec_b32 s2, s4
	s_cbranch_execz .LBB104_10
.LBB104_15:
	s_load_b256 s[4:11], s[0:1], 0x28
	v_lshlrev_b64 v[1:2], 3, v[3:4]
	s_load_b32 s3, s[0:1], 0x8
	v_mov_b32_e32 v21, 0
	s_waitcnt lgkmcnt(0)
	s_delay_alu instid0(VALU_DEP_2) | instskip(NEXT) | instid1(VALU_DEP_3)
	v_add_co_u32 v5, vcc_lo, s4, v1
	v_add_co_ci_u32_e32 v6, vcc_lo, s5, v2, vcc_lo
	v_add_co_u32 v1, vcc_lo, s6, v1
	v_add_co_ci_u32_e32 v2, vcc_lo, s7, v2, vcc_lo
	s_delay_alu instid0(VALU_DEP_4)
	v_add_co_u32 v7, vcc_lo, v5, 8
	global_load_b64 v[9:10], v[5:6], off
	v_add_co_ci_u32_e32 v8, vcc_lo, 0, v6, vcc_lo
	s_cmp_eq_u64 s[6:7], 0
	s_load_b64 s[4:5], s[0:1], 0x48
	s_cselect_b32 vcc_lo, -1, 0
	s_cmp_eq_u32 s3, 1
	v_dual_cndmask_b32 v2, v2, v8 :: v_dual_cndmask_b32 v1, v1, v7
	global_load_b64 v[5:6], v[1:2], off
	v_and_b32_e32 v2, 63, v0
	s_waitcnt vmcnt(1)
	v_sub_co_u32 v0, vcc_lo, v9, s20
	v_subrev_co_ci_u32_e32 v1, vcc_lo, s15, v10, vcc_lo
	s_delay_alu instid0(VALU_DEP_2) | instskip(NEXT) | instid1(VALU_DEP_2)
	v_add_co_u32 v0, vcc_lo, v0, v2
	v_add_co_ci_u32_e32 v1, vcc_lo, 0, v1, vcc_lo
	s_delay_alu instid0(VALU_DEP_1) | instskip(SKIP_3) | instid1(VALU_DEP_3)
	v_lshlrev_b64 v[7:8], 5, v[0:1]
	s_waitcnt vmcnt(0)
	v_sub_co_u32 v5, vcc_lo, v5, s20
	v_subrev_co_ci_u32_e32 v6, vcc_lo, s15, v6, vcc_lo
	v_add_co_u32 v7, vcc_lo, s10, v7
	s_delay_alu instid0(VALU_DEP_2)
	v_cmp_lt_i64_e64 s2, v[0:1], v[5:6]
	v_add_co_ci_u32_e32 v8, vcc_lo, s11, v8, vcc_lo
	s_cbranch_scc1 .LBB104_27
; %bb.16:
	v_dual_mov_b32 v23, 0 :: v_dual_mov_b32 v24, 0
	v_mov_b32_e32 v22, 0
	s_mov_b32 s6, 0
	s_and_saveexec_b32 s7, s2
	s_cbranch_execz .LBB104_26
; %bb.17:
	v_or_b32_e32 v11, 64, v2
	v_not_b32_e32 v14, v9
	v_not_b32_e32 v13, v10
	v_mov_b32_e32 v23, 0
	v_mov_b32_e32 v21, 0
	v_sub_co_u32 v11, s3, v11, s20
	s_delay_alu instid0(VALU_DEP_1) | instskip(SKIP_1) | instid1(VALU_DEP_3)
	v_sub_co_ci_u32_e64 v12, null, 0, s15, s3
	v_sub_co_u32 v15, s3, s20, v2
	v_add_co_u32 v11, vcc_lo, v11, v9
	s_delay_alu instid0(VALU_DEP_3) | instskip(SKIP_2) | instid1(VALU_DEP_2)
	v_add_co_ci_u32_e32 v12, vcc_lo, v12, v10, vcc_lo
	v_sub_co_ci_u32_e64 v16, null, s15, 0, s3
	s_mov_b32 s3, exec_lo
	v_cmp_gt_i64_e32 vcc_lo, v[11:12], v[5:6]
	v_mov_b32_e32 v22, 0
	v_mov_b32_e32 v24, 0
	v_dual_cndmask_b32 v12, v6, v12 :: v_dual_cndmask_b32 v11, v5, v11
	v_add_co_u32 v14, vcc_lo, v15, v14
	v_add_co_ci_u32_e32 v13, vcc_lo, v16, v13, vcc_lo
	s_delay_alu instid0(VALU_DEP_2) | instskip(NEXT) | instid1(VALU_DEP_2)
	v_add_co_u32 v15, vcc_lo, v14, v11
	v_add_co_ci_u32_e32 v16, vcc_lo, v13, v12, vcc_lo
	v_mov_b32_e32 v14, v8
	s_delay_alu instid0(VALU_DEP_3) | instskip(SKIP_1) | instid1(VALU_DEP_2)
	v_lshrrev_b32_e32 v11, 6, v15
	v_mov_b32_e32 v13, v7
	v_add_nc_u32_e32 v11, 1, v11
	s_delay_alu instid0(VALU_DEP_1) | instskip(SKIP_1) | instid1(VALU_DEP_2)
	v_dual_mov_b32 v12, v1 :: v_dual_and_b32 v17, 3, v11
	v_mov_b32_e32 v11, v0
	v_cmpx_ne_u32_e32 0, v17
	s_cbranch_execz .LBB104_21
; %bb.18:
	v_lshlrev_b64 v[11:12], 3, v[0:1]
	v_dual_mov_b32 v18, 0 :: v_dual_lshlrev_b32 v17, 2, v17
	v_dual_mov_b32 v14, v8 :: v_dual_mov_b32 v13, v7
	s_mov_b32 s10, 0
	s_delay_alu instid0(VALU_DEP_3) | instskip(NEXT) | instid1(VALU_DEP_4)
	v_add_co_u32 v19, vcc_lo, s8, v11
	v_add_co_ci_u32_e32 v20, vcc_lo, s9, v12, vcc_lo
	v_dual_mov_b32 v12, v1 :: v_dual_mov_b32 v11, v0
	v_mov_b32_e32 v21, v18
	v_mov_b32_e32 v23, v18
	;; [unrolled: 1-line block ×4, first 2 shown]
.LBB104_19:                             ; =>This Inner Loop Header: Depth=1
	global_load_b64 v[33:34], v[19:20], off
	s_clause 0x1
	global_load_b128 v[25:28], v[13:14], off
	global_load_b128 v[29:32], v[13:14], off offset:16
	s_waitcnt vmcnt(2)
	v_sub_co_u32 v33, vcc_lo, v33, s20
	v_subrev_co_ci_u32_e32 v34, vcc_lo, s15, v34, vcc_lo
	s_delay_alu instid0(VALU_DEP_1) | instskip(SKIP_1) | instid1(VALU_DEP_1)
	v_lshlrev_b64 v[33:34], 3, v[33:34]
	s_waitcnt lgkmcnt(0)
	v_add_co_u32 v33, vcc_lo, s4, v33
	s_delay_alu instid0(VALU_DEP_2)
	v_add_co_ci_u32_e32 v34, vcc_lo, s5, v34, vcc_lo
	v_add_co_u32 v13, vcc_lo, 0x800, v13
	v_add_co_ci_u32_e32 v14, vcc_lo, 0, v14, vcc_lo
	global_load_b64 v[33:34], v[33:34], off
	v_add_co_u32 v11, vcc_lo, v11, 64
	v_add_co_ci_u32_e32 v12, vcc_lo, 0, v12, vcc_lo
	v_add_co_u32 v19, vcc_lo, 0x200, v19
	v_add_co_ci_u32_e32 v20, vcc_lo, 0, v20, vcc_lo
	v_add_co_u32 v17, vcc_lo, v17, -4
	v_add_co_ci_u32_e32 v18, vcc_lo, -1, v18, vcc_lo
	s_delay_alu instid0(VALU_DEP_1)
	v_cmp_eq_u64_e32 vcc_lo, 0, v[17:18]
	s_or_b32 s10, vcc_lo, s10
	s_waitcnt vmcnt(0)
	v_fma_mix_f32 v22, v25, v33, v22 op_sel_hi:[1,1,0]
	v_fma_mix_f32 v24, v27, v33, v24 op_sel_hi:[1,1,0]
	;; [unrolled: 1-line block ×4, first 2 shown]
	s_delay_alu instid0(VALU_DEP_4) | instskip(NEXT) | instid1(VALU_DEP_4)
	v_fma_mix_f32 v22, v25, v33, v22 op_sel:[1,1,0] op_sel_hi:[1,1,0]
	v_fma_mix_f32 v24, v27, v33, v24 op_sel:[1,1,0] op_sel_hi:[1,1,0]
	s_delay_alu instid0(VALU_DEP_4) | instskip(NEXT) | instid1(VALU_DEP_4)
	v_fma_mix_f32 v23, v29, v33, v23 op_sel:[1,1,0] op_sel_hi:[1,1,0]
	v_fma_mix_f32 v21, v31, v33, v21 op_sel:[1,1,0] op_sel_hi:[1,1,0]
	s_delay_alu instid0(VALU_DEP_4) | instskip(NEXT) | instid1(VALU_DEP_4)
	v_fma_mix_f32 v22, v26, v34, v22 op_sel_hi:[1,1,0]
	v_fma_mix_f32 v24, v28, v34, v24 op_sel_hi:[1,1,0]
	s_delay_alu instid0(VALU_DEP_4) | instskip(NEXT) | instid1(VALU_DEP_4)
	v_fma_mix_f32 v23, v30, v34, v23 op_sel_hi:[1,1,0]
	v_fma_mix_f32 v21, v32, v34, v21 op_sel_hi:[1,1,0]
	s_delay_alu instid0(VALU_DEP_4) | instskip(NEXT) | instid1(VALU_DEP_4)
	v_fma_mix_f32 v22, v26, v34, v22 op_sel:[1,1,0] op_sel_hi:[1,1,0]
	v_fma_mix_f32 v24, v28, v34, v24 op_sel:[1,1,0] op_sel_hi:[1,1,0]
	s_delay_alu instid0(VALU_DEP_4) | instskip(NEXT) | instid1(VALU_DEP_4)
	v_fma_mix_f32 v23, v30, v34, v23 op_sel:[1,1,0] op_sel_hi:[1,1,0]
	v_fma_mix_f32 v21, v32, v34, v21 op_sel:[1,1,0] op_sel_hi:[1,1,0]
	s_and_not1_b32 exec_lo, exec_lo, s10
	s_cbranch_execnz .LBB104_19
; %bb.20:
	s_or_b32 exec_lo, exec_lo, s10
.LBB104_21:
	s_delay_alu instid0(SALU_CYCLE_1) | instskip(NEXT) | instid1(SALU_CYCLE_1)
	s_or_b32 exec_lo, exec_lo, s3
	s_mov_b32 s10, exec_lo
	v_cmpx_lt_u64_e32 0xbf, v[15:16]
	s_cbranch_execz .LBB104_25
; %bb.22:
	v_lshlrev_b64 v[15:16], 3, v[11:12]
	s_mov_b32 s11, 0
	s_delay_alu instid0(VALU_DEP_1) | instskip(NEXT) | instid1(VALU_DEP_2)
	v_add_co_u32 v15, vcc_lo, v15, s8
	v_add_co_ci_u32_e32 v16, vcc_lo, s9, v16, vcc_lo
	s_delay_alu instid0(VALU_DEP_2) | instskip(NEXT) | instid1(VALU_DEP_2)
	v_add_co_u32 v15, vcc_lo, 0x400, v15
	v_add_co_ci_u32_e32 v16, vcc_lo, 0, v16, vcc_lo
.LBB104_23:                             ; =>This Inner Loop Header: Depth=1
	s_clause 0x3
	global_load_b64 v[53:54], v[15:16], off offset:-1024
	global_load_b64 v[55:56], v[15:16], off offset:-512
	global_load_b64 v[57:58], v[15:16], off
	global_load_b64 v[59:60], v[15:16], off offset:512
	v_add_co_u32 v49, vcc_lo, 0x1000, v13
	v_add_co_ci_u32_e32 v50, vcc_lo, 0, v14, vcc_lo
	s_clause 0x7
	global_load_b128 v[17:20], v[13:14], off
	global_load_b128 v[25:28], v[13:14], off offset:16
	global_load_b128 v[29:32], v[13:14], off offset:2048
	global_load_b128 v[33:36], v[13:14], off offset:2064
	global_load_b128 v[37:40], v[49:50], off
	global_load_b128 v[41:44], v[49:50], off offset:16
	global_load_b128 v[45:48], v[49:50], off offset:2048
	;; [unrolled: 1-line block ×3, first 2 shown]
	s_waitcnt vmcnt(11)
	v_sub_co_u32 v53, vcc_lo, v53, s20
	v_subrev_co_ci_u32_e32 v54, vcc_lo, s15, v54, vcc_lo
	s_waitcnt vmcnt(10)
	v_sub_co_u32 v55, vcc_lo, v55, s20
	v_subrev_co_ci_u32_e32 v56, vcc_lo, s15, v56, vcc_lo
	s_delay_alu instid0(VALU_DEP_3) | instskip(SKIP_2) | instid1(VALU_DEP_3)
	v_lshlrev_b64 v[53:54], 3, v[53:54]
	s_waitcnt vmcnt(9)
	v_sub_co_u32 v57, vcc_lo, v57, s20
	v_lshlrev_b64 v[55:56], 3, v[55:56]
	v_subrev_co_ci_u32_e32 v58, vcc_lo, s15, v58, vcc_lo
	s_waitcnt lgkmcnt(0)
	v_add_co_u32 v53, s3, s4, v53
	s_delay_alu instid0(VALU_DEP_1) | instskip(NEXT) | instid1(VALU_DEP_4)
	v_add_co_ci_u32_e64 v54, s3, s5, v54, s3
	v_add_co_u32 v55, vcc_lo, s4, v55
	v_add_co_ci_u32_e32 v56, vcc_lo, s5, v56, vcc_lo
	global_load_b64 v[53:54], v[53:54], off
	v_lshlrev_b64 v[57:58], 3, v[57:58]
	s_waitcnt vmcnt(9)
	v_sub_co_u32 v59, vcc_lo, v59, s20
	global_load_b64 v[55:56], v[55:56], off
	v_subrev_co_ci_u32_e32 v60, vcc_lo, s15, v60, vcc_lo
	v_add_co_u32 v57, s3, s4, v57
	s_delay_alu instid0(VALU_DEP_1) | instskip(NEXT) | instid1(VALU_DEP_3)
	v_add_co_ci_u32_e64 v58, s3, s5, v58, s3
	v_lshlrev_b64 v[59:60], 3, v[59:60]
	global_load_b64 v[57:58], v[57:58], off
	v_add_co_u32 v59, vcc_lo, s4, v59
	v_add_co_ci_u32_e32 v60, vcc_lo, s5, v60, vcc_lo
	v_add_co_u32 v11, vcc_lo, 0x100, v11
	v_add_co_ci_u32_e32 v12, vcc_lo, 0, v12, vcc_lo
	global_load_b64 v[59:60], v[59:60], off
	v_add_co_u32 v15, vcc_lo, 0x800, v15
	v_add_co_ci_u32_e32 v16, vcc_lo, 0, v16, vcc_lo
	v_add_co_u32 v13, vcc_lo, 0x2000, v13
	v_add_co_ci_u32_e32 v14, vcc_lo, 0, v14, vcc_lo
	v_cmp_ge_i64_e32 vcc_lo, v[11:12], v[5:6]
	s_or_b32 s11, vcc_lo, s11
	s_waitcnt vmcnt(3)
	v_fma_mix_f32 v22, v17, v53, v22 op_sel_hi:[1,1,0]
	v_fma_mix_f32 v24, v19, v53, v24 op_sel_hi:[1,1,0]
	v_fma_mix_f32 v23, v25, v53, v23 op_sel_hi:[1,1,0]
	v_fma_mix_f32 v21, v27, v53, v21 op_sel_hi:[1,1,0]
	s_delay_alu instid0(VALU_DEP_4) | instskip(NEXT) | instid1(VALU_DEP_4)
	v_fma_mix_f32 v17, v17, v53, v22 op_sel:[1,1,0] op_sel_hi:[1,1,0]
	v_fma_mix_f32 v19, v19, v53, v24 op_sel:[1,1,0] op_sel_hi:[1,1,0]
	s_delay_alu instid0(VALU_DEP_4) | instskip(NEXT) | instid1(VALU_DEP_4)
	v_fma_mix_f32 v22, v25, v53, v23 op_sel:[1,1,0] op_sel_hi:[1,1,0]
	v_fma_mix_f32 v21, v27, v53, v21 op_sel:[1,1,0] op_sel_hi:[1,1,0]
	s_delay_alu instid0(VALU_DEP_4) | instskip(NEXT) | instid1(VALU_DEP_4)
	v_fma_mix_f32 v17, v18, v54, v17 op_sel_hi:[1,1,0]
	v_fma_mix_f32 v19, v20, v54, v19 op_sel_hi:[1,1,0]
	s_delay_alu instid0(VALU_DEP_4) | instskip(NEXT) | instid1(VALU_DEP_4)
	v_fma_mix_f32 v22, v26, v54, v22 op_sel_hi:[1,1,0]
	v_fma_mix_f32 v21, v28, v54, v21 op_sel_hi:[1,1,0]
	s_delay_alu instid0(VALU_DEP_4) | instskip(NEXT) | instid1(VALU_DEP_4)
	v_fma_mix_f32 v17, v18, v54, v17 op_sel:[1,1,0] op_sel_hi:[1,1,0]
	v_fma_mix_f32 v18, v20, v54, v19 op_sel:[1,1,0] op_sel_hi:[1,1,0]
	s_delay_alu instid0(VALU_DEP_4) | instskip(NEXT) | instid1(VALU_DEP_4)
	v_fma_mix_f32 v19, v26, v54, v22 op_sel:[1,1,0] op_sel_hi:[1,1,0]
	v_fma_mix_f32 v20, v28, v54, v21 op_sel:[1,1,0] op_sel_hi:[1,1,0]
	s_waitcnt vmcnt(2)
	v_fma_mix_f32 v17, v29, v55, v17 op_sel_hi:[1,1,0]
	v_fma_mix_f32 v18, v31, v55, v18 op_sel_hi:[1,1,0]
	v_fma_mix_f32 v19, v33, v55, v19 op_sel_hi:[1,1,0]
	v_fma_mix_f32 v20, v35, v55, v20 op_sel_hi:[1,1,0]
	s_delay_alu instid0(VALU_DEP_4) | instskip(NEXT) | instid1(VALU_DEP_4)
	v_fma_mix_f32 v17, v29, v55, v17 op_sel:[1,1,0] op_sel_hi:[1,1,0]
	v_fma_mix_f32 v18, v31, v55, v18 op_sel:[1,1,0] op_sel_hi:[1,1,0]
	s_delay_alu instid0(VALU_DEP_4) | instskip(NEXT) | instid1(VALU_DEP_4)
	v_fma_mix_f32 v19, v33, v55, v19 op_sel:[1,1,0] op_sel_hi:[1,1,0]
	v_fma_mix_f32 v20, v35, v55, v20 op_sel:[1,1,0] op_sel_hi:[1,1,0]
	s_delay_alu instid0(VALU_DEP_4) | instskip(NEXT) | instid1(VALU_DEP_4)
	v_fma_mix_f32 v17, v30, v56, v17 op_sel_hi:[1,1,0]
	v_fma_mix_f32 v18, v32, v56, v18 op_sel_hi:[1,1,0]
	s_delay_alu instid0(VALU_DEP_4) | instskip(NEXT) | instid1(VALU_DEP_4)
	v_fma_mix_f32 v19, v34, v56, v19 op_sel_hi:[1,1,0]
	v_fma_mix_f32 v20, v36, v56, v20 op_sel_hi:[1,1,0]
	s_delay_alu instid0(VALU_DEP_4) | instskip(NEXT) | instid1(VALU_DEP_4)
	v_fma_mix_f32 v17, v30, v56, v17 op_sel:[1,1,0] op_sel_hi:[1,1,0]
	v_fma_mix_f32 v18, v32, v56, v18 op_sel:[1,1,0] op_sel_hi:[1,1,0]
	s_delay_alu instid0(VALU_DEP_4) | instskip(NEXT) | instid1(VALU_DEP_4)
	v_fma_mix_f32 v19, v34, v56, v19 op_sel:[1,1,0] op_sel_hi:[1,1,0]
	v_fma_mix_f32 v20, v36, v56, v20 op_sel:[1,1,0] op_sel_hi:[1,1,0]
	;; [unrolled: 23-line block ×4, first 2 shown]
	s_and_not1_b32 exec_lo, exec_lo, s11
	s_cbranch_execnz .LBB104_23
; %bb.24:
	s_or_b32 exec_lo, exec_lo, s11
.LBB104_25:
	s_delay_alu instid0(SALU_CYCLE_1)
	s_or_b32 exec_lo, exec_lo, s10
.LBB104_26:
	s_delay_alu instid0(SALU_CYCLE_1) | instskip(NEXT) | instid1(SALU_CYCLE_1)
	s_or_b32 exec_lo, exec_lo, s7
	s_and_not1_b32 vcc_lo, exec_lo, s6
	s_cbranch_vccz .LBB104_28
	s_branch .LBB104_39
.LBB104_27:
                                        ; implicit-def: $vgpr21
                                        ; implicit-def: $vgpr23
                                        ; implicit-def: $vgpr24
                                        ; implicit-def: $vgpr22
.LBB104_28:
	v_dual_mov_b32 v21, 0 :: v_dual_mov_b32 v24, 0
	v_dual_mov_b32 v23, 0 :: v_dual_mov_b32 v22, 0
	s_delay_alu instid0(VALU_DEP_4)
	s_and_saveexec_b32 s3, s2
	s_cbranch_execz .LBB104_38
; %bb.29:
	v_or_b32_e32 v11, 64, v2
	v_mov_b32_e32 v23, 0
	v_dual_mov_b32 v21, 0 :: v_dual_mov_b32 v22, 0
	v_mov_b32_e32 v24, 0
	s_delay_alu instid0(VALU_DEP_4) | instskip(NEXT) | instid1(VALU_DEP_1)
	v_sub_co_u32 v11, s2, v11, s20
	v_sub_co_ci_u32_e64 v12, null, 0, s15, s2
	v_sub_co_u32 v13, s2, s20, v2
	s_delay_alu instid0(VALU_DEP_3) | instskip(NEXT) | instid1(VALU_DEP_3)
	v_add_co_u32 v11, vcc_lo, v11, v9
	v_add_co_ci_u32_e32 v12, vcc_lo, v12, v10, vcc_lo
	v_not_b32_e32 v9, v9
	v_not_b32_e32 v10, v10
	v_sub_co_ci_u32_e64 v14, null, s15, 0, s2
	s_delay_alu instid0(VALU_DEP_4) | instskip(SKIP_4) | instid1(VALU_DEP_2)
	v_cmp_gt_i64_e32 vcc_lo, v[11:12], v[5:6]
	s_mov_b32 s2, exec_lo
	v_dual_cndmask_b32 v12, v6, v12 :: v_dual_cndmask_b32 v11, v5, v11
	v_add_co_u32 v9, vcc_lo, v13, v9
	v_add_co_ci_u32_e32 v10, vcc_lo, v14, v10, vcc_lo
	v_add_co_u32 v9, vcc_lo, v9, v11
	s_delay_alu instid0(VALU_DEP_2) | instskip(NEXT) | instid1(VALU_DEP_2)
	v_add_co_ci_u32_e32 v10, vcc_lo, v10, v12, vcc_lo
	v_lshrrev_b32_e32 v11, 6, v9
	s_delay_alu instid0(VALU_DEP_1) | instskip(NEXT) | instid1(VALU_DEP_1)
	v_add_nc_u32_e32 v11, 1, v11
	v_and_b32_e32 v11, 3, v11
	s_delay_alu instid0(VALU_DEP_1)
	v_cmpx_ne_u32_e32 0, v11
	s_cbranch_execz .LBB104_33
; %bb.30:
	v_lshlrev_b64 v[13:14], 3, v[0:1]
	v_dual_mov_b32 v12, 0 :: v_dual_lshlrev_b32 v11, 2, v11
	s_mov_b32 s6, 0
	s_delay_alu instid0(VALU_DEP_1) | instskip(NEXT) | instid1(VALU_DEP_3)
	v_mov_b32_e32 v21, v12
	v_add_co_u32 v13, vcc_lo, s8, v13
	s_delay_alu instid0(VALU_DEP_4)
	v_add_co_ci_u32_e32 v14, vcc_lo, s9, v14, vcc_lo
	v_mov_b32_e32 v23, v12
	v_mov_b32_e32 v24, v12
	;; [unrolled: 1-line block ×3, first 2 shown]
.LBB104_31:                             ; =>This Inner Loop Header: Depth=1
	global_load_b64 v[19:20], v[13:14], off
	global_load_b128 v[15:18], v[7:8], off
	s_waitcnt vmcnt(1)
	v_sub_co_u32 v19, vcc_lo, v19, s20
	v_subrev_co_ci_u32_e32 v20, vcc_lo, s15, v20, vcc_lo
	s_delay_alu instid0(VALU_DEP_1) | instskip(SKIP_1) | instid1(VALU_DEP_1)
	v_lshlrev_b64 v[19:20], 3, v[19:20]
	s_waitcnt lgkmcnt(0)
	v_add_co_u32 v19, vcc_lo, s4, v19
	s_delay_alu instid0(VALU_DEP_2)
	v_add_co_ci_u32_e32 v20, vcc_lo, s5, v20, vcc_lo
	global_load_b64 v[19:20], v[19:20], off
	global_load_b128 v[25:28], v[7:8], off offset:16
	v_add_co_u32 v7, vcc_lo, 0x800, v7
	v_add_co_ci_u32_e32 v8, vcc_lo, 0, v8, vcc_lo
	v_add_co_u32 v0, vcc_lo, v0, 64
	v_add_co_ci_u32_e32 v1, vcc_lo, 0, v1, vcc_lo
	;; [unrolled: 2-line block ×3, first 2 shown]
	v_add_co_u32 v11, vcc_lo, v11, -4
	v_add_co_ci_u32_e32 v12, vcc_lo, -1, v12, vcc_lo
	s_delay_alu instid0(VALU_DEP_1)
	v_cmp_eq_u64_e32 vcc_lo, 0, v[11:12]
	s_or_b32 s6, vcc_lo, s6
	s_waitcnt vmcnt(1)
	v_fma_mix_f32 v22, v15, v19, v22 op_sel_hi:[1,1,0]
	v_fma_mix_f32 v15, v15, v19, v24 op_sel:[1,0,0] op_sel_hi:[1,1,0]
	v_fma_mix_f32 v23, v16, v19, v23 op_sel_hi:[1,1,0]
	v_fma_mix_f32 v16, v16, v19, v21 op_sel:[1,0,0] op_sel_hi:[1,1,0]
	s_delay_alu instid0(VALU_DEP_4) | instskip(NEXT) | instid1(VALU_DEP_4)
	v_fma_mix_f32 v21, v17, v19, v22 op_sel:[0,1,0] op_sel_hi:[1,1,0]
	v_fma_mix_f32 v15, v17, v19, v15 op_sel:[1,1,0] op_sel_hi:[1,1,0]
	s_delay_alu instid0(VALU_DEP_4) | instskip(NEXT) | instid1(VALU_DEP_4)
	v_fma_mix_f32 v17, v18, v19, v23 op_sel:[0,1,0] op_sel_hi:[1,1,0]
	v_fma_mix_f32 v16, v18, v19, v16 op_sel:[1,1,0] op_sel_hi:[1,1,0]
	s_waitcnt vmcnt(0)
	v_fma_mix_f32 v18, v25, v20, v21 op_sel_hi:[1,1,0]
	v_fma_mix_f32 v15, v25, v20, v15 op_sel:[1,0,0] op_sel_hi:[1,1,0]
	v_fma_mix_f32 v17, v26, v20, v17 op_sel_hi:[1,1,0]
	v_fma_mix_f32 v16, v26, v20, v16 op_sel:[1,0,0] op_sel_hi:[1,1,0]
	s_delay_alu instid0(VALU_DEP_4) | instskip(NEXT) | instid1(VALU_DEP_4)
	v_fma_mix_f32 v22, v27, v20, v18 op_sel:[0,1,0] op_sel_hi:[1,1,0]
	v_fma_mix_f32 v24, v27, v20, v15 op_sel:[1,1,0] op_sel_hi:[1,1,0]
	s_delay_alu instid0(VALU_DEP_4) | instskip(NEXT) | instid1(VALU_DEP_4)
	v_fma_mix_f32 v23, v28, v20, v17 op_sel:[0,1,0] op_sel_hi:[1,1,0]
	v_fma_mix_f32 v21, v28, v20, v16 op_sel:[1,1,0] op_sel_hi:[1,1,0]
	s_and_not1_b32 exec_lo, exec_lo, s6
	s_cbranch_execnz .LBB104_31
; %bb.32:
	s_or_b32 exec_lo, exec_lo, s6
.LBB104_33:
	s_delay_alu instid0(SALU_CYCLE_1) | instskip(NEXT) | instid1(SALU_CYCLE_1)
	s_or_b32 exec_lo, exec_lo, s2
	s_mov_b32 s6, exec_lo
	v_cmpx_lt_u64_e32 0xbf, v[9:10]
	s_cbranch_execz .LBB104_37
; %bb.34:
	v_lshlrev_b64 v[9:10], 3, v[0:1]
	s_mov_b32 s7, 0
	s_delay_alu instid0(VALU_DEP_1) | instskip(NEXT) | instid1(VALU_DEP_2)
	v_add_co_u32 v9, vcc_lo, v9, s8
	v_add_co_ci_u32_e32 v10, vcc_lo, s9, v10, vcc_lo
	s_delay_alu instid0(VALU_DEP_2) | instskip(NEXT) | instid1(VALU_DEP_2)
	v_add_co_u32 v9, vcc_lo, 0x400, v9
	v_add_co_ci_u32_e32 v10, vcc_lo, 0, v10, vcc_lo
.LBB104_35:                             ; =>This Inner Loop Header: Depth=1
	s_clause 0x3
	global_load_b64 v[19:20], v[9:10], off offset:-1024
	global_load_b64 v[45:46], v[9:10], off offset:-512
	global_load_b64 v[47:48], v[9:10], off
	global_load_b64 v[49:50], v[9:10], off offset:512
	v_add_co_u32 v51, vcc_lo, 0x1000, v7
	v_add_co_ci_u32_e32 v52, vcc_lo, 0, v8, vcc_lo
	s_clause 0x6
	global_load_b128 v[11:14], v[7:8], off
	global_load_b128 v[15:18], v[7:8], off offset:16
	global_load_b128 v[25:28], v[7:8], off offset:2048
	;; [unrolled: 1-line block ×3, first 2 shown]
	global_load_b128 v[33:36], v[51:52], off
	global_load_b128 v[37:40], v[51:52], off offset:16
	global_load_b128 v[41:44], v[51:52], off offset:2048
	s_waitcnt vmcnt(10)
	v_sub_co_u32 v19, vcc_lo, v19, s20
	v_subrev_co_ci_u32_e32 v20, vcc_lo, s15, v20, vcc_lo
	s_waitcnt vmcnt(9)
	v_sub_co_u32 v45, vcc_lo, v45, s20
	v_subrev_co_ci_u32_e32 v46, vcc_lo, s15, v46, vcc_lo
	s_delay_alu instid0(VALU_DEP_3) | instskip(SKIP_2) | instid1(VALU_DEP_3)
	v_lshlrev_b64 v[19:20], 3, v[19:20]
	s_waitcnt vmcnt(8)
	v_sub_co_u32 v47, vcc_lo, v47, s20
	v_lshlrev_b64 v[45:46], 3, v[45:46]
	v_subrev_co_ci_u32_e32 v48, vcc_lo, s15, v48, vcc_lo
	s_waitcnt lgkmcnt(0)
	v_add_co_u32 v19, s2, s4, v19
	s_delay_alu instid0(VALU_DEP_1) | instskip(NEXT) | instid1(VALU_DEP_4)
	v_add_co_ci_u32_e64 v20, s2, s5, v20, s2
	v_add_co_u32 v45, vcc_lo, s4, v45
	v_add_co_ci_u32_e32 v46, vcc_lo, s5, v46, vcc_lo
	s_clause 0x1
	global_load_b64 v[19:20], v[19:20], off
	global_load_b64 v[53:54], v[45:46], off
	v_lshlrev_b64 v[46:47], 3, v[47:48]
	s_waitcnt vmcnt(9)
	v_sub_co_u32 v45, vcc_lo, v49, s20
	s_delay_alu instid0(VALU_DEP_2) | instskip(NEXT) | instid1(VALU_DEP_1)
	v_add_co_u32 v46, s2, s4, v46
	v_add_co_ci_u32_e64 v47, s2, s5, v47, s2
	global_load_b64 v[55:56], v[46:47], off
	v_subrev_co_ci_u32_e32 v46, vcc_lo, s15, v50, vcc_lo
	s_delay_alu instid0(VALU_DEP_1) | instskip(NEXT) | instid1(VALU_DEP_1)
	v_lshlrev_b64 v[45:46], 3, v[45:46]
	v_add_co_u32 v45, vcc_lo, s4, v45
	s_delay_alu instid0(VALU_DEP_2)
	v_add_co_ci_u32_e32 v46, vcc_lo, s5, v46, vcc_lo
	global_load_b64 v[49:50], v[45:46], off
	global_load_b128 v[45:48], v[51:52], off offset:2064
	v_add_co_u32 v0, vcc_lo, 0x100, v0
	v_add_co_ci_u32_e32 v1, vcc_lo, 0, v1, vcc_lo
	v_add_co_u32 v9, vcc_lo, 0x800, v9
	v_add_co_ci_u32_e32 v10, vcc_lo, 0, v10, vcc_lo
	;; [unrolled: 2-line block ×3, first 2 shown]
	v_cmp_ge_i64_e32 vcc_lo, v[0:1], v[5:6]
	s_or_b32 s7, vcc_lo, s7
	s_waitcnt vmcnt(4)
	v_fma_mix_f32 v22, v11, v19, v22 op_sel_hi:[1,1,0]
	v_fma_mix_f32 v11, v11, v19, v24 op_sel:[1,0,0] op_sel_hi:[1,1,0]
	v_fma_mix_f32 v23, v12, v19, v23 op_sel_hi:[1,1,0]
	v_fma_mix_f32 v12, v12, v19, v21 op_sel:[1,0,0] op_sel_hi:[1,1,0]
	s_delay_alu instid0(VALU_DEP_4) | instskip(NEXT) | instid1(VALU_DEP_4)
	v_fma_mix_f32 v21, v13, v19, v22 op_sel:[0,1,0] op_sel_hi:[1,1,0]
	v_fma_mix_f32 v11, v13, v19, v11 op_sel:[1,1,0] op_sel_hi:[1,1,0]
	s_delay_alu instid0(VALU_DEP_4) | instskip(NEXT) | instid1(VALU_DEP_4)
	v_fma_mix_f32 v13, v14, v19, v23 op_sel:[0,1,0] op_sel_hi:[1,1,0]
	v_fma_mix_f32 v12, v14, v19, v12 op_sel:[1,1,0] op_sel_hi:[1,1,0]
	s_delay_alu instid0(VALU_DEP_4) | instskip(NEXT) | instid1(VALU_DEP_4)
	v_fma_mix_f32 v14, v15, v20, v21 op_sel_hi:[1,1,0]
	v_fma_mix_f32 v11, v15, v20, v11 op_sel:[1,0,0] op_sel_hi:[1,1,0]
	s_delay_alu instid0(VALU_DEP_4) | instskip(NEXT) | instid1(VALU_DEP_4)
	v_fma_mix_f32 v13, v16, v20, v13 op_sel_hi:[1,1,0]
	v_fma_mix_f32 v12, v16, v20, v12 op_sel:[1,0,0] op_sel_hi:[1,1,0]
	s_delay_alu instid0(VALU_DEP_4) | instskip(NEXT) | instid1(VALU_DEP_4)
	v_fma_mix_f32 v14, v17, v20, v14 op_sel:[0,1,0] op_sel_hi:[1,1,0]
	v_fma_mix_f32 v11, v17, v20, v11 op_sel:[1,1,0] op_sel_hi:[1,1,0]
	s_delay_alu instid0(VALU_DEP_4) | instskip(NEXT) | instid1(VALU_DEP_4)
	v_fma_mix_f32 v13, v18, v20, v13 op_sel:[0,1,0] op_sel_hi:[1,1,0]
	v_fma_mix_f32 v12, v18, v20, v12 op_sel:[1,1,0] op_sel_hi:[1,1,0]
	s_waitcnt vmcnt(3)
	v_fma_mix_f32 v14, v25, v53, v14 op_sel_hi:[1,1,0]
	v_fma_mix_f32 v11, v25, v53, v11 op_sel:[1,0,0] op_sel_hi:[1,1,0]
	v_fma_mix_f32 v13, v26, v53, v13 op_sel_hi:[1,1,0]
	v_fma_mix_f32 v12, v26, v53, v12 op_sel:[1,0,0] op_sel_hi:[1,1,0]
	s_delay_alu instid0(VALU_DEP_4) | instskip(NEXT) | instid1(VALU_DEP_4)
	v_fma_mix_f32 v14, v27, v53, v14 op_sel:[0,1,0] op_sel_hi:[1,1,0]
	v_fma_mix_f32 v11, v27, v53, v11 op_sel:[1,1,0] op_sel_hi:[1,1,0]
	s_delay_alu instid0(VALU_DEP_4) | instskip(NEXT) | instid1(VALU_DEP_4)
	v_fma_mix_f32 v13, v28, v53, v13 op_sel:[0,1,0] op_sel_hi:[1,1,0]
	v_fma_mix_f32 v12, v28, v53, v12 op_sel:[1,1,0] op_sel_hi:[1,1,0]
	s_delay_alu instid0(VALU_DEP_4) | instskip(NEXT) | instid1(VALU_DEP_4)
	v_fma_mix_f32 v14, v29, v54, v14 op_sel_hi:[1,1,0]
	v_fma_mix_f32 v11, v29, v54, v11 op_sel:[1,0,0] op_sel_hi:[1,1,0]
	s_delay_alu instid0(VALU_DEP_4) | instskip(NEXT) | instid1(VALU_DEP_4)
	v_fma_mix_f32 v13, v30, v54, v13 op_sel_hi:[1,1,0]
	v_fma_mix_f32 v12, v30, v54, v12 op_sel:[1,0,0] op_sel_hi:[1,1,0]
	s_delay_alu instid0(VALU_DEP_4) | instskip(NEXT) | instid1(VALU_DEP_4)
	v_fma_mix_f32 v14, v31, v54, v14 op_sel:[0,1,0] op_sel_hi:[1,1,0]
	v_fma_mix_f32 v11, v31, v54, v11 op_sel:[1,1,0] op_sel_hi:[1,1,0]
	s_delay_alu instid0(VALU_DEP_4) | instskip(NEXT) | instid1(VALU_DEP_4)
	v_fma_mix_f32 v13, v32, v54, v13 op_sel:[0,1,0] op_sel_hi:[1,1,0]
	v_fma_mix_f32 v12, v32, v54, v12 op_sel:[1,1,0] op_sel_hi:[1,1,0]
	;; [unrolled: 23-line block ×3, first 2 shown]
	s_waitcnt vmcnt(1)
	v_fma_mix_f32 v14, v41, v49, v14 op_sel_hi:[1,1,0]
	v_fma_mix_f32 v11, v41, v49, v11 op_sel:[1,0,0] op_sel_hi:[1,1,0]
	v_fma_mix_f32 v13, v42, v49, v13 op_sel_hi:[1,1,0]
	v_fma_mix_f32 v12, v42, v49, v12 op_sel:[1,0,0] op_sel_hi:[1,1,0]
	s_delay_alu instid0(VALU_DEP_4) | instskip(NEXT) | instid1(VALU_DEP_4)
	v_fma_mix_f32 v14, v43, v49, v14 op_sel:[0,1,0] op_sel_hi:[1,1,0]
	v_fma_mix_f32 v11, v43, v49, v11 op_sel:[1,1,0] op_sel_hi:[1,1,0]
	s_delay_alu instid0(VALU_DEP_4) | instskip(NEXT) | instid1(VALU_DEP_4)
	v_fma_mix_f32 v13, v44, v49, v13 op_sel:[0,1,0] op_sel_hi:[1,1,0]
	v_fma_mix_f32 v12, v44, v49, v12 op_sel:[1,1,0] op_sel_hi:[1,1,0]
	s_waitcnt vmcnt(0)
	v_fma_mix_f32 v14, v45, v50, v14 op_sel_hi:[1,1,0]
	v_fma_mix_f32 v11, v45, v50, v11 op_sel:[1,0,0] op_sel_hi:[1,1,0]
	v_fma_mix_f32 v13, v46, v50, v13 op_sel_hi:[1,1,0]
	v_fma_mix_f32 v12, v46, v50, v12 op_sel:[1,0,0] op_sel_hi:[1,1,0]
	s_delay_alu instid0(VALU_DEP_4) | instskip(NEXT) | instid1(VALU_DEP_4)
	v_fma_mix_f32 v22, v47, v50, v14 op_sel:[0,1,0] op_sel_hi:[1,1,0]
	v_fma_mix_f32 v24, v47, v50, v11 op_sel:[1,1,0] op_sel_hi:[1,1,0]
	s_delay_alu instid0(VALU_DEP_4) | instskip(NEXT) | instid1(VALU_DEP_4)
	v_fma_mix_f32 v23, v48, v50, v13 op_sel:[0,1,0] op_sel_hi:[1,1,0]
	v_fma_mix_f32 v21, v48, v50, v12 op_sel:[1,1,0] op_sel_hi:[1,1,0]
	s_and_not1_b32 exec_lo, exec_lo, s7
	s_cbranch_execnz .LBB104_35
; %bb.36:
	s_or_b32 exec_lo, exec_lo, s7
.LBB104_37:
	s_delay_alu instid0(SALU_CYCLE_1)
	s_or_b32 exec_lo, exec_lo, s6
.LBB104_38:
	s_delay_alu instid0(SALU_CYCLE_1)
	s_or_b32 exec_lo, exec_lo, s3
.LBB104_39:
	v_mbcnt_lo_u32_b32 v0, -1, 0
	s_mov_b32 s2, -1
	s_delay_alu instid0(VALU_DEP_1) | instskip(SKIP_2) | instid1(VALU_DEP_3)
	v_or_b32_e32 v1, 32, v0
	v_xor_b32_e32 v8, 16, v0
	v_xor_b32_e32 v12, 8, v0
	v_cmp_gt_i32_e32 vcc_lo, 32, v1
	v_cndmask_b32_e32 v1, v0, v1, vcc_lo
	s_delay_alu instid0(VALU_DEP_4) | instskip(SKIP_2) | instid1(VALU_DEP_2)
	v_cmp_gt_i32_e32 vcc_lo, 32, v8
	v_cndmask_b32_e32 v8, v0, v8, vcc_lo
	v_cmp_gt_i32_e32 vcc_lo, 32, v12
	v_lshlrev_b32_e32 v8, 2, v8
	v_dual_cndmask_b32 v12, v0, v12 :: v_dual_lshlrev_b32 v1, 2, v1
	ds_bpermute_b32 v6, v1, v24
	v_lshlrev_b32_e32 v12, 2, v12
	s_waitcnt lgkmcnt(0)
	v_add_f32_e32 v6, v24, v6
	ds_bpermute_b32 v5, v1, v22
	ds_bpermute_b32 v7, v1, v23
	;; [unrolled: 1-line block ×4, first 2 shown]
	s_waitcnt lgkmcnt(3)
	v_add_f32_e32 v5, v22, v5
	s_waitcnt lgkmcnt(2)
	v_add_f32_e32 v7, v23, v7
	s_waitcnt lgkmcnt(0)
	v_dual_add_f32 v1, v21, v1 :: v_dual_add_f32 v6, v6, v10
	ds_bpermute_b32 v9, v8, v5
	ds_bpermute_b32 v11, v8, v7
	;; [unrolled: 1-line block ×3, first 2 shown]
	s_waitcnt lgkmcnt(2)
	v_add_f32_e32 v5, v5, v9
	s_waitcnt lgkmcnt(1)
	v_add_f32_e32 v7, v7, v11
	ds_bpermute_b32 v9, v12, v6
	s_waitcnt lgkmcnt(1)
	v_add_f32_e32 v1, v1, v8
	ds_bpermute_b32 v8, v12, v5
	ds_bpermute_b32 v10, v12, v7
	s_waitcnt lgkmcnt(2)
	v_add_f32_e32 v6, v6, v9
	ds_bpermute_b32 v11, v12, v1
	v_xor_b32_e32 v12, 4, v0
	s_delay_alu instid0(VALU_DEP_1) | instskip(SKIP_3) | instid1(VALU_DEP_1)
	v_cmp_gt_i32_e32 vcc_lo, 32, v12
	s_waitcnt lgkmcnt(1)
	v_dual_cndmask_b32 v12, v0, v12 :: v_dual_add_f32 v7, v7, v10
	s_waitcnt lgkmcnt(0)
	v_dual_add_f32 v1, v1, v11 :: v_dual_lshlrev_b32 v12, 2, v12
	ds_bpermute_b32 v9, v12, v6
	v_add_f32_e32 v5, v5, v8
	ds_bpermute_b32 v10, v12, v7
	ds_bpermute_b32 v11, v12, v1
	s_waitcnt lgkmcnt(2)
	v_add_f32_e32 v6, v6, v9
	ds_bpermute_b32 v8, v12, v5
	v_xor_b32_e32 v12, 2, v0
	s_waitcnt lgkmcnt(2)
	v_add_f32_e32 v7, v7, v10
	s_delay_alu instid0(VALU_DEP_2) | instskip(SKIP_1) | instid1(VALU_DEP_1)
	v_cmp_gt_i32_e32 vcc_lo, 32, v12
	v_cndmask_b32_e32 v12, v0, v12, vcc_lo
	v_lshlrev_b32_e32 v12, 2, v12
	s_waitcnt lgkmcnt(0)
	v_add_f32_e32 v5, v5, v8
	ds_bpermute_b32 v9, v12, v6
	v_add_f32_e32 v8, v1, v11
	ds_bpermute_b32 v10, v12, v7
	ds_bpermute_b32 v1, v12, v5
	;; [unrolled: 1-line block ×3, first 2 shown]
	v_xor_b32_e32 v12, 1, v0
	s_delay_alu instid0(VALU_DEP_1) | instskip(SKIP_2) | instid1(VALU_DEP_2)
	v_cmp_gt_i32_e32 vcc_lo, 32, v12
	v_cndmask_b32_e32 v0, v0, v12, vcc_lo
	v_cmp_eq_u32_e32 vcc_lo, 63, v2
	v_lshlrev_b32_e32 v12, 2, v0
	s_waitcnt lgkmcnt(1)
	v_dual_add_f32 v0, v5, v1 :: v_dual_add_f32 v5, v7, v10
	s_waitcnt lgkmcnt(0)
	v_dual_add_f32 v1, v6, v9 :: v_dual_add_f32 v6, v8, v11
	ds_bpermute_b32 v7, v12, v0
	ds_bpermute_b32 v9, v12, v5
	;; [unrolled: 1-line block ×4, first 2 shown]
	s_and_b32 exec_lo, exec_lo, vcc_lo
	s_cbranch_execz .LBB104_10
; %bb.40:
	s_load_b64 s[0:1], s[0:1], 0x58
	s_waitcnt lgkmcnt(0)
	v_dual_add_f32 v0, v0, v7 :: v_dual_add_f32 v1, v1, v8
	v_add_f32_e32 v6, v6, v10
	v_cmp_eq_f32_e64 s3, s12, 0
	s_delay_alu instid0(VALU_DEP_3) | instskip(SKIP_4) | instid1(VALU_DEP_3)
	v_dual_mul_f32 v0, s16, v0 :: v_dual_mul_f32 v1, s16, v1
	v_add_f32_e32 v2, v5, v9
	v_lshlrev_b64 v[4:5], 4, v[3:4]
	v_mul_f32_e32 v3, s16, v6
	s_and_b32 vcc_lo, exec_lo, s3
	v_mul_f32_e32 v2, s16, v2
	s_cbranch_vccz .LBB104_42
; %bb.41:
	s_delay_alu instid0(VALU_DEP_3)
	v_add_co_u32 v6, vcc_lo, s0, v4
	v_add_co_ci_u32_e32 v7, vcc_lo, s1, v5, vcc_lo
	s_mov_b32 s2, 0
	global_store_b128 v[6:7], v[0:3], off
.LBB104_42:
	s_and_not1_b32 vcc_lo, exec_lo, s2
	s_cbranch_vccnz .LBB104_10
; %bb.43:
	v_add_co_u32 v8, vcc_lo, s0, v4
	v_add_co_ci_u32_e32 v9, vcc_lo, s1, v5, vcc_lo
	global_load_b128 v[4:7], v[8:9], off
	s_waitcnt vmcnt(0)
	v_dual_fmac_f32 v0, s12, v4 :: v_dual_fmac_f32 v1, s12, v5
	v_dual_fmac_f32 v2, s12, v6 :: v_dual_fmac_f32 v3, s12, v7
	global_store_b128 v[8:9], v[0:3], off
	s_nop 0
	s_sendmsg sendmsg(MSG_DEALLOC_VGPRS)
	s_endpgm
	.section	.rodata,"a",@progbits
	.p2align	6, 0x0
	.amdhsa_kernel _ZN9rocsparseL18bsrxmvn_4x4_kernelILj128ELj64EfllDF16_DF16_fEEvT3_20rocsparse_direction_NS_24const_host_device_scalarIT1_EES1_PKS1_PKT2_SA_S7_PKT4_PKT5_S5_PT6_21rocsparse_index_base_b
		.amdhsa_group_segment_fixed_size 0
		.amdhsa_private_segment_fixed_size 0
		.amdhsa_kernarg_size 104
		.amdhsa_user_sgpr_count 15
		.amdhsa_user_sgpr_dispatch_ptr 0
		.amdhsa_user_sgpr_queue_ptr 0
		.amdhsa_user_sgpr_kernarg_segment_ptr 1
		.amdhsa_user_sgpr_dispatch_id 0
		.amdhsa_user_sgpr_private_segment_size 0
		.amdhsa_wavefront_size32 1
		.amdhsa_uses_dynamic_stack 0
		.amdhsa_enable_private_segment 0
		.amdhsa_system_sgpr_workgroup_id_x 1
		.amdhsa_system_sgpr_workgroup_id_y 0
		.amdhsa_system_sgpr_workgroup_id_z 0
		.amdhsa_system_sgpr_workgroup_info 0
		.amdhsa_system_vgpr_workitem_id 0
		.amdhsa_next_free_vgpr 61
		.amdhsa_next_free_sgpr 22
		.amdhsa_reserve_vcc 1
		.amdhsa_float_round_mode_32 0
		.amdhsa_float_round_mode_16_64 0
		.amdhsa_float_denorm_mode_32 3
		.amdhsa_float_denorm_mode_16_64 3
		.amdhsa_dx10_clamp 1
		.amdhsa_ieee_mode 1
		.amdhsa_fp16_overflow 0
		.amdhsa_workgroup_processor_mode 1
		.amdhsa_memory_ordered 1
		.amdhsa_forward_progress 0
		.amdhsa_shared_vgpr_count 0
		.amdhsa_exception_fp_ieee_invalid_op 0
		.amdhsa_exception_fp_denorm_src 0
		.amdhsa_exception_fp_ieee_div_zero 0
		.amdhsa_exception_fp_ieee_overflow 0
		.amdhsa_exception_fp_ieee_underflow 0
		.amdhsa_exception_fp_ieee_inexact 0
		.amdhsa_exception_int_div_zero 0
	.end_amdhsa_kernel
	.section	.text._ZN9rocsparseL18bsrxmvn_4x4_kernelILj128ELj64EfllDF16_DF16_fEEvT3_20rocsparse_direction_NS_24const_host_device_scalarIT1_EES1_PKS1_PKT2_SA_S7_PKT4_PKT5_S5_PT6_21rocsparse_index_base_b,"axG",@progbits,_ZN9rocsparseL18bsrxmvn_4x4_kernelILj128ELj64EfllDF16_DF16_fEEvT3_20rocsparse_direction_NS_24const_host_device_scalarIT1_EES1_PKS1_PKT2_SA_S7_PKT4_PKT5_S5_PT6_21rocsparse_index_base_b,comdat
.Lfunc_end104:
	.size	_ZN9rocsparseL18bsrxmvn_4x4_kernelILj128ELj64EfllDF16_DF16_fEEvT3_20rocsparse_direction_NS_24const_host_device_scalarIT1_EES1_PKS1_PKT2_SA_S7_PKT4_PKT5_S5_PT6_21rocsparse_index_base_b, .Lfunc_end104-_ZN9rocsparseL18bsrxmvn_4x4_kernelILj128ELj64EfllDF16_DF16_fEEvT3_20rocsparse_direction_NS_24const_host_device_scalarIT1_EES1_PKS1_PKT2_SA_S7_PKT4_PKT5_S5_PT6_21rocsparse_index_base_b
                                        ; -- End function
	.section	.AMDGPU.csdata,"",@progbits
; Kernel info:
; codeLenInByte = 4532
; NumSgprs: 24
; NumVgprs: 61
; ScratchSize: 0
; MemoryBound: 0
; FloatMode: 240
; IeeeMode: 1
; LDSByteSize: 0 bytes/workgroup (compile time only)
; SGPRBlocks: 2
; VGPRBlocks: 7
; NumSGPRsForWavesPerEU: 24
; NumVGPRsForWavesPerEU: 61
; Occupancy: 16
; WaveLimiterHint : 1
; COMPUTE_PGM_RSRC2:SCRATCH_EN: 0
; COMPUTE_PGM_RSRC2:USER_SGPR: 15
; COMPUTE_PGM_RSRC2:TRAP_HANDLER: 0
; COMPUTE_PGM_RSRC2:TGID_X_EN: 1
; COMPUTE_PGM_RSRC2:TGID_Y_EN: 0
; COMPUTE_PGM_RSRC2:TGID_Z_EN: 0
; COMPUTE_PGM_RSRC2:TIDIG_COMP_CNT: 0
	.section	.text._ZN9rocsparseL18bsrxmvn_4x4_kernelILj128ELj4Efii18rocsparse_bfloat16S1_fEEvT3_20rocsparse_direction_NS_24const_host_device_scalarIT1_EES2_PKS2_PKT2_SB_S8_PKT4_PKT5_S6_PT6_21rocsparse_index_base_b,"axG",@progbits,_ZN9rocsparseL18bsrxmvn_4x4_kernelILj128ELj4Efii18rocsparse_bfloat16S1_fEEvT3_20rocsparse_direction_NS_24const_host_device_scalarIT1_EES2_PKS2_PKT2_SB_S8_PKT4_PKT5_S6_PT6_21rocsparse_index_base_b,comdat
	.globl	_ZN9rocsparseL18bsrxmvn_4x4_kernelILj128ELj4Efii18rocsparse_bfloat16S1_fEEvT3_20rocsparse_direction_NS_24const_host_device_scalarIT1_EES2_PKS2_PKT2_SB_S8_PKT4_PKT5_S6_PT6_21rocsparse_index_base_b ; -- Begin function _ZN9rocsparseL18bsrxmvn_4x4_kernelILj128ELj4Efii18rocsparse_bfloat16S1_fEEvT3_20rocsparse_direction_NS_24const_host_device_scalarIT1_EES2_PKS2_PKT2_SB_S8_PKT4_PKT5_S6_PT6_21rocsparse_index_base_b
	.p2align	8
	.type	_ZN9rocsparseL18bsrxmvn_4x4_kernelILj128ELj4Efii18rocsparse_bfloat16S1_fEEvT3_20rocsparse_direction_NS_24const_host_device_scalarIT1_EES2_PKS2_PKT2_SB_S8_PKT4_PKT5_S6_PT6_21rocsparse_index_base_b,@function
_ZN9rocsparseL18bsrxmvn_4x4_kernelILj128ELj4Efii18rocsparse_bfloat16S1_fEEvT3_20rocsparse_direction_NS_24const_host_device_scalarIT1_EES2_PKS2_PKT2_SB_S8_PKT4_PKT5_S6_PT6_21rocsparse_index_base_b: ; @_ZN9rocsparseL18bsrxmvn_4x4_kernelILj128ELj4Efii18rocsparse_bfloat16S1_fEEvT3_20rocsparse_direction_NS_24const_host_device_scalarIT1_EES2_PKS2_PKT2_SB_S8_PKT4_PKT5_S6_PT6_21rocsparse_index_base_b
; %bb.0:
	s_clause 0x2
	s_load_b64 s[18:19], s[0:1], 0x58
	s_load_b64 s[16:17], s[0:1], 0x8
	;; [unrolled: 1-line block ×3, first 2 shown]
	s_waitcnt lgkmcnt(0)
	s_bitcmp1_b32 s19, 0
	s_cselect_b32 s2, -1, 0
	s_delay_alu instid0(SALU_CYCLE_1)
	s_and_b32 vcc_lo, exec_lo, s2
	s_xor_b32 s2, s2, -1
	s_cbranch_vccnz .LBB105_2
; %bb.1:
	s_load_b32 s16, s[16:17], 0x0
.LBB105_2:
	s_and_not1_b32 vcc_lo, exec_lo, s2
	s_cbranch_vccnz .LBB105_4
; %bb.3:
	s_load_b32 s12, s[12:13], 0x0
.LBB105_4:
	s_waitcnt lgkmcnt(0)
	v_cmp_neq_f32_e64 s2, s16, 0
	v_cmp_neq_f32_e64 s3, s12, 1.0
	s_mov_b32 s6, 0
	s_delay_alu instid0(VALU_DEP_1) | instskip(NEXT) | instid1(SALU_CYCLE_1)
	s_or_b32 s2, s2, s3
	s_and_not1_b32 vcc_lo, exec_lo, s2
	s_cbranch_vccnz .LBB105_10
; %bb.5:
	s_clause 0x1
	s_load_b64 s[4:5], s[0:1], 0x18
	s_load_b64 s[2:3], s[0:1], 0x0
	v_lshrrev_b32_e32 v1, 2, v0
	s_delay_alu instid0(VALU_DEP_1)
	v_lshl_or_b32 v4, s15, 5, v1
	s_waitcnt lgkmcnt(0)
	s_cmp_lg_u64 s[4:5], 0
	s_cbranch_scc0 .LBB105_11
; %bb.6:
	s_load_b32 s6, s[0:1], 0x10
	s_mov_b32 s7, 0
                                        ; implicit-def: $vgpr1
	s_waitcnt lgkmcnt(0)
	v_cmp_gt_i32_e32 vcc_lo, s6, v4
	s_mov_b32 s6, 0
	s_and_saveexec_b32 s8, vcc_lo
	s_delay_alu instid0(SALU_CYCLE_1)
	s_xor_b32 s8, exec_lo, s8
	s_cbranch_execz .LBB105_8
; %bb.7:
	v_ashrrev_i32_e32 v5, 31, v4
	s_mov_b32 s6, exec_lo
	s_delay_alu instid0(VALU_DEP_1) | instskip(NEXT) | instid1(VALU_DEP_1)
	v_lshlrev_b64 v[1:2], 2, v[4:5]
	v_add_co_u32 v1, vcc_lo, s4, v1
	s_delay_alu instid0(VALU_DEP_2)
	v_add_co_ci_u32_e32 v2, vcc_lo, s5, v2, vcc_lo
	global_load_b32 v1, v[1:2], off
	s_waitcnt vmcnt(0)
	v_subrev_nc_u32_e32 v1, s18, v1
.LBB105_8:
	s_or_b32 exec_lo, exec_lo, s8
	s_delay_alu instid0(SALU_CYCLE_1)
	s_and_b32 vcc_lo, exec_lo, s7
	s_cbranch_vccz .LBB105_12
.LBB105_9:
	v_cmp_gt_i32_e32 vcc_lo, s2, v4
	s_and_not1_b32 s2, s6, exec_lo
	s_and_b32 s4, vcc_lo, exec_lo
	s_delay_alu instid0(SALU_CYCLE_1) | instskip(NEXT) | instid1(SALU_CYCLE_1)
	s_or_b32 s6, s2, s4
	s_and_saveexec_b32 s2, s6
	s_cbranch_execnz .LBB105_13
.LBB105_10:
	s_nop 0
	s_sendmsg sendmsg(MSG_DEALLOC_VGPRS)
	s_endpgm
.LBB105_11:
                                        ; implicit-def: $vgpr1
	s_cbranch_execnz .LBB105_9
.LBB105_12:
	s_delay_alu instid0(VALU_DEP_1)
	v_mov_b32_e32 v4, v1
	s_and_saveexec_b32 s2, s6
	s_cbranch_execz .LBB105_10
.LBB105_13:
	s_load_b256 s[4:11], s[0:1], 0x20
	s_delay_alu instid0(VALU_DEP_1) | instskip(SKIP_1) | instid1(VALU_DEP_2)
	v_ashrrev_i32_e32 v5, 31, v4
	v_and_b32_e32 v9, 3, v0
	v_lshlrev_b64 v[1:2], 2, v[4:5]
	s_waitcnt lgkmcnt(0)
	s_delay_alu instid0(VALU_DEP_1) | instskip(NEXT) | instid1(VALU_DEP_2)
	v_add_co_u32 v5, vcc_lo, s4, v1
	v_add_co_ci_u32_e32 v6, vcc_lo, s5, v2, vcc_lo
	v_add_co_u32 v1, vcc_lo, s6, v1
	v_add_co_ci_u32_e32 v2, vcc_lo, s7, v2, vcc_lo
	global_load_b32 v15, v[5:6], off
	v_add_co_u32 v3, vcc_lo, v5, 4
	v_add_co_ci_u32_e32 v5, vcc_lo, 0, v6, vcc_lo
	s_cmp_eq_u64 s[6:7], 0
	s_load_b64 s[4:5], s[0:1], 0x40
	s_cselect_b32 vcc_lo, -1, 0
	s_cmp_eq_u32 s3, 1
	v_dual_cndmask_b32 v2, v2, v5 :: v_dual_cndmask_b32 v1, v1, v3
	global_load_b32 v5, v[1:2], off
	s_waitcnt vmcnt(1)
	v_subrev_nc_u32_e32 v0, s18, v15
	s_delay_alu instid0(VALU_DEP_1) | instskip(NEXT) | instid1(VALU_DEP_1)
	v_add_nc_u32_e32 v0, v0, v9
	v_ashrrev_i32_e32 v1, 31, v0
	s_waitcnt vmcnt(0)
	v_subrev_nc_u32_e32 v10, s18, v5
	s_delay_alu instid0(VALU_DEP_2) | instskip(NEXT) | instid1(VALU_DEP_2)
	v_lshlrev_b64 v[2:3], 5, v[0:1]
	v_cmp_lt_i32_e64 s2, v0, v10
	s_delay_alu instid0(VALU_DEP_2) | instskip(NEXT) | instid1(VALU_DEP_3)
	v_add_co_u32 v2, vcc_lo, s10, v2
	v_add_co_ci_u32_e32 v3, vcc_lo, s11, v3, vcc_lo
	s_cbranch_scc1 .LBB105_25
; %bb.14:
	v_dual_mov_b32 v11, 0 :: v_dual_mov_b32 v14, 0
	v_dual_mov_b32 v13, 0 :: v_dual_mov_b32 v12, 0
	s_mov_b32 s3, 0
	s_and_saveexec_b32 s6, s2
	s_cbranch_execz .LBB105_24
; %bb.15:
	v_dual_mov_b32 v12, 0 :: v_dual_add_nc_u32 v1, v15, v9
	v_not_b32_e32 v5, v15
	v_mov_b32_e32 v11, 0
	s_mov_b32 s10, 0
	s_delay_alu instid0(VALU_DEP_3) | instskip(SKIP_3) | instid1(VALU_DEP_3)
	v_subrev_nc_u32_e32 v1, s18, v1
	s_mov_b32 s7, exec_lo
	v_mov_b32_e32 v14, 0
	v_dual_mov_b32 v8, v3 :: v_dual_mov_b32 v7, v2
	v_add_nc_u32_e32 v1, 4, v1
	v_mov_b32_e32 v13, 0
	s_delay_alu instid0(VALU_DEP_2) | instskip(NEXT) | instid1(VALU_DEP_1)
	v_max_i32_e32 v1, v1, v10
	v_add3_u32 v1, v1, s18, v5
	s_delay_alu instid0(VALU_DEP_1) | instskip(NEXT) | instid1(VALU_DEP_1)
	v_sub_nc_u32_e32 v1, v1, v9
	v_lshrrev_b32_e32 v5, 2, v1
	s_delay_alu instid0(VALU_DEP_1) | instskip(NEXT) | instid1(VALU_DEP_1)
	v_add_nc_u32_e32 v5, 1, v5
	v_dual_mov_b32 v5, v0 :: v_dual_and_b32 v6, 3, v5
	s_delay_alu instid0(VALU_DEP_1)
	v_cmpx_ne_u32_e32 0, v6
	s_cbranch_execz .LBB105_19
; %bb.16:
	v_dual_mov_b32 v11, 0 :: v_dual_lshlrev_b32 v16, 5, v6
	v_dual_mov_b32 v8, v3 :: v_dual_mov_b32 v7, v2
	v_dual_mov_b32 v5, v0 :: v_dual_mov_b32 v14, 0
	;; [unrolled: 1-line block ×3, first 2 shown]
.LBB105_17:                             ; =>This Inner Loop Header: Depth=1
	s_delay_alu instid0(VALU_DEP_2) | instskip(SKIP_1) | instid1(VALU_DEP_2)
	v_ashrrev_i32_e32 v6, 31, v5
	v_subrev_nc_u32_e32 v16, 32, v16
	v_lshlrev_b64 v[17:18], 2, v[5:6]
	s_delay_alu instid0(VALU_DEP_1) | instskip(NEXT) | instid1(VALU_DEP_2)
	v_add_co_u32 v17, vcc_lo, s8, v17
	v_add_co_ci_u32_e32 v18, vcc_lo, s9, v18, vcc_lo
	global_load_b32 v6, v[17:18], off
	global_load_b128 v[17:20], v[7:8], off
	s_waitcnt vmcnt(1)
	v_subrev_nc_u32_e32 v6, s18, v6
	s_delay_alu instid0(VALU_DEP_1) | instskip(NEXT) | instid1(VALU_DEP_1)
	v_lshlrev_b32_e32 v21, 2, v6
	v_ashrrev_i32_e32 v22, 31, v21
	s_delay_alu instid0(VALU_DEP_1) | instskip(SKIP_1) | instid1(VALU_DEP_1)
	v_lshlrev_b64 v[21:22], 1, v[21:22]
	s_waitcnt lgkmcnt(0)
	v_add_co_u32 v25, vcc_lo, s4, v21
	s_delay_alu instid0(VALU_DEP_2)
	v_add_co_ci_u32_e32 v26, vcc_lo, s5, v22, vcc_lo
	global_load_b128 v[21:24], v[7:8], off offset:16
	global_load_b64 v[25:26], v[25:26], off
	v_add_co_u32 v7, vcc_lo, 0x80, v7
	v_add_co_ci_u32_e32 v8, vcc_lo, 0, v8, vcc_lo
	v_cmp_eq_u32_e32 vcc_lo, 0, v16
	s_or_b32 s10, vcc_lo, s10
	s_waitcnt vmcnt(1)
	v_lshlrev_b32_e32 v31, 16, v22
	v_lshlrev_b32_e32 v30, 16, v21
	s_waitcnt vmcnt(0)
	v_lshlrev_b32_e32 v34, 16, v25
	v_lshlrev_b32_e32 v6, 16, v17
	;; [unrolled: 1-line block ×3, first 2 shown]
	v_and_b32_e32 v25, 0xffff0000, v25
	s_delay_alu instid0(VALU_DEP_4) | instskip(NEXT) | instid1(VALU_DEP_4)
	v_fmac_f32_e32 v13, v30, v34
	v_dual_fmac_f32 v12, v6, v34 :: v_dual_add_nc_u32 v5, 4, v5
	v_lshlrev_b32_e32 v6, 16, v26
	v_lshlrev_b32_e32 v32, 16, v23
	;; [unrolled: 1-line block ×3, first 2 shown]
	v_and_b32_e32 v23, 0xffff0000, v23
	s_delay_alu instid0(VALU_DEP_3) | instskip(NEXT) | instid1(VALU_DEP_3)
	v_fmac_f32_e32 v11, v32, v34
	v_dual_fmac_f32 v14, v28, v34 :: v_dual_and_b32 v17, 0xffff0000, v17
	s_delay_alu instid0(VALU_DEP_2) | instskip(NEXT) | instid1(VALU_DEP_2)
	v_fmac_f32_e32 v11, v23, v25
	v_dual_fmac_f32 v12, v17, v25 :: v_dual_and_b32 v19, 0xffff0000, v19
	v_lshlrev_b32_e32 v27, 16, v18
	v_and_b32_e32 v17, 0xffff0000, v26
	s_delay_alu instid0(VALU_DEP_3) | instskip(SKIP_2) | instid1(VALU_DEP_2)
	v_dual_fmac_f32 v11, v33, v6 :: v_dual_fmac_f32 v14, v19, v25
	v_and_b32_e32 v21, 0xffff0000, v21
	v_and_b32_e32 v18, 0xffff0000, v18
	v_dual_fmac_f32 v12, v27, v6 :: v_dual_fmac_f32 v13, v21, v25
	s_delay_alu instid0(VALU_DEP_1) | instskip(SKIP_1) | instid1(VALU_DEP_2)
	v_dual_fmac_f32 v12, v18, v17 :: v_dual_lshlrev_b32 v29, 16, v20
	v_and_b32_e32 v20, 0xffff0000, v20
	v_fmac_f32_e32 v14, v29, v6
	s_delay_alu instid0(VALU_DEP_1) | instskip(SKIP_1) | instid1(VALU_DEP_1)
	v_dual_fmac_f32 v14, v20, v17 :: v_dual_fmac_f32 v13, v31, v6
	v_and_b32_e32 v24, 0xffff0000, v24
	v_dual_fmac_f32 v11, v24, v17 :: v_dual_and_b32 v22, 0xffff0000, v22
	s_delay_alu instid0(VALU_DEP_1)
	v_fmac_f32_e32 v13, v22, v17
	s_and_not1_b32 exec_lo, exec_lo, s10
	s_cbranch_execnz .LBB105_17
; %bb.18:
	s_or_b32 exec_lo, exec_lo, s10
.LBB105_19:
	s_delay_alu instid0(SALU_CYCLE_1) | instskip(NEXT) | instid1(SALU_CYCLE_1)
	s_or_b32 exec_lo, exec_lo, s7
	s_mov_b32 s7, exec_lo
	v_cmpx_lt_u32_e32 11, v1
	s_cbranch_execz .LBB105_23
; %bb.20:
	s_mov_b32 s10, 0
.LBB105_21:                             ; =>This Inner Loop Header: Depth=1
	v_ashrrev_i32_e32 v6, 31, v5
	s_delay_alu instid0(VALU_DEP_1) | instskip(NEXT) | instid1(VALU_DEP_1)
	v_lshlrev_b64 v[16:17], 2, v[5:6]
	v_add_co_u32 v16, vcc_lo, s8, v16
	s_delay_alu instid0(VALU_DEP_2)
	v_add_co_ci_u32_e32 v17, vcc_lo, s9, v17, vcc_lo
	s_clause 0x3
	global_load_b32 v1, v[16:17], off
	global_load_b32 v6, v[16:17], off offset:16
	global_load_b32 v48, v[16:17], off offset:32
	;; [unrolled: 1-line block ×3, first 2 shown]
	s_clause 0x7
	global_load_b128 v[16:19], v[7:8], off
	global_load_b128 v[20:23], v[7:8], off offset:16
	global_load_b128 v[24:27], v[7:8], off offset:128
	;; [unrolled: 1-line block ×7, first 2 shown]
	s_waitcnt vmcnt(11)
	v_subrev_nc_u32_e32 v1, s18, v1
	s_waitcnt vmcnt(10)
	v_subrev_nc_u32_e32 v6, s18, v6
	;; [unrolled: 2-line block ×4, first 2 shown]
	s_waitcnt vmcnt(6)
	v_lshlrev_b32_e32 v61, 16, v23
	v_lshlrev_b32_e32 v59, 16, v21
	s_waitcnt vmcnt(4)
	v_lshlrev_b32_e32 v67, 16, v29
	v_and_b32_e32 v29, 0xffff0000, v29
	v_lshlrev_b32_e32 v66, 16, v28
	v_lshlrev_b32_e32 v69, 16, v31
	s_waitcnt vmcnt(2)
	v_lshlrev_b32_e32 v75, 16, v37
	v_and_b32_e32 v37, 0xffff0000, v37
	v_lshlrev_b32_e32 v74, 16, v36
	v_lshlrev_b32_e32 v77, 16, v39
	s_waitcnt vmcnt(0)
	v_lshlrev_b32_e32 v83, 16, v45
	v_and_b32_e32 v45, 0xffff0000, v45
	v_lshlrev_b32_e32 v82, 16, v44
	v_lshlrev_b32_e32 v85, 16, v47
	v_and_b32_e32 v47, 0xffff0000, v47
	v_and_b32_e32 v44, 0xffff0000, v44
	v_lshlrev_b32_e32 v78, 16, v40
	v_and_b32_e32 v39, 0xffff0000, v39
	v_and_b32_e32 v36, 0xffff0000, v36
	v_lshlrev_b32_e32 v70, 16, v32
	v_and_b32_e32 v31, 0xffff0000, v31
	v_and_b32_e32 v28, 0xffff0000, v28
	v_lshlrev_b32_e32 v62, 16, v24
	v_and_b32_e32 v23, 0xffff0000, v23
	v_lshlrev_b32_e32 v58, 16, v20
	v_lshlrev_b32_e32 v48, 2, v1
	;; [unrolled: 1-line block ×3, first 2 shown]
	v_and_b32_e32 v20, 0xffff0000, v20
	v_lshlrev_b32_e32 v50, 2, v6
	v_lshlrev_b32_e32 v60, 16, v22
	v_ashrrev_i32_e32 v49, 31, v48
	v_lshlrev_b32_e32 v52, 2, v51
	v_and_b32_e32 v22, 0xffff0000, v22
	v_ashrrev_i32_e32 v51, 31, v50
	v_lshlrev_b32_e32 v54, 2, v53
	v_lshlrev_b64 v[48:49], 1, v[48:49]
	v_ashrrev_i32_e32 v53, 31, v52
	v_lshlrev_b32_e32 v64, 16, v26
	v_lshlrev_b64 v[50:51], 1, v[50:51]
	v_ashrrev_i32_e32 v55, 31, v54
	v_and_b32_e32 v30, 0xffff0000, v30
	s_waitcnt lgkmcnt(0)
	v_add_co_u32 v48, vcc_lo, s4, v48
	v_add_co_ci_u32_e32 v49, vcc_lo, s5, v49, vcc_lo
	v_add_co_u32 v50, vcc_lo, s4, v50
	v_add_co_ci_u32_e32 v51, vcc_lo, s5, v51, vcc_lo
	global_load_b64 v[48:49], v[48:49], off
	v_lshlrev_b64 v[52:53], 1, v[52:53]
	v_lshlrev_b64 v[54:55], 1, v[54:55]
	global_load_b64 v[50:51], v[50:51], off
	v_lshlrev_b32_e32 v76, 16, v38
	v_and_b32_e32 v26, 0xffff0000, v26
	v_lshlrev_b32_e32 v72, 16, v34
	v_add_co_u32 v52, vcc_lo, s4, v52
	v_add_co_ci_u32_e32 v53, vcc_lo, s5, v53, vcc_lo
	v_add_co_u32 v54, vcc_lo, s4, v54
	v_add_co_ci_u32_e32 v55, vcc_lo, s5, v55, vcc_lo
	global_load_b64 v[52:53], v[52:53], off
	v_and_b32_e32 v38, 0xffff0000, v38
	v_lshlrev_b32_e32 v84, 16, v46
	global_load_b64 v[54:55], v[54:55], off
	v_and_b32_e32 v34, 0xffff0000, v34
	v_lshlrev_b32_e32 v80, 16, v42
	v_and_b32_e32 v46, 0xffff0000, v46
	v_and_b32_e32 v42, 0xffff0000, v42
	v_add_co_u32 v7, vcc_lo, 0x200, v7
	v_add_co_ci_u32_e32 v8, vcc_lo, 0, v8, vcc_lo
	s_waitcnt vmcnt(3)
	v_lshlrev_b32_e32 v86, 16, v48
	s_delay_alu instid0(VALU_DEP_1) | instskip(SKIP_1) | instid1(VALU_DEP_2)
	v_dual_fmac_f32 v11, v60, v86 :: v_dual_and_b32 v48, 0xffff0000, v48
	v_fmac_f32_e32 v13, v58, v86
	v_dual_fmac_f32 v11, v22, v48 :: v_dual_lshlrev_b32 v56, 16, v18
	v_lshlrev_b32_e32 v1, 16, v16
	s_delay_alu instid0(VALU_DEP_3) | instskip(NEXT) | instid1(VALU_DEP_3)
	v_fmac_f32_e32 v13, v20, v48
	v_dual_fmac_f32 v14, v56, v86 :: v_dual_add_nc_u32 v5, 16, v5
	s_delay_alu instid0(VALU_DEP_3) | instskip(SKIP_1) | instid1(VALU_DEP_3)
	v_dual_fmac_f32 v12, v1, v86 :: v_dual_lshlrev_b32 v1, 16, v49
	v_and_b32_e32 v6, 0xffff0000, v16
	v_cmp_ge_i32_e32 vcc_lo, v5, v10
	s_delay_alu instid0(VALU_DEP_3) | instskip(NEXT) | instid1(VALU_DEP_3)
	v_fmac_f32_e32 v13, v59, v1
	v_dual_fmac_f32 v12, v6, v48 :: v_dual_lshlrev_b32 v57, 16, v19
	v_and_b32_e32 v6, 0xffff0000, v49
	v_and_b32_e32 v21, 0xffff0000, v21
	v_lshlrev_b32_e32 v16, 16, v17
	s_or_b32 s10, vcc_lo, s10
	s_delay_alu instid0(VALU_DEP_2) | instskip(SKIP_3) | instid1(VALU_DEP_3)
	v_fmac_f32_e32 v13, v21, v6
	v_and_b32_e32 v18, 0xffff0000, v18
	v_and_b32_e32 v17, 0xffff0000, v17
	v_dual_fmac_f32 v12, v16, v1 :: v_dual_and_b32 v19, 0xffff0000, v19
	v_fmac_f32_e32 v14, v18, v48
	s_delay_alu instid0(VALU_DEP_2) | instskip(NEXT) | instid1(VALU_DEP_2)
	v_fmac_f32_e32 v12, v17, v6
	v_fmac_f32_e32 v14, v57, v1
	;; [unrolled: 1-line block ×3, first 2 shown]
	s_waitcnt vmcnt(2)
	v_lshlrev_b32_e32 v1, 16, v50
	s_delay_alu instid0(VALU_DEP_3) | instskip(NEXT) | instid1(VALU_DEP_2)
	v_dual_fmac_f32 v14, v19, v6 :: v_dual_lshlrev_b32 v65, 16, v27
	v_dual_fmac_f32 v12, v62, v1 :: v_dual_fmac_f32 v11, v23, v6
	v_and_b32_e32 v6, 0xffff0000, v50
	s_delay_alu instid0(VALU_DEP_3) | instskip(SKIP_1) | instid1(VALU_DEP_4)
	v_fmac_f32_e32 v14, v64, v1
	v_fmac_f32_e32 v13, v66, v1
	v_dual_fmac_f32 v11, v68, v1 :: v_dual_and_b32 v24, 0xffff0000, v24
	s_delay_alu instid0(VALU_DEP_3) | instskip(NEXT) | instid1(VALU_DEP_3)
	v_dual_fmac_f32 v14, v26, v6 :: v_dual_lshlrev_b32 v1, 16, v51
	v_fmac_f32_e32 v13, v28, v6
	s_delay_alu instid0(VALU_DEP_3) | instskip(NEXT) | instid1(VALU_DEP_4)
	v_fmac_f32_e32 v11, v30, v6
	v_dual_fmac_f32 v12, v24, v6 :: v_dual_lshlrev_b32 v63, 16, v25
	v_and_b32_e32 v25, 0xffff0000, v25
	v_and_b32_e32 v27, 0xffff0000, v27
	;; [unrolled: 1-line block ×3, first 2 shown]
	v_fmac_f32_e32 v14, v65, v1
	v_fmac_f32_e32 v12, v63, v1
	s_delay_alu instid0(VALU_DEP_2) | instskip(NEXT) | instid1(VALU_DEP_2)
	v_dual_fmac_f32 v11, v69, v1 :: v_dual_fmac_f32 v14, v27, v6
	v_dual_fmac_f32 v12, v25, v6 :: v_dual_fmac_f32 v13, v67, v1
	s_waitcnt vmcnt(1)
	v_lshlrev_b32_e32 v1, 16, v52
	v_lshlrev_b32_e32 v73, 16, v35
	s_delay_alu instid0(VALU_DEP_2) | instskip(SKIP_1) | instid1(VALU_DEP_2)
	v_dual_fmac_f32 v13, v29, v6 :: v_dual_fmac_f32 v14, v72, v1
	v_dual_fmac_f32 v12, v70, v1 :: v_dual_fmac_f32 v11, v31, v6
	v_dual_fmac_f32 v13, v74, v1 :: v_dual_and_b32 v6, 0xffff0000, v52
	s_delay_alu instid0(VALU_DEP_2) | instskip(NEXT) | instid1(VALU_DEP_2)
	v_dual_fmac_f32 v11, v76, v1 :: v_dual_and_b32 v32, 0xffff0000, v32
	v_dual_fmac_f32 v14, v34, v6 :: v_dual_lshlrev_b32 v1, 16, v53
	s_delay_alu instid0(VALU_DEP_3) | instskip(NEXT) | instid1(VALU_DEP_3)
	v_fmac_f32_e32 v13, v36, v6
	v_fmac_f32_e32 v11, v38, v6
	s_delay_alu instid0(VALU_DEP_4)
	v_dual_fmac_f32 v12, v32, v6 :: v_dual_lshlrev_b32 v71, 16, v33
	v_and_b32_e32 v33, 0xffff0000, v33
	v_and_b32_e32 v35, 0xffff0000, v35
	;; [unrolled: 1-line block ×3, first 2 shown]
	v_fmac_f32_e32 v14, v73, v1
	v_fmac_f32_e32 v12, v71, v1
	s_delay_alu instid0(VALU_DEP_2) | instskip(NEXT) | instid1(VALU_DEP_2)
	v_dual_fmac_f32 v11, v77, v1 :: v_dual_fmac_f32 v14, v35, v6
	v_dual_fmac_f32 v12, v33, v6 :: v_dual_fmac_f32 v13, v75, v1
	s_waitcnt vmcnt(0)
	v_lshlrev_b32_e32 v1, 16, v54
	v_lshlrev_b32_e32 v81, 16, v43
	s_delay_alu instid0(VALU_DEP_2) | instskip(SKIP_1) | instid1(VALU_DEP_2)
	v_dual_fmac_f32 v13, v37, v6 :: v_dual_fmac_f32 v14, v80, v1
	v_dual_fmac_f32 v12, v78, v1 :: v_dual_fmac_f32 v11, v39, v6
	v_dual_fmac_f32 v13, v82, v1 :: v_dual_and_b32 v6, 0xffff0000, v54
	s_delay_alu instid0(VALU_DEP_2) | instskip(NEXT) | instid1(VALU_DEP_2)
	v_dual_fmac_f32 v11, v84, v1 :: v_dual_and_b32 v40, 0xffff0000, v40
	v_dual_fmac_f32 v14, v42, v6 :: v_dual_lshlrev_b32 v1, 16, v55
	s_delay_alu instid0(VALU_DEP_3) | instskip(NEXT) | instid1(VALU_DEP_3)
	v_fmac_f32_e32 v13, v44, v6
	v_fmac_f32_e32 v11, v46, v6
	s_delay_alu instid0(VALU_DEP_4)
	v_dual_fmac_f32 v12, v40, v6 :: v_dual_lshlrev_b32 v79, 16, v41
	v_and_b32_e32 v41, 0xffff0000, v41
	v_and_b32_e32 v43, 0xffff0000, v43
	;; [unrolled: 1-line block ×3, first 2 shown]
	v_fmac_f32_e32 v14, v81, v1
	v_fmac_f32_e32 v12, v79, v1
	s_delay_alu instid0(VALU_DEP_2) | instskip(NEXT) | instid1(VALU_DEP_2)
	v_dual_fmac_f32 v11, v85, v1 :: v_dual_fmac_f32 v14, v43, v6
	v_dual_fmac_f32 v12, v41, v6 :: v_dual_fmac_f32 v13, v83, v1
	s_delay_alu instid0(VALU_DEP_2) | instskip(NEXT) | instid1(VALU_DEP_2)
	v_fmac_f32_e32 v11, v47, v6
	v_fmac_f32_e32 v13, v45, v6
	s_and_not1_b32 exec_lo, exec_lo, s10
	s_cbranch_execnz .LBB105_21
; %bb.22:
	s_or_b32 exec_lo, exec_lo, s10
.LBB105_23:
	s_delay_alu instid0(SALU_CYCLE_1)
	s_or_b32 exec_lo, exec_lo, s7
.LBB105_24:
	s_delay_alu instid0(SALU_CYCLE_1) | instskip(NEXT) | instid1(SALU_CYCLE_1)
	s_or_b32 exec_lo, exec_lo, s6
	s_and_not1_b32 vcc_lo, exec_lo, s3
	s_cbranch_vccz .LBB105_26
	s_branch .LBB105_37
.LBB105_25:
                                        ; implicit-def: $vgpr11
                                        ; implicit-def: $vgpr13
                                        ; implicit-def: $vgpr14
                                        ; implicit-def: $vgpr12
.LBB105_26:
	v_dual_mov_b32 v11, 0 :: v_dual_mov_b32 v14, 0
	v_dual_mov_b32 v13, 0 :: v_dual_mov_b32 v12, 0
	s_and_saveexec_b32 s3, s2
	s_cbranch_execz .LBB105_36
; %bb.27:
	v_dual_mov_b32 v12, 0 :: v_dual_add_nc_u32 v1, v15, v9
	v_not_b32_e32 v5, v15
	v_mov_b32_e32 v13, 0
	v_mov_b32_e32 v11, 0
	s_delay_alu instid0(VALU_DEP_4) | instskip(SKIP_2) | instid1(VALU_DEP_1)
	v_subrev_nc_u32_e32 v1, s18, v1
	s_mov_b32 s6, 0
	s_mov_b32 s2, exec_lo
	v_dual_mov_b32 v14, 0 :: v_dual_add_nc_u32 v1, 4, v1
	s_delay_alu instid0(VALU_DEP_1) | instskip(NEXT) | instid1(VALU_DEP_1)
	v_max_i32_e32 v1, v1, v10
	v_add3_u32 v1, v1, s18, v5
	s_delay_alu instid0(VALU_DEP_1) | instskip(NEXT) | instid1(VALU_DEP_1)
	v_sub_nc_u32_e32 v5, v1, v9
	v_lshrrev_b32_e32 v1, 2, v5
	s_delay_alu instid0(VALU_DEP_1) | instskip(NEXT) | instid1(VALU_DEP_1)
	v_add_nc_u32_e32 v1, 1, v1
	v_and_b32_e32 v1, 3, v1
	s_delay_alu instid0(VALU_DEP_1)
	v_cmpx_ne_u32_e32 0, v1
	s_cbranch_execz .LBB105_31
; %bb.28:
	v_dual_mov_b32 v11, 0 :: v_dual_lshlrev_b32 v6, 5, v1
	v_dual_mov_b32 v13, 0 :: v_dual_mov_b32 v14, 0
	v_mov_b32_e32 v12, 0
.LBB105_29:                             ; =>This Inner Loop Header: Depth=1
	v_ashrrev_i32_e32 v1, 31, v0
	s_delay_alu instid0(VALU_DEP_4) | instskip(NEXT) | instid1(VALU_DEP_2)
	v_subrev_nc_u32_e32 v6, 32, v6
	v_lshlrev_b64 v[7:8], 2, v[0:1]
	s_delay_alu instid0(VALU_DEP_1) | instskip(NEXT) | instid1(VALU_DEP_2)
	v_add_co_u32 v7, vcc_lo, s8, v7
	v_add_co_ci_u32_e32 v8, vcc_lo, s9, v8, vcc_lo
	global_load_b32 v1, v[7:8], off
	global_load_b128 v[15:18], v[2:3], off
	s_waitcnt vmcnt(1)
	v_subrev_nc_u32_e32 v1, s18, v1
	s_delay_alu instid0(VALU_DEP_1) | instskip(NEXT) | instid1(VALU_DEP_1)
	v_lshlrev_b32_e32 v7, 2, v1
	v_ashrrev_i32_e32 v8, 31, v7
	s_delay_alu instid0(VALU_DEP_1) | instskip(SKIP_1) | instid1(VALU_DEP_1)
	v_lshlrev_b64 v[7:8], 1, v[7:8]
	s_waitcnt lgkmcnt(0)
	v_add_co_u32 v7, vcc_lo, s4, v7
	s_delay_alu instid0(VALU_DEP_2)
	v_add_co_ci_u32_e32 v8, vcc_lo, s5, v8, vcc_lo
	global_load_b64 v[7:8], v[7:8], off
	global_load_b128 v[19:22], v[2:3], off offset:16
	v_add_co_u32 v2, vcc_lo, 0x80, v2
	v_add_co_ci_u32_e32 v3, vcc_lo, 0, v3, vcc_lo
	v_cmp_eq_u32_e32 vcc_lo, 0, v6
	s_or_b32 s6, vcc_lo, s6
	s_waitcnt vmcnt(1)
	v_lshlrev_b32_e32 v30, 16, v7
	v_lshlrev_b32_e32 v1, 16, v15
	s_waitcnt vmcnt(0)
	v_lshlrev_b32_e32 v27, 16, v20
	v_and_b32_e32 v7, 0xffff0000, v7
	v_and_b32_e32 v20, 0xffff0000, v20
	v_lshlrev_b32_e32 v26, 16, v19
	v_and_b32_e32 v15, 0xffff0000, v15
	v_lshlrev_b32_e32 v24, 16, v17
	v_lshlrev_b32_e32 v29, 16, v22
	;; [unrolled: 1-line block ×3, first 2 shown]
	s_delay_alu instid0(VALU_DEP_4) | instskip(SKIP_4) | instid1(VALU_DEP_4)
	v_dual_fmac_f32 v14, v15, v30 :: v_dual_and_b32 v19, 0xffff0000, v19
	v_dual_fmac_f32 v12, v1, v30 :: v_dual_lshlrev_b32 v23, 16, v16
	v_lshlrev_b32_e32 v1, 16, v8
	v_and_b32_e32 v21, 0xffff0000, v21
	v_and_b32_e32 v22, 0xffff0000, v22
	v_fmac_f32_e32 v12, v24, v7
	v_dual_fmac_f32 v13, v23, v30 :: v_dual_add_nc_u32 v0, 4, v0
	s_delay_alu instid0(VALU_DEP_2) | instskip(SKIP_1) | instid1(VALU_DEP_1)
	v_fmac_f32_e32 v12, v26, v1
	v_and_b32_e32 v17, 0xffff0000, v17
	v_dual_fmac_f32 v14, v17, v7 :: v_dual_lshlrev_b32 v25, 16, v18
	s_delay_alu instid0(VALU_DEP_1) | instskip(NEXT) | instid1(VALU_DEP_2)
	v_dual_fmac_f32 v13, v25, v7 :: v_dual_and_b32 v16, 0xffff0000, v16
	v_fmac_f32_e32 v14, v19, v1
	s_delay_alu instid0(VALU_DEP_2) | instskip(NEXT) | instid1(VALU_DEP_3)
	v_dual_fmac_f32 v13, v27, v1 :: v_dual_and_b32 v18, 0xffff0000, v18
	v_fmac_f32_e32 v11, v16, v30
	s_delay_alu instid0(VALU_DEP_1) | instskip(SKIP_1) | instid1(VALU_DEP_1)
	v_fmac_f32_e32 v11, v18, v7
	v_and_b32_e32 v7, 0xffff0000, v8
	v_dual_fmac_f32 v11, v20, v1 :: v_dual_fmac_f32 v14, v21, v7
	v_fmac_f32_e32 v13, v29, v7
	v_fmac_f32_e32 v12, v28, v7
	s_delay_alu instid0(VALU_DEP_3)
	v_fmac_f32_e32 v11, v22, v7
	s_and_not1_b32 exec_lo, exec_lo, s6
	s_cbranch_execnz .LBB105_29
; %bb.30:
	s_or_b32 exec_lo, exec_lo, s6
.LBB105_31:
	s_delay_alu instid0(SALU_CYCLE_1) | instskip(NEXT) | instid1(SALU_CYCLE_1)
	s_or_b32 exec_lo, exec_lo, s2
	s_mov_b32 s2, exec_lo
	v_cmpx_lt_u32_e32 11, v5
	s_cbranch_execz .LBB105_35
; %bb.32:
	s_mov_b32 s6, 0
.LBB105_33:                             ; =>This Inner Loop Header: Depth=1
	v_ashrrev_i32_e32 v1, 31, v0
	s_delay_alu instid0(VALU_DEP_1) | instskip(NEXT) | instid1(VALU_DEP_1)
	v_lshlrev_b64 v[5:6], 2, v[0:1]
	v_add_co_u32 v5, vcc_lo, s8, v5
	s_delay_alu instid0(VALU_DEP_2)
	v_add_co_ci_u32_e32 v6, vcc_lo, s9, v6, vcc_lo
	s_clause 0x3
	global_load_b32 v1, v[5:6], off
	global_load_b32 v39, v[5:6], off offset:16
	global_load_b32 v40, v[5:6], off offset:32
	;; [unrolled: 1-line block ×3, first 2 shown]
	s_clause 0x6
	global_load_b128 v[5:8], v[2:3], off
	global_load_b128 v[15:18], v[2:3], off offset:16
	global_load_b128 v[19:22], v[2:3], off offset:128
	;; [unrolled: 1-line block ×6, first 2 shown]
	s_waitcnt vmcnt(10)
	v_subrev_nc_u32_e32 v1, s18, v1
	s_waitcnt vmcnt(9)
	v_subrev_nc_u32_e32 v42, s18, v39
	;; [unrolled: 2-line block ×4, first 2 shown]
	s_waitcnt vmcnt(6)
	v_lshlrev_b32_e32 v52, 16, v7
	v_lshlrev_b32_e32 v39, 2, v1
	;; [unrolled: 1-line block ×4, first 2 shown]
	v_and_b32_e32 v5, 0xffff0000, v5
	v_lshlrev_b32_e32 v43, 2, v40
	v_ashrrev_i32_e32 v40, 31, v39
	v_ashrrev_i32_e32 v42, 31, v41
	s_waitcnt vmcnt(5)
	v_lshlrev_b32_e32 v56, 16, v17
	v_and_b32_e32 v17, 0xffff0000, v17
	s_waitcnt vmcnt(4)
	v_lshlrev_b32_e32 v58, 16, v19
	v_lshlrev_b32_e32 v55, 16, v16
	v_and_b32_e32 v16, 0xffff0000, v16
	v_lshlrev_b32_e32 v54, 16, v15
	v_and_b32_e32 v15, 0xffff0000, v15
	v_and_b32_e32 v7, 0xffff0000, v7
	v_lshlrev_b32_e32 v45, 2, v44
	v_lshlrev_b64 v[39:40], 1, v[39:40]
	v_ashrrev_i32_e32 v44, 31, v43
	v_lshlrev_b64 v[41:42], 1, v[41:42]
	v_lshlrev_b32_e32 v60, 16, v21
	v_ashrrev_i32_e32 v46, 31, v45
	v_and_b32_e32 v19, 0xffff0000, v19
	v_lshlrev_b64 v[43:44], 1, v[43:44]
	s_waitcnt lgkmcnt(0)
	v_add_co_u32 v39, vcc_lo, s4, v39
	v_add_co_ci_u32_e32 v40, vcc_lo, s5, v40, vcc_lo
	v_lshlrev_b64 v[45:46], 1, v[45:46]
	v_add_co_u32 v41, vcc_lo, s4, v41
	v_add_co_ci_u32_e32 v42, vcc_lo, s5, v42, vcc_lo
	v_add_co_u32 v43, vcc_lo, s4, v43
	v_add_co_ci_u32_e32 v44, vcc_lo, s5, v44, vcc_lo
	;; [unrolled: 2-line block ×3, first 2 shown]
	s_clause 0x3
	global_load_b64 v[47:48], v[39:40], off
	global_load_b64 v[49:50], v[41:42], off
	;; [unrolled: 1-line block ×4, first 2 shown]
	global_load_b128 v[39:42], v[2:3], off offset:400
	v_and_b32_e32 v21, 0xffff0000, v21
	s_waitcnt vmcnt(8)
	v_lshlrev_b32_e32 v64, 16, v25
	v_and_b32_e32 v25, 0xffff0000, v25
	s_waitcnt vmcnt(7)
	v_lshlrev_b32_e32 v68, 16, v29
	;; [unrolled: 3-line block ×4, first 2 shown]
	v_and_b32_e32 v37, 0xffff0000, v37
	v_add_co_u32 v2, vcc_lo, 0x200, v2
	v_add_co_ci_u32_e32 v3, vcc_lo, 0, v3, vcc_lo
	s_waitcnt vmcnt(4)
	v_lshlrev_b32_e32 v82, 16, v47
	v_and_b32_e32 v47, 0xffff0000, v47
	s_waitcnt vmcnt(0)
	v_lshlrev_b32_e32 v80, 16, v41
	s_delay_alu instid0(VALU_DEP_3) | instskip(SKIP_1) | instid1(VALU_DEP_2)
	v_dual_fmac_f32 v12, v1, v82 :: v_dual_lshlrev_b32 v1, 16, v48
	v_dual_fmac_f32 v14, v5, v82 :: v_dual_and_b32 v5, 0xffff0000, v48
	v_dual_fmac_f32 v12, v52, v47 :: v_dual_and_b32 v41, 0xffff0000, v41
	s_delay_alu instid0(VALU_DEP_2) | instskip(NEXT) | instid1(VALU_DEP_2)
	v_dual_fmac_f32 v14, v7, v47 :: v_dual_lshlrev_b32 v51, 16, v6
	v_fmac_f32_e32 v12, v54, v1
	s_delay_alu instid0(VALU_DEP_2) | instskip(NEXT) | instid1(VALU_DEP_3)
	v_dual_fmac_f32 v13, v51, v82 :: v_dual_add_nc_u32 v0, 16, v0
	v_dual_fmac_f32 v14, v15, v1 :: v_dual_lshlrev_b32 v53, 16, v8
	s_delay_alu instid0(VALU_DEP_3) | instskip(SKIP_1) | instid1(VALU_DEP_4)
	v_fmac_f32_e32 v12, v56, v5
	v_and_b32_e32 v6, 0xffff0000, v6
	v_cmp_ge_i32_e32 vcc_lo, v0, v10
	s_delay_alu instid0(VALU_DEP_4) | instskip(NEXT) | instid1(VALU_DEP_3)
	v_dual_fmac_f32 v13, v53, v47 :: v_dual_and_b32 v8, 0xffff0000, v8
	v_dual_fmac_f32 v14, v17, v5 :: v_dual_fmac_f32 v11, v6, v82
	s_or_b32 s6, vcc_lo, s6
	s_delay_alu instid0(VALU_DEP_2) | instskip(NEXT) | instid1(VALU_DEP_2)
	v_fmac_f32_e32 v13, v55, v1
	v_fmac_f32_e32 v11, v8, v47
	s_delay_alu instid0(VALU_DEP_1) | instskip(SKIP_1) | instid1(VALU_DEP_1)
	v_fmac_f32_e32 v11, v16, v1
	v_lshlrev_b32_e32 v1, 16, v49
	v_dual_fmac_f32 v14, v19, v1 :: v_dual_lshlrev_b32 v57, 16, v18
	s_delay_alu instid0(VALU_DEP_1) | instskip(NEXT) | instid1(VALU_DEP_1)
	v_dual_fmac_f32 v13, v57, v5 :: v_dual_and_b32 v18, 0xffff0000, v18
	v_fmac_f32_e32 v11, v18, v5
	v_and_b32_e32 v5, 0xffff0000, v49
	v_dual_fmac_f32 v12, v58, v1 :: v_dual_lshlrev_b32 v59, 16, v20
	s_delay_alu instid0(VALU_DEP_2) | instskip(NEXT) | instid1(VALU_DEP_2)
	v_fmac_f32_e32 v14, v21, v5
	v_dual_fmac_f32 v13, v59, v1 :: v_dual_and_b32 v20, 0xffff0000, v20
	v_lshlrev_b32_e32 v62, 16, v23
	s_delay_alu instid0(VALU_DEP_4) | instskip(NEXT) | instid1(VALU_DEP_3)
	v_fmac_f32_e32 v12, v60, v5
	v_fmac_f32_e32 v11, v20, v1
	v_lshlrev_b32_e32 v1, 16, v50
	s_delay_alu instid0(VALU_DEP_1) | instskip(NEXT) | instid1(VALU_DEP_1)
	v_dual_fmac_f32 v12, v62, v1 :: v_dual_lshlrev_b32 v61, 16, v22
	v_dual_fmac_f32 v13, v61, v5 :: v_dual_and_b32 v22, 0xffff0000, v22
	s_delay_alu instid0(VALU_DEP_1) | instskip(SKIP_1) | instid1(VALU_DEP_1)
	v_dual_fmac_f32 v11, v22, v5 :: v_dual_lshlrev_b32 v66, 16, v27
	v_and_b32_e32 v5, 0xffff0000, v50
	v_dual_fmac_f32 v12, v64, v5 :: v_dual_and_b32 v23, 0xffff0000, v23
	s_delay_alu instid0(VALU_DEP_1) | instskip(SKIP_2) | instid1(VALU_DEP_3)
	v_dual_fmac_f32 v14, v23, v1 :: v_dual_lshlrev_b32 v63, 16, v24
	v_and_b32_e32 v24, 0xffff0000, v24
	v_lshlrev_b32_e32 v65, 16, v26
	v_fmac_f32_e32 v13, v63, v1
	s_delay_alu instid0(VALU_DEP_4) | instskip(NEXT) | instid1(VALU_DEP_4)
	v_fmac_f32_e32 v14, v25, v5
	v_dual_fmac_f32 v11, v24, v1 :: v_dual_and_b32 v26, 0xffff0000, v26
	v_lshlrev_b32_e32 v1, 16, v43
	v_and_b32_e32 v27, 0xffff0000, v27
	v_dual_fmac_f32 v13, v65, v5 :: v_dual_lshlrev_b32 v70, 16, v31
	s_delay_alu instid0(VALU_DEP_4) | instskip(NEXT) | instid1(VALU_DEP_4)
	v_fmac_f32_e32 v11, v26, v5
	v_dual_fmac_f32 v12, v66, v1 :: v_dual_lshlrev_b32 v67, 16, v28
	s_delay_alu instid0(VALU_DEP_4)
	v_fmac_f32_e32 v14, v27, v1
	v_and_b32_e32 v28, 0xffff0000, v28
	v_lshlrev_b32_e32 v74, 16, v35
	v_and_b32_e32 v5, 0xffff0000, v43
	v_lshlrev_b32_e32 v69, 16, v30
	v_dual_fmac_f32 v13, v67, v1 :: v_dual_and_b32 v30, 0xffff0000, v30
	v_fmac_f32_e32 v11, v28, v1
	s_delay_alu instid0(VALU_DEP_4) | instskip(SKIP_2) | instid1(VALU_DEP_4)
	v_dual_fmac_f32 v14, v29, v5 :: v_dual_and_b32 v31, 0xffff0000, v31
	v_lshlrev_b32_e32 v1, 16, v44
	v_lshlrev_b32_e32 v73, 16, v34
	v_dual_fmac_f32 v11, v30, v5 :: v_dual_and_b32 v34, 0xffff0000, v34
	v_dual_fmac_f32 v12, v68, v5 :: v_dual_lshlrev_b32 v71, 16, v32
	v_dual_fmac_f32 v13, v69, v5 :: v_dual_and_b32 v32, 0xffff0000, v32
	v_lshlrev_b32_e32 v78, 16, v39
	s_delay_alu instid0(VALU_DEP_3) | instskip(NEXT) | instid1(VALU_DEP_3)
	v_dual_fmac_f32 v12, v70, v1 :: v_dual_and_b32 v5, 0xffff0000, v44
	v_fmac_f32_e32 v11, v32, v1
	v_dual_fmac_f32 v14, v31, v1 :: v_dual_lshlrev_b32 v75, 16, v36
	v_dual_fmac_f32 v13, v71, v1 :: v_dual_and_b32 v36, 0xffff0000, v36
	s_delay_alu instid0(VALU_DEP_4) | instskip(SKIP_2) | instid1(VALU_DEP_4)
	v_dual_fmac_f32 v12, v72, v5 :: v_dual_and_b32 v35, 0xffff0000, v35
	v_lshlrev_b32_e32 v1, 16, v45
	v_lshlrev_b32_e32 v77, 16, v38
	v_dual_fmac_f32 v13, v73, v5 :: v_dual_and_b32 v38, 0xffff0000, v38
	v_fmac_f32_e32 v14, v33, v5
	v_fmac_f32_e32 v11, v34, v5
	v_and_b32_e32 v39, 0xffff0000, v39
	v_and_b32_e32 v5, 0xffff0000, v45
	v_fmac_f32_e32 v12, v74, v1
	v_dual_fmac_f32 v14, v35, v1 :: v_dual_lshlrev_b32 v79, 16, v40
	v_dual_fmac_f32 v13, v75, v1 :: v_dual_and_b32 v40, 0xffff0000, v40
	s_delay_alu instid0(VALU_DEP_2) | instskip(SKIP_2) | instid1(VALU_DEP_4)
	v_dual_fmac_f32 v14, v37, v5 :: v_dual_lshlrev_b32 v81, 16, v42
	v_dual_fmac_f32 v11, v36, v1 :: v_dual_and_b32 v42, 0xffff0000, v42
	v_dual_fmac_f32 v12, v76, v5 :: v_dual_lshlrev_b32 v1, 16, v46
	v_fmac_f32_e32 v13, v77, v5
	s_delay_alu instid0(VALU_DEP_3) | instskip(NEXT) | instid1(VALU_DEP_3)
	v_fmac_f32_e32 v11, v38, v5
	v_dual_fmac_f32 v12, v78, v1 :: v_dual_and_b32 v5, 0xffff0000, v46
	v_fmac_f32_e32 v14, v39, v1
	s_delay_alu instid0(VALU_DEP_4) | instskip(NEXT) | instid1(VALU_DEP_4)
	v_fmac_f32_e32 v13, v79, v1
	v_fmac_f32_e32 v11, v40, v1
	s_delay_alu instid0(VALU_DEP_4) | instskip(NEXT) | instid1(VALU_DEP_4)
	v_fmac_f32_e32 v12, v80, v5
	;; [unrolled: 3-line block ×3, first 2 shown]
	v_fmac_f32_e32 v11, v42, v5
	s_and_not1_b32 exec_lo, exec_lo, s6
	s_cbranch_execnz .LBB105_33
; %bb.34:
	s_or_b32 exec_lo, exec_lo, s6
.LBB105_35:
	s_delay_alu instid0(SALU_CYCLE_1)
	s_or_b32 exec_lo, exec_lo, s2
.LBB105_36:
	s_delay_alu instid0(SALU_CYCLE_1)
	s_or_b32 exec_lo, exec_lo, s3
.LBB105_37:
	v_mbcnt_lo_u32_b32 v0, -1, 0
	s_mov_b32 s2, -1
	s_delay_alu instid0(VALU_DEP_1) | instskip(NEXT) | instid1(VALU_DEP_1)
	v_xor_b32_e32 v1, 2, v0
	v_cmp_gt_i32_e32 vcc_lo, 32, v1
	v_cndmask_b32_e32 v1, v0, v1, vcc_lo
	s_delay_alu instid0(VALU_DEP_1)
	v_lshlrev_b32_e32 v1, 2, v1
	ds_bpermute_b32 v2, v1, v12
	ds_bpermute_b32 v3, v1, v14
	;; [unrolled: 1-line block ×4, first 2 shown]
	v_xor_b32_e32 v1, 1, v0
	s_delay_alu instid0(VALU_DEP_1) | instskip(SKIP_3) | instid1(VALU_DEP_2)
	v_cmp_gt_i32_e32 vcc_lo, 32, v1
	v_cndmask_b32_e32 v0, v0, v1, vcc_lo
	v_cmp_eq_u32_e32 vcc_lo, 3, v9
	s_waitcnt lgkmcnt(0)
	v_dual_add_f32 v1, v14, v3 :: v_dual_lshlrev_b32 v8, 2, v0
	v_add_f32_e32 v0, v12, v2
	v_dual_add_f32 v2, v13, v5 :: v_dual_add_f32 v3, v11, v6
	ds_bpermute_b32 v6, v8, v1
	ds_bpermute_b32 v5, v8, v0
	;; [unrolled: 1-line block ×4, first 2 shown]
	s_and_b32 exec_lo, exec_lo, vcc_lo
	s_cbranch_execz .LBB105_10
; %bb.38:
	s_load_b64 s[0:1], s[0:1], 0x50
	s_waitcnt lgkmcnt(0)
	v_dual_add_f32 v0, v0, v5 :: v_dual_add_f32 v1, v1, v6
	v_dual_add_f32 v2, v2, v7 :: v_dual_add_f32 v3, v3, v8
	v_cmp_eq_f32_e64 s3, s12, 0
	s_delay_alu instid0(VALU_DEP_3) | instskip(NEXT) | instid1(VALU_DEP_3)
	v_dual_mul_f32 v0, s16, v0 :: v_dual_mul_f32 v1, s16, v1
	v_dual_mul_f32 v2, s16, v2 :: v_dual_mul_f32 v3, s16, v3
	v_lshlrev_b32_e32 v4, 2, v4
	s_delay_alu instid0(VALU_DEP_4)
	s_and_b32 vcc_lo, exec_lo, s3
	s_cbranch_vccz .LBB105_40
; %bb.39:
	s_delay_alu instid0(VALU_DEP_1) | instskip(SKIP_1) | instid1(VALU_DEP_1)
	v_ashrrev_i32_e32 v5, 31, v4
	s_mov_b32 s2, 0
	v_lshlrev_b64 v[5:6], 2, v[4:5]
	s_delay_alu instid0(VALU_DEP_1) | instskip(NEXT) | instid1(VALU_DEP_2)
	v_add_co_u32 v5, vcc_lo, s0, v5
	v_add_co_ci_u32_e32 v6, vcc_lo, s1, v6, vcc_lo
	global_store_b128 v[5:6], v[0:3], off
.LBB105_40:
	s_and_not1_b32 vcc_lo, exec_lo, s2
	s_cbranch_vccnz .LBB105_10
; %bb.41:
	v_ashrrev_i32_e32 v5, 31, v4
	s_delay_alu instid0(VALU_DEP_1) | instskip(NEXT) | instid1(VALU_DEP_1)
	v_lshlrev_b64 v[4:5], 2, v[4:5]
	v_add_co_u32 v8, vcc_lo, s0, v4
	s_delay_alu instid0(VALU_DEP_2)
	v_add_co_ci_u32_e32 v9, vcc_lo, s1, v5, vcc_lo
	global_load_b128 v[4:7], v[8:9], off
	s_waitcnt vmcnt(0)
	v_dual_fmac_f32 v0, s12, v4 :: v_dual_fmac_f32 v1, s12, v5
	v_dual_fmac_f32 v2, s12, v6 :: v_dual_fmac_f32 v3, s12, v7
	global_store_b128 v[8:9], v[0:3], off
	s_nop 0
	s_sendmsg sendmsg(MSG_DEALLOC_VGPRS)
	s_endpgm
	.section	.rodata,"a",@progbits
	.p2align	6, 0x0
	.amdhsa_kernel _ZN9rocsparseL18bsrxmvn_4x4_kernelILj128ELj4Efii18rocsparse_bfloat16S1_fEEvT3_20rocsparse_direction_NS_24const_host_device_scalarIT1_EES2_PKS2_PKT2_SB_S8_PKT4_PKT5_S6_PT6_21rocsparse_index_base_b
		.amdhsa_group_segment_fixed_size 0
		.amdhsa_private_segment_fixed_size 0
		.amdhsa_kernarg_size 96
		.amdhsa_user_sgpr_count 15
		.amdhsa_user_sgpr_dispatch_ptr 0
		.amdhsa_user_sgpr_queue_ptr 0
		.amdhsa_user_sgpr_kernarg_segment_ptr 1
		.amdhsa_user_sgpr_dispatch_id 0
		.amdhsa_user_sgpr_private_segment_size 0
		.amdhsa_wavefront_size32 1
		.amdhsa_uses_dynamic_stack 0
		.amdhsa_enable_private_segment 0
		.amdhsa_system_sgpr_workgroup_id_x 1
		.amdhsa_system_sgpr_workgroup_id_y 0
		.amdhsa_system_sgpr_workgroup_id_z 0
		.amdhsa_system_sgpr_workgroup_info 0
		.amdhsa_system_vgpr_workitem_id 0
		.amdhsa_next_free_vgpr 87
		.amdhsa_next_free_sgpr 20
		.amdhsa_reserve_vcc 1
		.amdhsa_float_round_mode_32 0
		.amdhsa_float_round_mode_16_64 0
		.amdhsa_float_denorm_mode_32 3
		.amdhsa_float_denorm_mode_16_64 3
		.amdhsa_dx10_clamp 1
		.amdhsa_ieee_mode 1
		.amdhsa_fp16_overflow 0
		.amdhsa_workgroup_processor_mode 1
		.amdhsa_memory_ordered 1
		.amdhsa_forward_progress 0
		.amdhsa_shared_vgpr_count 0
		.amdhsa_exception_fp_ieee_invalid_op 0
		.amdhsa_exception_fp_denorm_src 0
		.amdhsa_exception_fp_ieee_div_zero 0
		.amdhsa_exception_fp_ieee_overflow 0
		.amdhsa_exception_fp_ieee_underflow 0
		.amdhsa_exception_fp_ieee_inexact 0
		.amdhsa_exception_int_div_zero 0
	.end_amdhsa_kernel
	.section	.text._ZN9rocsparseL18bsrxmvn_4x4_kernelILj128ELj4Efii18rocsparse_bfloat16S1_fEEvT3_20rocsparse_direction_NS_24const_host_device_scalarIT1_EES2_PKS2_PKT2_SB_S8_PKT4_PKT5_S6_PT6_21rocsparse_index_base_b,"axG",@progbits,_ZN9rocsparseL18bsrxmvn_4x4_kernelILj128ELj4Efii18rocsparse_bfloat16S1_fEEvT3_20rocsparse_direction_NS_24const_host_device_scalarIT1_EES2_PKS2_PKT2_SB_S8_PKT4_PKT5_S6_PT6_21rocsparse_index_base_b,comdat
.Lfunc_end105:
	.size	_ZN9rocsparseL18bsrxmvn_4x4_kernelILj128ELj4Efii18rocsparse_bfloat16S1_fEEvT3_20rocsparse_direction_NS_24const_host_device_scalarIT1_EES2_PKS2_PKT2_SB_S8_PKT4_PKT5_S6_PT6_21rocsparse_index_base_b, .Lfunc_end105-_ZN9rocsparseL18bsrxmvn_4x4_kernelILj128ELj4Efii18rocsparse_bfloat16S1_fEEvT3_20rocsparse_direction_NS_24const_host_device_scalarIT1_EES2_PKS2_PKT2_SB_S8_PKT4_PKT5_S6_PT6_21rocsparse_index_base_b
                                        ; -- End function
	.section	.AMDGPU.csdata,"",@progbits
; Kernel info:
; codeLenInByte = 4472
; NumSgprs: 22
; NumVgprs: 87
; ScratchSize: 0
; MemoryBound: 0
; FloatMode: 240
; IeeeMode: 1
; LDSByteSize: 0 bytes/workgroup (compile time only)
; SGPRBlocks: 2
; VGPRBlocks: 10
; NumSGPRsForWavesPerEU: 22
; NumVGPRsForWavesPerEU: 87
; Occupancy: 16
; WaveLimiterHint : 1
; COMPUTE_PGM_RSRC2:SCRATCH_EN: 0
; COMPUTE_PGM_RSRC2:USER_SGPR: 15
; COMPUTE_PGM_RSRC2:TRAP_HANDLER: 0
; COMPUTE_PGM_RSRC2:TGID_X_EN: 1
; COMPUTE_PGM_RSRC2:TGID_Y_EN: 0
; COMPUTE_PGM_RSRC2:TGID_Z_EN: 0
; COMPUTE_PGM_RSRC2:TIDIG_COMP_CNT: 0
	.section	.text._ZN9rocsparseL18bsrxmvn_4x4_kernelILj128ELj8Efii18rocsparse_bfloat16S1_fEEvT3_20rocsparse_direction_NS_24const_host_device_scalarIT1_EES2_PKS2_PKT2_SB_S8_PKT4_PKT5_S6_PT6_21rocsparse_index_base_b,"axG",@progbits,_ZN9rocsparseL18bsrxmvn_4x4_kernelILj128ELj8Efii18rocsparse_bfloat16S1_fEEvT3_20rocsparse_direction_NS_24const_host_device_scalarIT1_EES2_PKS2_PKT2_SB_S8_PKT4_PKT5_S6_PT6_21rocsparse_index_base_b,comdat
	.globl	_ZN9rocsparseL18bsrxmvn_4x4_kernelILj128ELj8Efii18rocsparse_bfloat16S1_fEEvT3_20rocsparse_direction_NS_24const_host_device_scalarIT1_EES2_PKS2_PKT2_SB_S8_PKT4_PKT5_S6_PT6_21rocsparse_index_base_b ; -- Begin function _ZN9rocsparseL18bsrxmvn_4x4_kernelILj128ELj8Efii18rocsparse_bfloat16S1_fEEvT3_20rocsparse_direction_NS_24const_host_device_scalarIT1_EES2_PKS2_PKT2_SB_S8_PKT4_PKT5_S6_PT6_21rocsparse_index_base_b
	.p2align	8
	.type	_ZN9rocsparseL18bsrxmvn_4x4_kernelILj128ELj8Efii18rocsparse_bfloat16S1_fEEvT3_20rocsparse_direction_NS_24const_host_device_scalarIT1_EES2_PKS2_PKT2_SB_S8_PKT4_PKT5_S6_PT6_21rocsparse_index_base_b,@function
_ZN9rocsparseL18bsrxmvn_4x4_kernelILj128ELj8Efii18rocsparse_bfloat16S1_fEEvT3_20rocsparse_direction_NS_24const_host_device_scalarIT1_EES2_PKS2_PKT2_SB_S8_PKT4_PKT5_S6_PT6_21rocsparse_index_base_b: ; @_ZN9rocsparseL18bsrxmvn_4x4_kernelILj128ELj8Efii18rocsparse_bfloat16S1_fEEvT3_20rocsparse_direction_NS_24const_host_device_scalarIT1_EES2_PKS2_PKT2_SB_S8_PKT4_PKT5_S6_PT6_21rocsparse_index_base_b
; %bb.0:
	s_clause 0x2
	s_load_b64 s[18:19], s[0:1], 0x58
	s_load_b64 s[16:17], s[0:1], 0x8
	;; [unrolled: 1-line block ×3, first 2 shown]
	s_waitcnt lgkmcnt(0)
	s_bitcmp1_b32 s19, 0
	s_cselect_b32 s2, -1, 0
	s_delay_alu instid0(SALU_CYCLE_1)
	s_and_b32 vcc_lo, exec_lo, s2
	s_xor_b32 s2, s2, -1
	s_cbranch_vccnz .LBB106_2
; %bb.1:
	s_load_b32 s16, s[16:17], 0x0
.LBB106_2:
	s_and_not1_b32 vcc_lo, exec_lo, s2
	s_cbranch_vccnz .LBB106_4
; %bb.3:
	s_load_b32 s12, s[12:13], 0x0
.LBB106_4:
	s_waitcnt lgkmcnt(0)
	v_cmp_neq_f32_e64 s2, s16, 0
	v_cmp_neq_f32_e64 s3, s12, 1.0
	s_mov_b32 s6, 0
	s_delay_alu instid0(VALU_DEP_1) | instskip(NEXT) | instid1(SALU_CYCLE_1)
	s_or_b32 s2, s2, s3
	s_and_not1_b32 vcc_lo, exec_lo, s2
	s_cbranch_vccnz .LBB106_10
; %bb.5:
	s_clause 0x1
	s_load_b64 s[4:5], s[0:1], 0x18
	s_load_b64 s[2:3], s[0:1], 0x0
	v_lshrrev_b32_e32 v1, 3, v0
	s_delay_alu instid0(VALU_DEP_1)
	v_lshl_or_b32 v4, s15, 4, v1
	s_waitcnt lgkmcnt(0)
	s_cmp_lg_u64 s[4:5], 0
	s_cbranch_scc0 .LBB106_11
; %bb.6:
	s_load_b32 s6, s[0:1], 0x10
	s_mov_b32 s7, 0
                                        ; implicit-def: $vgpr1
	s_waitcnt lgkmcnt(0)
	v_cmp_gt_i32_e32 vcc_lo, s6, v4
	s_mov_b32 s6, 0
	s_and_saveexec_b32 s8, vcc_lo
	s_delay_alu instid0(SALU_CYCLE_1)
	s_xor_b32 s8, exec_lo, s8
	s_cbranch_execz .LBB106_8
; %bb.7:
	v_ashrrev_i32_e32 v5, 31, v4
	s_mov_b32 s6, exec_lo
	s_delay_alu instid0(VALU_DEP_1) | instskip(NEXT) | instid1(VALU_DEP_1)
	v_lshlrev_b64 v[1:2], 2, v[4:5]
	v_add_co_u32 v1, vcc_lo, s4, v1
	s_delay_alu instid0(VALU_DEP_2)
	v_add_co_ci_u32_e32 v2, vcc_lo, s5, v2, vcc_lo
	global_load_b32 v1, v[1:2], off
	s_waitcnt vmcnt(0)
	v_subrev_nc_u32_e32 v1, s18, v1
.LBB106_8:
	s_or_b32 exec_lo, exec_lo, s8
	s_delay_alu instid0(SALU_CYCLE_1)
	s_and_b32 vcc_lo, exec_lo, s7
	s_cbranch_vccz .LBB106_12
.LBB106_9:
	v_cmp_gt_i32_e32 vcc_lo, s2, v4
	s_and_not1_b32 s2, s6, exec_lo
	s_and_b32 s4, vcc_lo, exec_lo
	s_delay_alu instid0(SALU_CYCLE_1) | instskip(NEXT) | instid1(SALU_CYCLE_1)
	s_or_b32 s6, s2, s4
	s_and_saveexec_b32 s2, s6
	s_cbranch_execnz .LBB106_13
.LBB106_10:
	s_nop 0
	s_sendmsg sendmsg(MSG_DEALLOC_VGPRS)
	s_endpgm
.LBB106_11:
                                        ; implicit-def: $vgpr1
	s_cbranch_execnz .LBB106_9
.LBB106_12:
	s_delay_alu instid0(VALU_DEP_1)
	v_mov_b32_e32 v4, v1
	s_and_saveexec_b32 s2, s6
	s_cbranch_execz .LBB106_10
.LBB106_13:
	s_load_b256 s[4:11], s[0:1], 0x20
	s_delay_alu instid0(VALU_DEP_1) | instskip(SKIP_1) | instid1(VALU_DEP_2)
	v_ashrrev_i32_e32 v5, 31, v4
	v_and_b32_e32 v9, 7, v0
	v_lshlrev_b64 v[1:2], 2, v[4:5]
	s_waitcnt lgkmcnt(0)
	s_delay_alu instid0(VALU_DEP_1) | instskip(NEXT) | instid1(VALU_DEP_2)
	v_add_co_u32 v5, vcc_lo, s4, v1
	v_add_co_ci_u32_e32 v6, vcc_lo, s5, v2, vcc_lo
	v_add_co_u32 v1, vcc_lo, s6, v1
	v_add_co_ci_u32_e32 v2, vcc_lo, s7, v2, vcc_lo
	global_load_b32 v15, v[5:6], off
	v_add_co_u32 v3, vcc_lo, v5, 4
	v_add_co_ci_u32_e32 v5, vcc_lo, 0, v6, vcc_lo
	s_cmp_eq_u64 s[6:7], 0
	s_load_b64 s[4:5], s[0:1], 0x40
	s_cselect_b32 vcc_lo, -1, 0
	s_cmp_eq_u32 s3, 1
	v_dual_cndmask_b32 v2, v2, v5 :: v_dual_cndmask_b32 v1, v1, v3
	global_load_b32 v5, v[1:2], off
	s_waitcnt vmcnt(1)
	v_subrev_nc_u32_e32 v0, s18, v15
	s_delay_alu instid0(VALU_DEP_1) | instskip(NEXT) | instid1(VALU_DEP_1)
	v_add_nc_u32_e32 v0, v0, v9
	v_ashrrev_i32_e32 v1, 31, v0
	s_waitcnt vmcnt(0)
	v_subrev_nc_u32_e32 v11, s18, v5
	s_delay_alu instid0(VALU_DEP_2) | instskip(NEXT) | instid1(VALU_DEP_2)
	v_lshlrev_b64 v[2:3], 5, v[0:1]
	v_cmp_lt_i32_e64 s2, v0, v11
	s_delay_alu instid0(VALU_DEP_2) | instskip(NEXT) | instid1(VALU_DEP_3)
	v_add_co_u32 v2, vcc_lo, s10, v2
	v_add_co_ci_u32_e32 v3, vcc_lo, s11, v3, vcc_lo
	s_cbranch_scc1 .LBB106_25
; %bb.14:
	v_dual_mov_b32 v10, 0 :: v_dual_mov_b32 v13, 0
	v_mov_b32_e32 v14, 0
	v_mov_b32_e32 v12, 0
	s_mov_b32 s3, 0
	s_and_saveexec_b32 s6, s2
	s_cbranch_execz .LBB106_24
; %bb.15:
	v_dual_mov_b32 v12, 0 :: v_dual_add_nc_u32 v1, v15, v9
	v_not_b32_e32 v5, v15
	s_mov_b32 s10, 0
	s_mov_b32 s7, exec_lo
	s_delay_alu instid0(VALU_DEP_2) | instskip(SKIP_3) | instid1(VALU_DEP_4)
	v_subrev_nc_u32_e32 v1, s18, v1
	v_mov_b32_e32 v14, 0
	v_mov_b32_e32 v10, 0
	v_dual_mov_b32 v8, v3 :: v_dual_mov_b32 v13, 0
	v_add_nc_u32_e32 v1, 8, v1
	v_mov_b32_e32 v7, v2
	s_delay_alu instid0(VALU_DEP_2) | instskip(NEXT) | instid1(VALU_DEP_1)
	v_max_i32_e32 v1, v1, v11
	v_add3_u32 v1, v1, s18, v5
	s_delay_alu instid0(VALU_DEP_1) | instskip(NEXT) | instid1(VALU_DEP_1)
	v_sub_nc_u32_e32 v1, v1, v9
	v_lshrrev_b32_e32 v5, 3, v1
	s_delay_alu instid0(VALU_DEP_1) | instskip(NEXT) | instid1(VALU_DEP_1)
	v_add_nc_u32_e32 v5, 1, v5
	v_dual_mov_b32 v5, v0 :: v_dual_and_b32 v6, 3, v5
	s_delay_alu instid0(VALU_DEP_1)
	v_cmpx_ne_u32_e32 0, v6
	s_cbranch_execz .LBB106_19
; %bb.16:
	v_dual_mov_b32 v8, v3 :: v_dual_mov_b32 v13, 0
	v_dual_mov_b32 v7, v2 :: v_dual_lshlrev_b32 v16, 5, v6
	v_dual_mov_b32 v10, 0 :: v_dual_mov_b32 v5, v0
	v_mov_b32_e32 v14, 0
	v_mov_b32_e32 v12, 0
.LBB106_17:                             ; =>This Inner Loop Header: Depth=1
	s_delay_alu instid0(VALU_DEP_3) | instskip(SKIP_1) | instid1(VALU_DEP_2)
	v_ashrrev_i32_e32 v6, 31, v5
	v_subrev_nc_u32_e32 v16, 32, v16
	v_lshlrev_b64 v[17:18], 2, v[5:6]
	s_delay_alu instid0(VALU_DEP_1) | instskip(NEXT) | instid1(VALU_DEP_2)
	v_add_co_u32 v17, vcc_lo, s8, v17
	v_add_co_ci_u32_e32 v18, vcc_lo, s9, v18, vcc_lo
	global_load_b32 v6, v[17:18], off
	global_load_b128 v[17:20], v[7:8], off
	s_waitcnt vmcnt(1)
	v_subrev_nc_u32_e32 v6, s18, v6
	s_delay_alu instid0(VALU_DEP_1) | instskip(NEXT) | instid1(VALU_DEP_1)
	v_lshlrev_b32_e32 v21, 2, v6
	v_ashrrev_i32_e32 v22, 31, v21
	s_delay_alu instid0(VALU_DEP_1) | instskip(SKIP_1) | instid1(VALU_DEP_1)
	v_lshlrev_b64 v[21:22], 1, v[21:22]
	s_waitcnt lgkmcnt(0)
	v_add_co_u32 v25, vcc_lo, s4, v21
	s_delay_alu instid0(VALU_DEP_2)
	v_add_co_ci_u32_e32 v26, vcc_lo, s5, v22, vcc_lo
	global_load_b128 v[21:24], v[7:8], off offset:16
	global_load_b64 v[25:26], v[25:26], off
	v_add_co_u32 v7, vcc_lo, 0x100, v7
	v_add_co_ci_u32_e32 v8, vcc_lo, 0, v8, vcc_lo
	v_cmp_eq_u32_e32 vcc_lo, 0, v16
	s_or_b32 s10, vcc_lo, s10
	s_waitcnt vmcnt(1)
	v_lshlrev_b32_e32 v30, 16, v21
	s_waitcnt vmcnt(0)
	v_lshlrev_b32_e32 v34, 16, v25
	v_lshlrev_b32_e32 v6, 16, v17
	;; [unrolled: 1-line block ×4, first 2 shown]
	v_and_b32_e32 v22, 0xffff0000, v22
	v_fmac_f32_e32 v13, v30, v34
	v_dual_fmac_f32 v12, v6, v34 :: v_dual_add_nc_u32 v5, 8, v5
	v_lshlrev_b32_e32 v6, 16, v26
	v_lshlrev_b32_e32 v28, 16, v19
	v_and_b32_e32 v17, 0xffff0000, v17
	v_dual_fmac_f32 v10, v32, v34 :: v_dual_and_b32 v19, 0xffff0000, v19
	s_delay_alu instid0(VALU_DEP_3) | instskip(NEXT) | instid1(VALU_DEP_1)
	v_dual_fmac_f32 v14, v28, v34 :: v_dual_and_b32 v25, 0xffff0000, v25
	v_dual_fmac_f32 v12, v17, v25 :: v_dual_lshlrev_b32 v27, 16, v18
	s_delay_alu instid0(VALU_DEP_2) | instskip(SKIP_2) | instid1(VALU_DEP_4)
	v_fmac_f32_e32 v14, v19, v25
	v_and_b32_e32 v21, 0xffff0000, v21
	v_and_b32_e32 v17, 0xffff0000, v26
	v_dual_fmac_f32 v12, v27, v6 :: v_dual_and_b32 v23, 0xffff0000, v23
	s_delay_alu instid0(VALU_DEP_3) | instskip(NEXT) | instid1(VALU_DEP_2)
	v_dual_fmac_f32 v13, v21, v25 :: v_dual_and_b32 v18, 0xffff0000, v18
	v_dual_fmac_f32 v10, v23, v25 :: v_dual_lshlrev_b32 v29, 16, v20
	s_delay_alu instid0(VALU_DEP_2) | instskip(SKIP_1) | instid1(VALU_DEP_2)
	v_dual_fmac_f32 v12, v18, v17 :: v_dual_fmac_f32 v13, v31, v6
	v_and_b32_e32 v20, 0xffff0000, v20
	v_dual_fmac_f32 v14, v29, v6 :: v_dual_fmac_f32 v13, v22, v17
	s_delay_alu instid0(VALU_DEP_1) | instskip(SKIP_1) | instid1(VALU_DEP_2)
	v_dual_fmac_f32 v14, v20, v17 :: v_dual_lshlrev_b32 v33, 16, v24
	v_and_b32_e32 v24, 0xffff0000, v24
	v_fmac_f32_e32 v10, v33, v6
	s_delay_alu instid0(VALU_DEP_1)
	v_fmac_f32_e32 v10, v24, v17
	s_and_not1_b32 exec_lo, exec_lo, s10
	s_cbranch_execnz .LBB106_17
; %bb.18:
	s_or_b32 exec_lo, exec_lo, s10
.LBB106_19:
	s_delay_alu instid0(SALU_CYCLE_1) | instskip(NEXT) | instid1(SALU_CYCLE_1)
	s_or_b32 exec_lo, exec_lo, s7
	s_mov_b32 s7, exec_lo
	v_cmpx_lt_u32_e32 23, v1
	s_cbranch_execz .LBB106_23
; %bb.20:
	s_mov_b32 s10, 0
.LBB106_21:                             ; =>This Inner Loop Header: Depth=1
	v_ashrrev_i32_e32 v6, 31, v5
	s_delay_alu instid0(VALU_DEP_1) | instskip(NEXT) | instid1(VALU_DEP_1)
	v_lshlrev_b64 v[16:17], 2, v[5:6]
	v_add_co_u32 v16, vcc_lo, s8, v16
	s_delay_alu instid0(VALU_DEP_2)
	v_add_co_ci_u32_e32 v17, vcc_lo, s9, v17, vcc_lo
	s_clause 0x3
	global_load_b32 v1, v[16:17], off
	global_load_b32 v6, v[16:17], off offset:32
	global_load_b32 v48, v[16:17], off offset:64
	global_load_b32 v49, v[16:17], off offset:96
	s_clause 0x7
	global_load_b128 v[16:19], v[7:8], off
	global_load_b128 v[20:23], v[7:8], off offset:16
	global_load_b128 v[24:27], v[7:8], off offset:256
	;; [unrolled: 1-line block ×7, first 2 shown]
	s_waitcnt vmcnt(11)
	v_subrev_nc_u32_e32 v1, s18, v1
	s_waitcnt vmcnt(10)
	v_subrev_nc_u32_e32 v6, s18, v6
	;; [unrolled: 2-line block ×4, first 2 shown]
	s_waitcnt vmcnt(4)
	v_lshlrev_b32_e32 v68, 16, v30
	v_and_b32_e32 v30, 0xffff0000, v30
	s_waitcnt vmcnt(2)
	v_lshlrev_b32_e32 v75, 16, v37
	v_and_b32_e32 v37, 0xffff0000, v37
	v_lshlrev_b32_e32 v62, 16, v24
	v_lshlrev_b32_e32 v76, 16, v38
	v_and_b32_e32 v38, 0xffff0000, v38
	s_waitcnt vmcnt(0)
	v_lshlrev_b32_e32 v82, 16, v44
	v_and_b32_e32 v44, 0xffff0000, v44
	v_and_b32_e32 v24, 0xffff0000, v24
	v_lshlrev_b32_e32 v67, 16, v29
	v_lshlrev_b32_e32 v83, 16, v45
	;; [unrolled: 1-line block ×3, first 2 shown]
	v_and_b32_e32 v26, 0xffff0000, v26
	v_and_b32_e32 v29, 0xffff0000, v29
	v_lshlrev_b32_e32 v58, 16, v20
	v_lshlrev_b32_e32 v48, 2, v1
	v_lshlrev_b32_e32 v74, 16, v36
	v_and_b32_e32 v36, 0xffff0000, v36
	v_and_b32_e32 v20, 0xffff0000, v20
	v_lshlrev_b32_e32 v50, 2, v6
	v_ashrrev_i32_e32 v49, 31, v48
	v_lshlrev_b32_e32 v60, 16, v22
	v_and_b32_e32 v22, 0xffff0000, v22
	v_lshlrev_b32_e32 v59, 16, v21
	v_lshlrev_b32_e32 v52, 2, v51
	v_lshlrev_b64 v[48:49], 1, v[48:49]
	v_ashrrev_i32_e32 v51, 31, v50
	v_and_b32_e32 v21, 0xffff0000, v21
	v_lshlrev_b32_e32 v54, 2, v53
	v_ashrrev_i32_e32 v53, 31, v52
	v_lshlrev_b32_e32 v56, 16, v18
	s_waitcnt lgkmcnt(0)
	v_add_co_u32 v48, vcc_lo, s4, v48
	v_add_co_ci_u32_e32 v49, vcc_lo, s5, v49, vcc_lo
	v_lshlrev_b64 v[50:51], 1, v[50:51]
	v_lshlrev_b64 v[52:53], 1, v[52:53]
	v_ashrrev_i32_e32 v55, 31, v54
	global_load_b64 v[48:49], v[48:49], off
	v_and_b32_e32 v18, 0xffff0000, v18
	v_and_b32_e32 v45, 0xffff0000, v45
	v_add_co_u32 v50, vcc_lo, s4, v50
	v_add_co_ci_u32_e32 v51, vcc_lo, s5, v51, vcc_lo
	v_add_co_u32 v52, vcc_lo, s4, v52
	v_add_co_ci_u32_e32 v53, vcc_lo, s5, v53, vcc_lo
	global_load_b64 v[50:51], v[50:51], off
	v_lshlrev_b64 v[54:55], 1, v[54:55]
	v_lshlrev_b32_e32 v66, 16, v28
	global_load_b64 v[52:53], v[52:53], off
	v_and_b32_e32 v6, 0xffff0000, v16
	v_and_b32_e32 v28, 0xffff0000, v28
	v_lshlrev_b32_e32 v70, 16, v32
	v_add_co_u32 v54, vcc_lo, s4, v54
	v_add_co_ci_u32_e32 v55, vcc_lo, s5, v55, vcc_lo
	v_lshlrev_b32_e32 v72, 16, v34
	v_lshlrev_b32_e32 v78, 16, v40
	v_and_b32_e32 v40, 0xffff0000, v40
	global_load_b64 v[54:55], v[54:55], off
	v_and_b32_e32 v32, 0xffff0000, v32
	v_and_b32_e32 v34, 0xffff0000, v34
	v_lshlrev_b32_e32 v80, 16, v42
	v_and_b32_e32 v42, 0xffff0000, v42
	v_lshlrev_b32_e32 v84, 16, v46
	v_and_b32_e32 v46, 0xffff0000, v46
	v_add_co_u32 v7, vcc_lo, 0x400, v7
	v_add_co_ci_u32_e32 v8, vcc_lo, 0, v8, vcc_lo
	s_waitcnt vmcnt(3)
	v_lshlrev_b32_e32 v86, 16, v48
	v_lshlrev_b32_e32 v1, 16, v16
	;; [unrolled: 1-line block ×3, first 2 shown]
	v_and_b32_e32 v17, 0xffff0000, v17
	v_and_b32_e32 v48, 0xffff0000, v48
	v_fmac_f32_e32 v10, v60, v86
	v_dual_fmac_f32 v14, v56, v86 :: v_dual_add_nc_u32 v5, 32, v5
	v_fmac_f32_e32 v12, v1, v86
	v_fmac_f32_e32 v13, v58, v86
	v_lshlrev_b32_e32 v57, 16, v19
	s_delay_alu instid0(VALU_DEP_4) | instskip(NEXT) | instid1(VALU_DEP_4)
	v_dual_fmac_f32 v14, v18, v48 :: v_dual_and_b32 v19, 0xffff0000, v19
	v_dual_fmac_f32 v12, v6, v48 :: v_dual_lshlrev_b32 v1, 16, v49
	v_lshlrev_b32_e32 v61, 16, v23
	v_fmac_f32_e32 v13, v20, v48
	v_dual_fmac_f32 v10, v22, v48 :: v_dual_and_b32 v23, 0xffff0000, v23
	s_delay_alu instid0(VALU_DEP_4) | instskip(SKIP_2) | instid1(VALU_DEP_4)
	v_fmac_f32_e32 v14, v57, v1
	v_and_b32_e32 v6, 0xffff0000, v49
	v_dual_fmac_f32 v12, v16, v1 :: v_dual_lshlrev_b32 v65, 16, v27
	v_fmac_f32_e32 v10, v61, v1
	v_fmac_f32_e32 v13, v59, v1
	s_delay_alu instid0(VALU_DEP_4) | instskip(NEXT) | instid1(VALU_DEP_3)
	v_dual_fmac_f32 v14, v19, v6 :: v_dual_lshlrev_b32 v63, 16, v25
	v_dual_fmac_f32 v10, v23, v6 :: v_dual_and_b32 v25, 0xffff0000, v25
	s_waitcnt vmcnt(2)
	v_lshlrev_b32_e32 v1, 16, v50
	v_fmac_f32_e32 v12, v17, v6
	v_fmac_f32_e32 v13, v21, v6
	v_and_b32_e32 v27, 0xffff0000, v27
	s_delay_alu instid0(VALU_DEP_4)
	v_dual_fmac_f32 v14, v64, v1 :: v_dual_lshlrev_b32 v69, 16, v31
	v_dual_fmac_f32 v10, v68, v1 :: v_dual_and_b32 v31, 0xffff0000, v31
	v_and_b32_e32 v6, 0xffff0000, v50
	v_fmac_f32_e32 v12, v62, v1
	v_fmac_f32_e32 v13, v66, v1
	v_lshlrev_b32_e32 v71, 16, v33
	s_delay_alu instid0(VALU_DEP_4) | instskip(NEXT) | instid1(VALU_DEP_4)
	v_dual_fmac_f32 v14, v26, v6 :: v_dual_lshlrev_b32 v1, 16, v51
	v_fmac_f32_e32 v12, v24, v6
	s_delay_alu instid0(VALU_DEP_4) | instskip(SKIP_1) | instid1(VALU_DEP_4)
	v_fmac_f32_e32 v13, v28, v6
	v_dual_fmac_f32 v10, v30, v6 :: v_dual_lshlrev_b32 v73, 16, v35
	v_dual_fmac_f32 v14, v65, v1 :: v_dual_and_b32 v35, 0xffff0000, v35
	s_delay_alu instid0(VALU_DEP_2)
	v_dual_fmac_f32 v10, v69, v1 :: v_dual_lshlrev_b32 v77, 16, v39
	v_and_b32_e32 v6, 0xffff0000, v51
	v_fmac_f32_e32 v12, v63, v1
	v_fmac_f32_e32 v13, v67, v1
	v_and_b32_e32 v33, 0xffff0000, v33
	s_waitcnt vmcnt(1)
	v_dual_fmac_f32 v14, v27, v6 :: v_dual_lshlrev_b32 v1, 16, v52
	v_fmac_f32_e32 v12, v25, v6
	v_fmac_f32_e32 v13, v29, v6
	v_dual_fmac_f32 v10, v31, v6 :: v_dual_and_b32 v39, 0xffff0000, v39
	s_delay_alu instid0(VALU_DEP_4) | instskip(NEXT) | instid1(VALU_DEP_2)
	v_dual_fmac_f32 v14, v72, v1 :: v_dual_lshlrev_b32 v81, 16, v43
	v_dual_fmac_f32 v10, v76, v1 :: v_dual_and_b32 v43, 0xffff0000, v43
	v_and_b32_e32 v6, 0xffff0000, v52
	v_fmac_f32_e32 v12, v70, v1
	v_fmac_f32_e32 v13, v74, v1
	v_lshlrev_b32_e32 v79, 16, v41
	s_delay_alu instid0(VALU_DEP_4) | instskip(NEXT) | instid1(VALU_DEP_4)
	v_dual_fmac_f32 v14, v34, v6 :: v_dual_and_b32 v41, 0xffff0000, v41
	v_dual_fmac_f32 v12, v32, v6 :: v_dual_lshlrev_b32 v1, 16, v53
	s_delay_alu instid0(VALU_DEP_4) | instskip(SKIP_1) | instid1(VALU_DEP_3)
	v_fmac_f32_e32 v13, v36, v6
	v_dual_fmac_f32 v10, v38, v6 :: v_dual_lshlrev_b32 v85, 16, v47
	v_dual_fmac_f32 v14, v73, v1 :: v_dual_and_b32 v47, 0xffff0000, v47
	v_and_b32_e32 v6, 0xffff0000, v53
	v_fmac_f32_e32 v12, v71, v1
	v_fmac_f32_e32 v13, v75, v1
	s_waitcnt vmcnt(0)
	v_dual_fmac_f32 v10, v77, v1 :: v_dual_lshlrev_b32 v1, 16, v54
	v_fmac_f32_e32 v14, v35, v6
	v_fmac_f32_e32 v12, v33, v6
	;; [unrolled: 1-line block ×3, first 2 shown]
	s_delay_alu instid0(VALU_DEP_4)
	v_fmac_f32_e32 v10, v39, v6
	v_and_b32_e32 v6, 0xffff0000, v54
	v_fmac_f32_e32 v14, v80, v1
	v_fmac_f32_e32 v12, v78, v1
	;; [unrolled: 1-line block ×3, first 2 shown]
	v_dual_fmac_f32 v10, v84, v1 :: v_dual_lshlrev_b32 v1, 16, v55
	s_delay_alu instid0(VALU_DEP_4) | instskip(NEXT) | instid1(VALU_DEP_4)
	v_fmac_f32_e32 v14, v42, v6
	v_fmac_f32_e32 v12, v40, v6
	s_delay_alu instid0(VALU_DEP_4) | instskip(NEXT) | instid1(VALU_DEP_4)
	v_fmac_f32_e32 v13, v44, v6
	v_fmac_f32_e32 v10, v46, v6
	v_and_b32_e32 v6, 0xffff0000, v55
	v_fmac_f32_e32 v14, v81, v1
	v_fmac_f32_e32 v12, v79, v1
	;; [unrolled: 1-line block ×4, first 2 shown]
	v_cmp_ge_i32_e32 vcc_lo, v5, v11
	v_fmac_f32_e32 v14, v43, v6
	v_fmac_f32_e32 v12, v41, v6
	;; [unrolled: 1-line block ×4, first 2 shown]
	s_or_b32 s10, vcc_lo, s10
	s_delay_alu instid0(SALU_CYCLE_1)
	s_and_not1_b32 exec_lo, exec_lo, s10
	s_cbranch_execnz .LBB106_21
; %bb.22:
	s_or_b32 exec_lo, exec_lo, s10
.LBB106_23:
	s_delay_alu instid0(SALU_CYCLE_1)
	s_or_b32 exec_lo, exec_lo, s7
.LBB106_24:
	s_delay_alu instid0(SALU_CYCLE_1) | instskip(NEXT) | instid1(SALU_CYCLE_1)
	s_or_b32 exec_lo, exec_lo, s6
	s_and_not1_b32 vcc_lo, exec_lo, s3
	s_cbranch_vccz .LBB106_26
	s_branch .LBB106_37
.LBB106_25:
                                        ; implicit-def: $vgpr10
                                        ; implicit-def: $vgpr13
                                        ; implicit-def: $vgpr14
                                        ; implicit-def: $vgpr12
.LBB106_26:
	v_dual_mov_b32 v10, 0 :: v_dual_mov_b32 v13, 0
	v_mov_b32_e32 v14, 0
	v_mov_b32_e32 v12, 0
	s_and_saveexec_b32 s3, s2
	s_cbranch_execz .LBB106_36
; %bb.27:
	v_dual_mov_b32 v12, 0 :: v_dual_add_nc_u32 v1, v15, v9
	v_not_b32_e32 v5, v15
	v_mov_b32_e32 v13, 0
	s_mov_b32 s6, 0
	s_delay_alu instid0(VALU_DEP_3) | instskip(SKIP_2) | instid1(VALU_DEP_2)
	v_subrev_nc_u32_e32 v1, s18, v1
	s_mov_b32 s2, exec_lo
	v_mov_b32_e32 v14, 0
	v_dual_mov_b32 v10, 0 :: v_dual_add_nc_u32 v1, 8, v1
	s_delay_alu instid0(VALU_DEP_1) | instskip(NEXT) | instid1(VALU_DEP_1)
	v_max_i32_e32 v1, v1, v11
	v_add3_u32 v1, v1, s18, v5
	s_delay_alu instid0(VALU_DEP_1) | instskip(NEXT) | instid1(VALU_DEP_1)
	v_sub_nc_u32_e32 v5, v1, v9
	v_lshrrev_b32_e32 v1, 3, v5
	s_delay_alu instid0(VALU_DEP_1) | instskip(NEXT) | instid1(VALU_DEP_1)
	v_add_nc_u32_e32 v1, 1, v1
	v_and_b32_e32 v1, 3, v1
	s_delay_alu instid0(VALU_DEP_1)
	v_cmpx_ne_u32_e32 0, v1
	s_cbranch_execz .LBB106_31
; %bb.28:
	v_dual_mov_b32 v13, 0 :: v_dual_lshlrev_b32 v6, 5, v1
	v_mov_b32_e32 v10, 0
	v_mov_b32_e32 v14, 0
	;; [unrolled: 1-line block ×3, first 2 shown]
.LBB106_29:                             ; =>This Inner Loop Header: Depth=1
	v_ashrrev_i32_e32 v1, 31, v0
	v_subrev_nc_u32_e32 v6, 32, v6
	s_delay_alu instid0(VALU_DEP_2) | instskip(NEXT) | instid1(VALU_DEP_1)
	v_lshlrev_b64 v[7:8], 2, v[0:1]
	v_add_co_u32 v7, vcc_lo, s8, v7
	s_delay_alu instid0(VALU_DEP_2) | instskip(SKIP_4) | instid1(VALU_DEP_1)
	v_add_co_ci_u32_e32 v8, vcc_lo, s9, v8, vcc_lo
	global_load_b32 v1, v[7:8], off
	global_load_b128 v[15:18], v[2:3], off
	s_waitcnt vmcnt(1)
	v_subrev_nc_u32_e32 v1, s18, v1
	v_lshlrev_b32_e32 v7, 2, v1
	s_delay_alu instid0(VALU_DEP_1) | instskip(NEXT) | instid1(VALU_DEP_1)
	v_ashrrev_i32_e32 v8, 31, v7
	v_lshlrev_b64 v[7:8], 1, v[7:8]
	s_waitcnt lgkmcnt(0)
	s_delay_alu instid0(VALU_DEP_1) | instskip(NEXT) | instid1(VALU_DEP_2)
	v_add_co_u32 v7, vcc_lo, s4, v7
	v_add_co_ci_u32_e32 v8, vcc_lo, s5, v8, vcc_lo
	global_load_b64 v[7:8], v[7:8], off
	global_load_b128 v[19:22], v[2:3], off offset:16
	v_add_co_u32 v2, vcc_lo, 0x100, v2
	v_add_co_ci_u32_e32 v3, vcc_lo, 0, v3, vcc_lo
	v_cmp_eq_u32_e32 vcc_lo, 0, v6
	s_or_b32 s6, vcc_lo, s6
	s_waitcnt vmcnt(1)
	v_lshlrev_b32_e32 v30, 16, v7
	v_lshlrev_b32_e32 v1, 16, v15
	s_waitcnt vmcnt(0)
	v_lshlrev_b32_e32 v29, 16, v22
	v_lshlrev_b32_e32 v24, 16, v17
	v_and_b32_e32 v7, 0xffff0000, v7
	v_lshlrev_b32_e32 v23, 16, v16
	v_lshlrev_b32_e32 v25, 16, v18
	v_and_b32_e32 v16, 0xffff0000, v16
	v_and_b32_e32 v15, 0xffff0000, v15
	v_lshlrev_b32_e32 v26, 16, v19
	v_lshlrev_b32_e32 v28, 16, v21
	v_and_b32_e32 v22, 0xffff0000, v22
	v_fmac_f32_e32 v10, v16, v30
	v_fmac_f32_e32 v14, v15, v30
	v_dual_fmac_f32 v12, v1, v30 :: v_dual_lshlrev_b32 v1, 16, v8
	s_delay_alu instid0(VALU_DEP_1) | instskip(SKIP_2) | instid1(VALU_DEP_3)
	v_fmac_f32_e32 v12, v24, v7
	v_and_b32_e32 v19, 0xffff0000, v19
	v_dual_fmac_f32 v13, v23, v30 :: v_dual_add_nc_u32 v0, 8, v0
	v_dual_fmac_f32 v12, v26, v1 :: v_dual_lshlrev_b32 v27, 16, v20
	v_and_b32_e32 v18, 0xffff0000, v18
	v_and_b32_e32 v17, 0xffff0000, v17
	;; [unrolled: 1-line block ×3, first 2 shown]
	s_delay_alu instid0(VALU_DEP_3) | instskip(NEXT) | instid1(VALU_DEP_3)
	v_fmac_f32_e32 v10, v18, v7
	v_fmac_f32_e32 v14, v17, v7
	;; [unrolled: 1-line block ×3, first 2 shown]
	v_and_b32_e32 v7, 0xffff0000, v8
	v_and_b32_e32 v21, 0xffff0000, v21
	s_delay_alu instid0(VALU_DEP_4) | instskip(NEXT) | instid1(VALU_DEP_3)
	v_fmac_f32_e32 v14, v19, v1
	v_fmac_f32_e32 v12, v28, v7
	s_delay_alu instid0(VALU_DEP_2) | instskip(NEXT) | instid1(VALU_DEP_1)
	v_dual_fmac_f32 v14, v21, v7 :: v_dual_fmac_f32 v13, v27, v1
	v_dual_fmac_f32 v10, v20, v1 :: v_dual_fmac_f32 v13, v29, v7
	s_delay_alu instid0(VALU_DEP_1)
	v_fmac_f32_e32 v10, v22, v7
	s_and_not1_b32 exec_lo, exec_lo, s6
	s_cbranch_execnz .LBB106_29
; %bb.30:
	s_or_b32 exec_lo, exec_lo, s6
.LBB106_31:
	s_delay_alu instid0(SALU_CYCLE_1) | instskip(NEXT) | instid1(SALU_CYCLE_1)
	s_or_b32 exec_lo, exec_lo, s2
	s_mov_b32 s2, exec_lo
	v_cmpx_lt_u32_e32 23, v5
	s_cbranch_execz .LBB106_35
; %bb.32:
	s_mov_b32 s6, 0
.LBB106_33:                             ; =>This Inner Loop Header: Depth=1
	v_ashrrev_i32_e32 v1, 31, v0
	s_delay_alu instid0(VALU_DEP_1) | instskip(NEXT) | instid1(VALU_DEP_1)
	v_lshlrev_b64 v[5:6], 2, v[0:1]
	v_add_co_u32 v5, vcc_lo, s8, v5
	s_delay_alu instid0(VALU_DEP_2)
	v_add_co_ci_u32_e32 v6, vcc_lo, s9, v6, vcc_lo
	s_clause 0x3
	global_load_b32 v1, v[5:6], off
	global_load_b32 v39, v[5:6], off offset:32
	global_load_b32 v40, v[5:6], off offset:64
	;; [unrolled: 1-line block ×3, first 2 shown]
	s_clause 0x6
	global_load_b128 v[5:8], v[2:3], off
	global_load_b128 v[15:18], v[2:3], off offset:16
	global_load_b128 v[19:22], v[2:3], off offset:256
	;; [unrolled: 1-line block ×6, first 2 shown]
	s_waitcnt vmcnt(10)
	v_subrev_nc_u32_e32 v1, s18, v1
	s_waitcnt vmcnt(9)
	v_subrev_nc_u32_e32 v42, s18, v39
	;; [unrolled: 2-line block ×4, first 2 shown]
	v_lshlrev_b32_e32 v39, 2, v1
	s_waitcnt vmcnt(5)
	v_lshlrev_b32_e32 v56, 16, v17
	v_and_b32_e32 v17, 0xffff0000, v17
	v_lshlrev_b32_e32 v55, 16, v16
	v_lshlrev_b32_e32 v52, 16, v7
	;; [unrolled: 1-line block ×4, first 2 shown]
	s_waitcnt vmcnt(4)
	v_lshlrev_b32_e32 v59, 16, v20
	v_lshlrev_b32_e32 v54, 16, v15
	v_and_b32_e32 v15, 0xffff0000, v15
	v_and_b32_e32 v7, 0xffff0000, v7
	v_lshlrev_b32_e32 v1, 16, v5
	s_waitcnt vmcnt(2)
	v_lshlrev_b32_e32 v67, 16, v28
	v_and_b32_e32 v20, 0xffff0000, v20
	v_lshlrev_b32_e32 v61, 16, v22
	v_and_b32_e32 v16, 0xffff0000, v16
	;; [unrolled: 2-line block ×3, first 2 shown]
	v_and_b32_e32 v5, 0xffff0000, v5
	v_lshlrev_b32_e32 v43, 2, v40
	v_ashrrev_i32_e32 v40, 31, v39
	v_ashrrev_i32_e32 v42, 31, v41
	v_lshlrev_b32_e32 v51, 16, v6
	v_and_b32_e32 v6, 0xffff0000, v6
	v_lshlrev_b32_e32 v45, 2, v44
	v_lshlrev_b64 v[39:40], 1, v[39:40]
	v_ashrrev_i32_e32 v44, 31, v43
	v_lshlrev_b64 v[41:42], 1, v[41:42]
	s_waitcnt vmcnt(1)
	v_lshlrev_b32_e32 v70, 16, v31
	v_ashrrev_i32_e32 v46, 31, v45
	v_lshlrev_b32_e32 v72, 16, v33
	v_lshlrev_b64 v[43:44], 1, v[43:44]
	s_waitcnt lgkmcnt(0)
	v_add_co_u32 v39, vcc_lo, s4, v39
	v_add_co_ci_u32_e32 v40, vcc_lo, s5, v40, vcc_lo
	v_lshlrev_b64 v[45:46], 1, v[45:46]
	v_add_co_u32 v41, vcc_lo, s4, v41
	v_add_co_ci_u32_e32 v42, vcc_lo, s5, v42, vcc_lo
	v_add_co_u32 v43, vcc_lo, s4, v43
	v_add_co_ci_u32_e32 v44, vcc_lo, s5, v44, vcc_lo
	;; [unrolled: 2-line block ×3, first 2 shown]
	s_clause 0x3
	global_load_b64 v[47:48], v[39:40], off
	global_load_b64 v[49:50], v[41:42], off
	;; [unrolled: 1-line block ×4, first 2 shown]
	global_load_b128 v[39:42], v[2:3], off offset:784
	v_lshlrev_b32_e32 v69, 16, v30
	v_and_b32_e32 v22, 0xffff0000, v22
	v_lshlrev_b32_e32 v65, 16, v26
	v_lshlrev_b32_e32 v58, 16, v19
	;; [unrolled: 1-line block ×3, first 2 shown]
	v_and_b32_e32 v21, 0xffff0000, v21
	v_lshlrev_b32_e32 v64, 16, v25
	v_and_b32_e32 v25, 0xffff0000, v25
	v_lshlrev_b32_e32 v71, 16, v32
	v_lshlrev_b32_e32 v62, 16, v23
	v_and_b32_e32 v33, 0xffff0000, v33
	v_and_b32_e32 v32, 0xffff0000, v32
	v_lshlrev_b32_e32 v68, 16, v29
	v_and_b32_e32 v29, 0xffff0000, v29
	s_waitcnt vmcnt(5)
	v_lshlrev_b32_e32 v74, 16, v35
	v_lshlrev_b32_e32 v76, 16, v37
	v_and_b32_e32 v37, 0xffff0000, v37
	v_add_co_u32 v2, vcc_lo, 0x400, v2
	v_add_co_ci_u32_e32 v3, vcc_lo, 0, v3, vcc_lo
	s_waitcnt vmcnt(4)
	v_lshlrev_b32_e32 v82, 16, v47
	v_and_b32_e32 v47, 0xffff0000, v47
	s_waitcnt vmcnt(0)
	s_delay_alu instid0(VALU_DEP_2)
	v_dual_fmac_f32 v10, v6, v82 :: v_dual_lshlrev_b32 v79, 16, v40
	v_and_b32_e32 v28, 0xffff0000, v28
	v_lshlrev_b32_e32 v77, 16, v38
	v_lshlrev_b32_e32 v66, 16, v27
	;; [unrolled: 1-line block ×3, first 2 shown]
	v_fmac_f32_e32 v10, v8, v47
	v_dual_fmac_f32 v14, v5, v82 :: v_dual_and_b32 v5, 0xffff0000, v48
	v_and_b32_e32 v38, 0xffff0000, v38
	v_and_b32_e32 v40, 0xffff0000, v40
	v_lshlrev_b32_e32 v80, 16, v41
	s_delay_alu instid0(VALU_DEP_4) | instskip(SKIP_1) | instid1(VALU_DEP_1)
	v_fmac_f32_e32 v14, v7, v47
	v_dual_fmac_f32 v12, v1, v82 :: v_dual_lshlrev_b32 v1, 16, v48
	v_dual_fmac_f32 v12, v52, v47 :: v_dual_and_b32 v41, 0xffff0000, v41
	s_delay_alu instid0(VALU_DEP_2) | instskip(NEXT) | instid1(VALU_DEP_2)
	v_fmac_f32_e32 v10, v16, v1
	v_fmac_f32_e32 v12, v54, v1
	v_dual_fmac_f32 v13, v51, v82 :: v_dual_add_nc_u32 v0, 32, v0
	s_delay_alu instid0(VALU_DEP_2) | instskip(NEXT) | instid1(VALU_DEP_2)
	v_fmac_f32_e32 v12, v56, v5
	v_dual_fmac_f32 v14, v15, v1 :: v_dual_fmac_f32 v13, v53, v47
	s_delay_alu instid0(VALU_DEP_3) | instskip(NEXT) | instid1(VALU_DEP_2)
	v_cmp_ge_i32_e32 vcc_lo, v0, v11
	v_fmac_f32_e32 v14, v17, v5
	s_delay_alu instid0(VALU_DEP_3) | instskip(SKIP_3) | instid1(VALU_DEP_2)
	v_fmac_f32_e32 v13, v55, v1
	v_lshlrev_b32_e32 v1, 16, v49
	v_and_b32_e32 v19, 0xffff0000, v19
	s_or_b32 s6, vcc_lo, s6
	v_fmac_f32_e32 v12, v58, v1
	s_delay_alu instid0(VALU_DEP_2) | instskip(SKIP_1) | instid1(VALU_DEP_1)
	v_dual_fmac_f32 v14, v19, v1 :: v_dual_lshlrev_b32 v63, 16, v24
	v_and_b32_e32 v18, 0xffff0000, v18
	v_fmac_f32_e32 v10, v18, v5
	v_fmac_f32_e32 v13, v57, v5
	v_and_b32_e32 v5, 0xffff0000, v49
	s_delay_alu instid0(VALU_DEP_3) | instskip(NEXT) | instid1(VALU_DEP_3)
	v_dual_fmac_f32 v10, v20, v1 :: v_dual_and_b32 v23, 0xffff0000, v23
	v_fmac_f32_e32 v13, v59, v1
	s_delay_alu instid0(VALU_DEP_3) | instskip(SKIP_1) | instid1(VALU_DEP_4)
	v_dual_fmac_f32 v12, v60, v5 :: v_dual_lshlrev_b32 v1, 16, v50
	v_fmac_f32_e32 v14, v21, v5
	v_fmac_f32_e32 v10, v22, v5
	s_delay_alu instid0(VALU_DEP_4) | instskip(SKIP_3) | instid1(VALU_DEP_4)
	v_fmac_f32_e32 v13, v61, v5
	v_and_b32_e32 v5, 0xffff0000, v50
	v_dual_fmac_f32 v12, v62, v1 :: v_dual_and_b32 v27, 0xffff0000, v27
	v_fmac_f32_e32 v14, v23, v1
	v_fmac_f32_e32 v13, v63, v1
	s_delay_alu instid0(VALU_DEP_3) | instskip(NEXT) | instid1(VALU_DEP_3)
	v_dual_fmac_f32 v12, v64, v5 :: v_dual_and_b32 v31, 0xffff0000, v31
	v_dual_fmac_f32 v14, v25, v5 :: v_dual_lshlrev_b32 v75, 16, v36
	v_and_b32_e32 v26, 0xffff0000, v26
	v_lshlrev_b32_e32 v73, 16, v34
	v_and_b32_e32 v24, 0xffff0000, v24
	v_dual_fmac_f32 v13, v65, v5 :: v_dual_and_b32 v34, 0xffff0000, v34
	v_and_b32_e32 v36, 0xffff0000, v36
	s_delay_alu instid0(VALU_DEP_3) | instskip(NEXT) | instid1(VALU_DEP_1)
	v_dual_fmac_f32 v10, v24, v1 :: v_dual_lshlrev_b32 v1, 16, v43
	v_dual_fmac_f32 v10, v26, v5 :: v_dual_and_b32 v35, 0xffff0000, v35
	s_delay_alu instid0(VALU_DEP_2) | instskip(SKIP_2) | instid1(VALU_DEP_4)
	v_dual_fmac_f32 v12, v66, v1 :: v_dual_and_b32 v5, 0xffff0000, v43
	v_fmac_f32_e32 v14, v27, v1
	v_fmac_f32_e32 v13, v67, v1
	v_dual_fmac_f32 v10, v28, v1 :: v_dual_lshlrev_b32 v81, 16, v42
	v_and_b32_e32 v30, 0xffff0000, v30
	v_dual_fmac_f32 v12, v68, v5 :: v_dual_and_b32 v39, 0xffff0000, v39
	v_dual_fmac_f32 v14, v29, v5 :: v_dual_lshlrev_b32 v1, 16, v44
	v_fmac_f32_e32 v13, v69, v5
	s_delay_alu instid0(VALU_DEP_4) | instskip(SKIP_1) | instid1(VALU_DEP_4)
	v_fmac_f32_e32 v10, v30, v5
	v_and_b32_e32 v42, 0xffff0000, v42
	v_fmac_f32_e32 v12, v70, v1
	v_fmac_f32_e32 v14, v31, v1
	;; [unrolled: 1-line block ×4, first 2 shown]
	v_lshlrev_b32_e32 v1, 16, v45
	v_and_b32_e32 v5, 0xffff0000, v44
	s_delay_alu instid0(VALU_DEP_1) | instskip(NEXT) | instid1(VALU_DEP_1)
	v_fmac_f32_e32 v14, v33, v5
	v_fmac_f32_e32 v14, v35, v1
	;; [unrolled: 1-line block ×5, first 2 shown]
	v_and_b32_e32 v5, 0xffff0000, v45
	s_delay_alu instid0(VALU_DEP_4) | instskip(NEXT) | instid1(VALU_DEP_4)
	v_fmac_f32_e32 v12, v74, v1
	v_fmac_f32_e32 v13, v75, v1
	s_delay_alu instid0(VALU_DEP_4) | instskip(NEXT) | instid1(VALU_DEP_4)
	v_dual_fmac_f32 v10, v36, v1 :: v_dual_lshlrev_b32 v1, 16, v46
	v_fmac_f32_e32 v14, v37, v5
	s_delay_alu instid0(VALU_DEP_4) | instskip(NEXT) | instid1(VALU_DEP_4)
	v_fmac_f32_e32 v12, v76, v5
	v_fmac_f32_e32 v13, v77, v5
	s_delay_alu instid0(VALU_DEP_4) | instskip(NEXT) | instid1(VALU_DEP_4)
	v_dual_fmac_f32 v10, v38, v5 :: v_dual_and_b32 v5, 0xffff0000, v46
	v_fmac_f32_e32 v14, v39, v1
	s_delay_alu instid0(VALU_DEP_4) | instskip(NEXT) | instid1(VALU_DEP_4)
	v_fmac_f32_e32 v12, v78, v1
	v_fmac_f32_e32 v13, v79, v1
	s_delay_alu instid0(VALU_DEP_4) | instskip(NEXT) | instid1(VALU_DEP_4)
	v_fmac_f32_e32 v10, v40, v1
	;; [unrolled: 3-line block ×3, first 2 shown]
	v_fmac_f32_e32 v13, v81, v5
	s_delay_alu instid0(VALU_DEP_4)
	v_fmac_f32_e32 v10, v42, v5
	s_and_not1_b32 exec_lo, exec_lo, s6
	s_cbranch_execnz .LBB106_33
; %bb.34:
	s_or_b32 exec_lo, exec_lo, s6
.LBB106_35:
	s_delay_alu instid0(SALU_CYCLE_1)
	s_or_b32 exec_lo, exec_lo, s2
.LBB106_36:
	s_delay_alu instid0(SALU_CYCLE_1)
	s_or_b32 exec_lo, exec_lo, s3
.LBB106_37:
	v_mbcnt_lo_u32_b32 v0, -1, 0
	s_mov_b32 s2, -1
	s_delay_alu instid0(VALU_DEP_1) | instskip(SKIP_2) | instid1(VALU_DEP_3)
	v_xor_b32_e32 v1, 4, v0
	v_xor_b32_e32 v6, 2, v0
	;; [unrolled: 1-line block ×3, first 2 shown]
	v_cmp_gt_i32_e32 vcc_lo, 32, v1
	v_cndmask_b32_e32 v1, v0, v1, vcc_lo
	s_delay_alu instid0(VALU_DEP_4) | instskip(SKIP_2) | instid1(VALU_DEP_2)
	v_cmp_gt_i32_e32 vcc_lo, 32, v6
	v_cndmask_b32_e32 v6, v0, v6, vcc_lo
	v_cmp_gt_i32_e32 vcc_lo, 32, v11
	v_lshlrev_b32_e32 v6, 2, v6
	v_dual_cndmask_b32 v0, v0, v11 :: v_dual_lshlrev_b32 v1, 2, v1
	v_cmp_eq_u32_e32 vcc_lo, 7, v9
	ds_bpermute_b32 v2, v1, v12
	s_waitcnt lgkmcnt(0)
	v_add_f32_e32 v2, v12, v2
	ds_bpermute_b32 v5, v1, v13
	ds_bpermute_b32 v3, v1, v14
	;; [unrolled: 1-line block ×3, first 2 shown]
	s_waitcnt lgkmcnt(2)
	v_add_f32_e32 v5, v13, v5
	s_waitcnt lgkmcnt(1)
	v_add_f32_e32 v3, v14, v3
	;; [unrolled: 2-line block ×3, first 2 shown]
	ds_bpermute_b32 v1, v6, v2
	v_lshlrev_b32_e32 v11, 2, v0
	ds_bpermute_b32 v10, v6, v5
	ds_bpermute_b32 v8, v6, v3
	s_waitcnt lgkmcnt(2)
	v_add_f32_e32 v0, v2, v1
	s_waitcnt lgkmcnt(1)
	v_add_f32_e32 v2, v5, v10
	ds_bpermute_b32 v6, v6, v7
	s_waitcnt lgkmcnt(1)
	v_add_f32_e32 v1, v3, v8
	ds_bpermute_b32 v5, v11, v0
	;; [unrolled: 3-line block ×3, first 2 shown]
	ds_bpermute_b32 v7, v11, v2
	ds_bpermute_b32 v8, v11, v3
	s_and_b32 exec_lo, exec_lo, vcc_lo
	s_cbranch_execz .LBB106_10
; %bb.38:
	s_load_b64 s[0:1], s[0:1], 0x50
	s_waitcnt lgkmcnt(0)
	v_dual_add_f32 v0, v0, v5 :: v_dual_add_f32 v1, v1, v6
	v_dual_add_f32 v2, v2, v7 :: v_dual_add_f32 v3, v3, v8
	v_cmp_eq_f32_e64 s3, s12, 0
	s_delay_alu instid0(VALU_DEP_3) | instskip(NEXT) | instid1(VALU_DEP_3)
	v_dual_mul_f32 v0, s16, v0 :: v_dual_mul_f32 v1, s16, v1
	v_dual_mul_f32 v2, s16, v2 :: v_dual_mul_f32 v3, s16, v3
	v_lshlrev_b32_e32 v4, 2, v4
	s_delay_alu instid0(VALU_DEP_4)
	s_and_b32 vcc_lo, exec_lo, s3
	s_cbranch_vccz .LBB106_40
; %bb.39:
	s_delay_alu instid0(VALU_DEP_1) | instskip(SKIP_1) | instid1(VALU_DEP_1)
	v_ashrrev_i32_e32 v5, 31, v4
	s_mov_b32 s2, 0
	v_lshlrev_b64 v[5:6], 2, v[4:5]
	s_delay_alu instid0(VALU_DEP_1) | instskip(NEXT) | instid1(VALU_DEP_2)
	v_add_co_u32 v5, vcc_lo, s0, v5
	v_add_co_ci_u32_e32 v6, vcc_lo, s1, v6, vcc_lo
	global_store_b128 v[5:6], v[0:3], off
.LBB106_40:
	s_and_not1_b32 vcc_lo, exec_lo, s2
	s_cbranch_vccnz .LBB106_10
; %bb.41:
	v_ashrrev_i32_e32 v5, 31, v4
	s_delay_alu instid0(VALU_DEP_1) | instskip(NEXT) | instid1(VALU_DEP_1)
	v_lshlrev_b64 v[4:5], 2, v[4:5]
	v_add_co_u32 v8, vcc_lo, s0, v4
	s_delay_alu instid0(VALU_DEP_2)
	v_add_co_ci_u32_e32 v9, vcc_lo, s1, v5, vcc_lo
	global_load_b128 v[4:7], v[8:9], off
	s_waitcnt vmcnt(0)
	v_dual_fmac_f32 v0, s12, v4 :: v_dual_fmac_f32 v1, s12, v5
	v_dual_fmac_f32 v2, s12, v6 :: v_dual_fmac_f32 v3, s12, v7
	global_store_b128 v[8:9], v[0:3], off
	s_nop 0
	s_sendmsg sendmsg(MSG_DEALLOC_VGPRS)
	s_endpgm
	.section	.rodata,"a",@progbits
	.p2align	6, 0x0
	.amdhsa_kernel _ZN9rocsparseL18bsrxmvn_4x4_kernelILj128ELj8Efii18rocsparse_bfloat16S1_fEEvT3_20rocsparse_direction_NS_24const_host_device_scalarIT1_EES2_PKS2_PKT2_SB_S8_PKT4_PKT5_S6_PT6_21rocsparse_index_base_b
		.amdhsa_group_segment_fixed_size 0
		.amdhsa_private_segment_fixed_size 0
		.amdhsa_kernarg_size 96
		.amdhsa_user_sgpr_count 15
		.amdhsa_user_sgpr_dispatch_ptr 0
		.amdhsa_user_sgpr_queue_ptr 0
		.amdhsa_user_sgpr_kernarg_segment_ptr 1
		.amdhsa_user_sgpr_dispatch_id 0
		.amdhsa_user_sgpr_private_segment_size 0
		.amdhsa_wavefront_size32 1
		.amdhsa_uses_dynamic_stack 0
		.amdhsa_enable_private_segment 0
		.amdhsa_system_sgpr_workgroup_id_x 1
		.amdhsa_system_sgpr_workgroup_id_y 0
		.amdhsa_system_sgpr_workgroup_id_z 0
		.amdhsa_system_sgpr_workgroup_info 0
		.amdhsa_system_vgpr_workitem_id 0
		.amdhsa_next_free_vgpr 87
		.amdhsa_next_free_sgpr 20
		.amdhsa_reserve_vcc 1
		.amdhsa_float_round_mode_32 0
		.amdhsa_float_round_mode_16_64 0
		.amdhsa_float_denorm_mode_32 3
		.amdhsa_float_denorm_mode_16_64 3
		.amdhsa_dx10_clamp 1
		.amdhsa_ieee_mode 1
		.amdhsa_fp16_overflow 0
		.amdhsa_workgroup_processor_mode 1
		.amdhsa_memory_ordered 1
		.amdhsa_forward_progress 0
		.amdhsa_shared_vgpr_count 0
		.amdhsa_exception_fp_ieee_invalid_op 0
		.amdhsa_exception_fp_denorm_src 0
		.amdhsa_exception_fp_ieee_div_zero 0
		.amdhsa_exception_fp_ieee_overflow 0
		.amdhsa_exception_fp_ieee_underflow 0
		.amdhsa_exception_fp_ieee_inexact 0
		.amdhsa_exception_int_div_zero 0
	.end_amdhsa_kernel
	.section	.text._ZN9rocsparseL18bsrxmvn_4x4_kernelILj128ELj8Efii18rocsparse_bfloat16S1_fEEvT3_20rocsparse_direction_NS_24const_host_device_scalarIT1_EES2_PKS2_PKT2_SB_S8_PKT4_PKT5_S6_PT6_21rocsparse_index_base_b,"axG",@progbits,_ZN9rocsparseL18bsrxmvn_4x4_kernelILj128ELj8Efii18rocsparse_bfloat16S1_fEEvT3_20rocsparse_direction_NS_24const_host_device_scalarIT1_EES2_PKS2_PKT2_SB_S8_PKT4_PKT5_S6_PT6_21rocsparse_index_base_b,comdat
.Lfunc_end106:
	.size	_ZN9rocsparseL18bsrxmvn_4x4_kernelILj128ELj8Efii18rocsparse_bfloat16S1_fEEvT3_20rocsparse_direction_NS_24const_host_device_scalarIT1_EES2_PKS2_PKT2_SB_S8_PKT4_PKT5_S6_PT6_21rocsparse_index_base_b, .Lfunc_end106-_ZN9rocsparseL18bsrxmvn_4x4_kernelILj128ELj8Efii18rocsparse_bfloat16S1_fEEvT3_20rocsparse_direction_NS_24const_host_device_scalarIT1_EES2_PKS2_PKT2_SB_S8_PKT4_PKT5_S6_PT6_21rocsparse_index_base_b
                                        ; -- End function
	.section	.AMDGPU.csdata,"",@progbits
; Kernel info:
; codeLenInByte = 4500
; NumSgprs: 22
; NumVgprs: 87
; ScratchSize: 0
; MemoryBound: 0
; FloatMode: 240
; IeeeMode: 1
; LDSByteSize: 0 bytes/workgroup (compile time only)
; SGPRBlocks: 2
; VGPRBlocks: 10
; NumSGPRsForWavesPerEU: 22
; NumVGPRsForWavesPerEU: 87
; Occupancy: 16
; WaveLimiterHint : 1
; COMPUTE_PGM_RSRC2:SCRATCH_EN: 0
; COMPUTE_PGM_RSRC2:USER_SGPR: 15
; COMPUTE_PGM_RSRC2:TRAP_HANDLER: 0
; COMPUTE_PGM_RSRC2:TGID_X_EN: 1
; COMPUTE_PGM_RSRC2:TGID_Y_EN: 0
; COMPUTE_PGM_RSRC2:TGID_Z_EN: 0
; COMPUTE_PGM_RSRC2:TIDIG_COMP_CNT: 0
	.section	.text._ZN9rocsparseL18bsrxmvn_4x4_kernelILj128ELj16Efii18rocsparse_bfloat16S1_fEEvT3_20rocsparse_direction_NS_24const_host_device_scalarIT1_EES2_PKS2_PKT2_SB_S8_PKT4_PKT5_S6_PT6_21rocsparse_index_base_b,"axG",@progbits,_ZN9rocsparseL18bsrxmvn_4x4_kernelILj128ELj16Efii18rocsparse_bfloat16S1_fEEvT3_20rocsparse_direction_NS_24const_host_device_scalarIT1_EES2_PKS2_PKT2_SB_S8_PKT4_PKT5_S6_PT6_21rocsparse_index_base_b,comdat
	.globl	_ZN9rocsparseL18bsrxmvn_4x4_kernelILj128ELj16Efii18rocsparse_bfloat16S1_fEEvT3_20rocsparse_direction_NS_24const_host_device_scalarIT1_EES2_PKS2_PKT2_SB_S8_PKT4_PKT5_S6_PT6_21rocsparse_index_base_b ; -- Begin function _ZN9rocsparseL18bsrxmvn_4x4_kernelILj128ELj16Efii18rocsparse_bfloat16S1_fEEvT3_20rocsparse_direction_NS_24const_host_device_scalarIT1_EES2_PKS2_PKT2_SB_S8_PKT4_PKT5_S6_PT6_21rocsparse_index_base_b
	.p2align	8
	.type	_ZN9rocsparseL18bsrxmvn_4x4_kernelILj128ELj16Efii18rocsparse_bfloat16S1_fEEvT3_20rocsparse_direction_NS_24const_host_device_scalarIT1_EES2_PKS2_PKT2_SB_S8_PKT4_PKT5_S6_PT6_21rocsparse_index_base_b,@function
_ZN9rocsparseL18bsrxmvn_4x4_kernelILj128ELj16Efii18rocsparse_bfloat16S1_fEEvT3_20rocsparse_direction_NS_24const_host_device_scalarIT1_EES2_PKS2_PKT2_SB_S8_PKT4_PKT5_S6_PT6_21rocsparse_index_base_b: ; @_ZN9rocsparseL18bsrxmvn_4x4_kernelILj128ELj16Efii18rocsparse_bfloat16S1_fEEvT3_20rocsparse_direction_NS_24const_host_device_scalarIT1_EES2_PKS2_PKT2_SB_S8_PKT4_PKT5_S6_PT6_21rocsparse_index_base_b
; %bb.0:
	s_clause 0x2
	s_load_b64 s[18:19], s[0:1], 0x58
	s_load_b64 s[16:17], s[0:1], 0x8
	;; [unrolled: 1-line block ×3, first 2 shown]
	s_waitcnt lgkmcnt(0)
	s_bitcmp1_b32 s19, 0
	s_cselect_b32 s2, -1, 0
	s_delay_alu instid0(SALU_CYCLE_1)
	s_and_b32 vcc_lo, exec_lo, s2
	s_xor_b32 s2, s2, -1
	s_cbranch_vccnz .LBB107_2
; %bb.1:
	s_load_b32 s16, s[16:17], 0x0
.LBB107_2:
	s_and_not1_b32 vcc_lo, exec_lo, s2
	s_cbranch_vccnz .LBB107_4
; %bb.3:
	s_load_b32 s12, s[12:13], 0x0
.LBB107_4:
	s_waitcnt lgkmcnt(0)
	v_cmp_neq_f32_e64 s2, s16, 0
	v_cmp_neq_f32_e64 s3, s12, 1.0
	s_mov_b32 s6, 0
	s_delay_alu instid0(VALU_DEP_1) | instskip(NEXT) | instid1(SALU_CYCLE_1)
	s_or_b32 s2, s2, s3
	s_and_not1_b32 vcc_lo, exec_lo, s2
	s_cbranch_vccnz .LBB107_10
; %bb.5:
	s_clause 0x1
	s_load_b64 s[4:5], s[0:1], 0x18
	s_load_b64 s[2:3], s[0:1], 0x0
	v_lshrrev_b32_e32 v1, 4, v0
	s_delay_alu instid0(VALU_DEP_1)
	v_lshl_or_b32 v4, s15, 3, v1
	s_waitcnt lgkmcnt(0)
	s_cmp_lg_u64 s[4:5], 0
	s_cbranch_scc0 .LBB107_11
; %bb.6:
	s_load_b32 s6, s[0:1], 0x10
	s_mov_b32 s7, 0
                                        ; implicit-def: $vgpr1
	s_waitcnt lgkmcnt(0)
	v_cmp_gt_i32_e32 vcc_lo, s6, v4
	s_mov_b32 s6, 0
	s_and_saveexec_b32 s8, vcc_lo
	s_delay_alu instid0(SALU_CYCLE_1)
	s_xor_b32 s8, exec_lo, s8
	s_cbranch_execz .LBB107_8
; %bb.7:
	v_ashrrev_i32_e32 v5, 31, v4
	s_mov_b32 s6, exec_lo
	s_delay_alu instid0(VALU_DEP_1) | instskip(NEXT) | instid1(VALU_DEP_1)
	v_lshlrev_b64 v[1:2], 2, v[4:5]
	v_add_co_u32 v1, vcc_lo, s4, v1
	s_delay_alu instid0(VALU_DEP_2)
	v_add_co_ci_u32_e32 v2, vcc_lo, s5, v2, vcc_lo
	global_load_b32 v1, v[1:2], off
	s_waitcnt vmcnt(0)
	v_subrev_nc_u32_e32 v1, s18, v1
.LBB107_8:
	s_or_b32 exec_lo, exec_lo, s8
	s_delay_alu instid0(SALU_CYCLE_1)
	s_and_b32 vcc_lo, exec_lo, s7
	s_cbranch_vccz .LBB107_12
.LBB107_9:
	v_cmp_gt_i32_e32 vcc_lo, s2, v4
	s_and_not1_b32 s2, s6, exec_lo
	s_and_b32 s4, vcc_lo, exec_lo
	s_delay_alu instid0(SALU_CYCLE_1) | instskip(NEXT) | instid1(SALU_CYCLE_1)
	s_or_b32 s6, s2, s4
	s_and_saveexec_b32 s2, s6
	s_cbranch_execnz .LBB107_13
.LBB107_10:
	s_nop 0
	s_sendmsg sendmsg(MSG_DEALLOC_VGPRS)
	s_endpgm
.LBB107_11:
                                        ; implicit-def: $vgpr1
	s_cbranch_execnz .LBB107_9
.LBB107_12:
	s_delay_alu instid0(VALU_DEP_1)
	v_mov_b32_e32 v4, v1
	s_and_saveexec_b32 s2, s6
	s_cbranch_execz .LBB107_10
.LBB107_13:
	s_load_b256 s[4:11], s[0:1], 0x20
	s_delay_alu instid0(VALU_DEP_1) | instskip(SKIP_1) | instid1(VALU_DEP_2)
	v_ashrrev_i32_e32 v5, 31, v4
	v_and_b32_e32 v9, 15, v0
	v_lshlrev_b64 v[1:2], 2, v[4:5]
	s_waitcnt lgkmcnt(0)
	s_delay_alu instid0(VALU_DEP_1) | instskip(NEXT) | instid1(VALU_DEP_2)
	v_add_co_u32 v5, vcc_lo, s4, v1
	v_add_co_ci_u32_e32 v6, vcc_lo, s5, v2, vcc_lo
	v_add_co_u32 v1, vcc_lo, s6, v1
	v_add_co_ci_u32_e32 v2, vcc_lo, s7, v2, vcc_lo
	global_load_b32 v15, v[5:6], off
	v_add_co_u32 v3, vcc_lo, v5, 4
	v_add_co_ci_u32_e32 v5, vcc_lo, 0, v6, vcc_lo
	s_cmp_eq_u64 s[6:7], 0
	s_load_b64 s[4:5], s[0:1], 0x40
	s_cselect_b32 vcc_lo, -1, 0
	s_cmp_eq_u32 s3, 1
	v_dual_cndmask_b32 v2, v2, v5 :: v_dual_cndmask_b32 v1, v1, v3
	global_load_b32 v5, v[1:2], off
	s_waitcnt vmcnt(1)
	v_subrev_nc_u32_e32 v0, s18, v15
	s_delay_alu instid0(VALU_DEP_1) | instskip(NEXT) | instid1(VALU_DEP_1)
	v_add_nc_u32_e32 v0, v0, v9
	v_ashrrev_i32_e32 v1, 31, v0
	s_waitcnt vmcnt(0)
	v_subrev_nc_u32_e32 v13, s18, v5
	s_delay_alu instid0(VALU_DEP_2) | instskip(NEXT) | instid1(VALU_DEP_2)
	v_lshlrev_b64 v[2:3], 5, v[0:1]
	v_cmp_lt_i32_e64 s2, v0, v13
	s_delay_alu instid0(VALU_DEP_2) | instskip(NEXT) | instid1(VALU_DEP_3)
	v_add_co_u32 v2, vcc_lo, s10, v2
	v_add_co_ci_u32_e32 v3, vcc_lo, s11, v3, vcc_lo
	s_cbranch_scc1 .LBB107_25
; %bb.14:
	v_dual_mov_b32 v10, 0 :: v_dual_mov_b32 v11, 0
	v_mov_b32_e32 v12, 0
	v_mov_b32_e32 v14, 0
	s_mov_b32 s3, 0
	s_and_saveexec_b32 s6, s2
	s_cbranch_execz .LBB107_24
; %bb.15:
	v_dual_mov_b32 v14, 0 :: v_dual_add_nc_u32 v1, v15, v9
	v_not_b32_e32 v5, v15
	s_mov_b32 s10, 0
	s_mov_b32 s7, exec_lo
	s_delay_alu instid0(VALU_DEP_2) | instskip(SKIP_3) | instid1(VALU_DEP_4)
	v_subrev_nc_u32_e32 v1, s18, v1
	v_mov_b32_e32 v12, 0
	v_mov_b32_e32 v10, 0
	v_dual_mov_b32 v8, v3 :: v_dual_mov_b32 v7, v2
	v_add_nc_u32_e32 v1, 16, v1
	s_delay_alu instid0(VALU_DEP_1) | instskip(NEXT) | instid1(VALU_DEP_1)
	v_max_i32_e32 v1, v1, v13
	v_add3_u32 v1, v1, s18, v5
	s_delay_alu instid0(VALU_DEP_1) | instskip(NEXT) | instid1(VALU_DEP_1)
	v_sub_nc_u32_e32 v1, v1, v9
	v_lshrrev_b32_e32 v5, 4, v1
	s_delay_alu instid0(VALU_DEP_1) | instskip(NEXT) | instid1(VALU_DEP_1)
	v_add_nc_u32_e32 v5, 1, v5
	v_dual_mov_b32 v11, 0 :: v_dual_and_b32 v6, 3, v5
	v_mov_b32_e32 v5, v0
	s_delay_alu instid0(VALU_DEP_2)
	v_cmpx_ne_u32_e32 0, v6
	s_cbranch_execz .LBB107_19
; %bb.16:
	v_dual_mov_b32 v8, v3 :: v_dual_mov_b32 v11, 0
	v_dual_mov_b32 v7, v2 :: v_dual_lshlrev_b32 v16, 5, v6
	v_dual_mov_b32 v10, 0 :: v_dual_mov_b32 v5, v0
	v_mov_b32_e32 v12, 0
	v_mov_b32_e32 v14, 0
.LBB107_17:                             ; =>This Inner Loop Header: Depth=1
	s_delay_alu instid0(VALU_DEP_3) | instskip(SKIP_1) | instid1(VALU_DEP_2)
	v_ashrrev_i32_e32 v6, 31, v5
	v_subrev_nc_u32_e32 v16, 32, v16
	v_lshlrev_b64 v[17:18], 2, v[5:6]
	s_delay_alu instid0(VALU_DEP_1) | instskip(NEXT) | instid1(VALU_DEP_2)
	v_add_co_u32 v17, vcc_lo, s8, v17
	v_add_co_ci_u32_e32 v18, vcc_lo, s9, v18, vcc_lo
	global_load_b32 v6, v[17:18], off
	global_load_b128 v[17:20], v[7:8], off
	s_waitcnt vmcnt(1)
	v_subrev_nc_u32_e32 v6, s18, v6
	s_waitcnt vmcnt(0)
	v_lshlrev_b32_e32 v28, 16, v19
	v_and_b32_e32 v19, 0xffff0000, v19
	s_delay_alu instid0(VALU_DEP_3) | instskip(SKIP_1) | instid1(VALU_DEP_2)
	v_lshlrev_b32_e32 v21, 2, v6
	v_lshlrev_b32_e32 v6, 16, v17
	v_ashrrev_i32_e32 v22, 31, v21
	s_delay_alu instid0(VALU_DEP_1) | instskip(SKIP_1) | instid1(VALU_DEP_1)
	v_lshlrev_b64 v[21:22], 1, v[21:22]
	s_waitcnt lgkmcnt(0)
	v_add_co_u32 v25, vcc_lo, s4, v21
	s_delay_alu instid0(VALU_DEP_2)
	v_add_co_ci_u32_e32 v26, vcc_lo, s5, v22, vcc_lo
	global_load_b128 v[21:24], v[7:8], off offset:16
	global_load_b64 v[25:26], v[25:26], off
	v_add_co_u32 v7, vcc_lo, 0x200, v7
	v_add_co_ci_u32_e32 v8, vcc_lo, 0, v8, vcc_lo
	v_cmp_eq_u32_e32 vcc_lo, 0, v16
	s_or_b32 s10, vcc_lo, s10
	s_waitcnt vmcnt(1)
	v_lshlrev_b32_e32 v32, 16, v23
	s_waitcnt vmcnt(0)
	v_lshlrev_b32_e32 v34, 16, v25
	v_lshlrev_b32_e32 v30, 16, v21
	v_and_b32_e32 v17, 0xffff0000, v17
	s_delay_alu instid0(VALU_DEP_3) | instskip(NEXT) | instid1(VALU_DEP_3)
	v_fmac_f32_e32 v11, v6, v34
	v_dual_fmac_f32 v12, v30, v34 :: v_dual_add_nc_u32 v5, 16, v5
	v_fmac_f32_e32 v14, v28, v34
	v_lshlrev_b32_e32 v6, 16, v26
	v_and_b32_e32 v25, 0xffff0000, v25
	v_dual_fmac_f32 v10, v32, v34 :: v_dual_and_b32 v23, 0xffff0000, v23
	s_delay_alu instid0(VALU_DEP_2) | instskip(SKIP_1) | instid1(VALU_DEP_3)
	v_dual_fmac_f32 v14, v19, v25 :: v_dual_lshlrev_b32 v29, 16, v20
	v_fmac_f32_e32 v11, v17, v25
	v_fmac_f32_e32 v10, v23, v25
	v_and_b32_e32 v21, 0xffff0000, v21
	v_and_b32_e32 v17, 0xffff0000, v26
	v_fmac_f32_e32 v14, v29, v6
	v_lshlrev_b32_e32 v27, 16, v18
	v_and_b32_e32 v18, 0xffff0000, v18
	v_fmac_f32_e32 v12, v21, v25
	s_delay_alu instid0(VALU_DEP_3) | instskip(SKIP_2) | instid1(VALU_DEP_3)
	v_dual_fmac_f32 v11, v27, v6 :: v_dual_and_b32 v20, 0xffff0000, v20
	v_lshlrev_b32_e32 v31, 16, v22
	v_and_b32_e32 v22, 0xffff0000, v22
	v_fmac_f32_e32 v14, v20, v17
	s_delay_alu instid0(VALU_DEP_3) | instskip(SKIP_2) | instid1(VALU_DEP_3)
	v_dual_fmac_f32 v11, v18, v17 :: v_dual_fmac_f32 v12, v31, v6
	v_lshlrev_b32_e32 v33, 16, v24
	v_and_b32_e32 v24, 0xffff0000, v24
	v_fmac_f32_e32 v12, v22, v17
	s_delay_alu instid0(VALU_DEP_3) | instskip(NEXT) | instid1(VALU_DEP_1)
	v_fmac_f32_e32 v10, v33, v6
	v_fmac_f32_e32 v10, v24, v17
	s_and_not1_b32 exec_lo, exec_lo, s10
	s_cbranch_execnz .LBB107_17
; %bb.18:
	s_or_b32 exec_lo, exec_lo, s10
.LBB107_19:
	s_delay_alu instid0(SALU_CYCLE_1) | instskip(NEXT) | instid1(SALU_CYCLE_1)
	s_or_b32 exec_lo, exec_lo, s7
	s_mov_b32 s7, exec_lo
	v_cmpx_lt_u32_e32 47, v1
	s_cbranch_execz .LBB107_23
; %bb.20:
	s_mov_b32 s10, 0
.LBB107_21:                             ; =>This Inner Loop Header: Depth=1
	v_ashrrev_i32_e32 v6, 31, v5
	s_delay_alu instid0(VALU_DEP_1) | instskip(NEXT) | instid1(VALU_DEP_1)
	v_lshlrev_b64 v[16:17], 2, v[5:6]
	v_add_co_u32 v16, vcc_lo, s8, v16
	s_delay_alu instid0(VALU_DEP_2)
	v_add_co_ci_u32_e32 v17, vcc_lo, s9, v17, vcc_lo
	s_clause 0x3
	global_load_b32 v1, v[16:17], off
	global_load_b32 v6, v[16:17], off offset:64
	global_load_b32 v48, v[16:17], off offset:128
	;; [unrolled: 1-line block ×3, first 2 shown]
	s_clause 0x7
	global_load_b128 v[16:19], v[7:8], off
	global_load_b128 v[20:23], v[7:8], off offset:16
	global_load_b128 v[24:27], v[7:8], off offset:512
	;; [unrolled: 1-line block ×7, first 2 shown]
	s_waitcnt vmcnt(11)
	v_subrev_nc_u32_e32 v1, s18, v1
	s_waitcnt vmcnt(10)
	v_subrev_nc_u32_e32 v6, s18, v6
	s_waitcnt vmcnt(9)
	v_subrev_nc_u32_e32 v51, s18, v48
	s_waitcnt vmcnt(8)
	v_subrev_nc_u32_e32 v53, s18, v49
	v_lshlrev_b32_e32 v48, 2, v1
	v_lshlrev_b32_e32 v50, 2, v6
	s_waitcnt vmcnt(5)
	v_lshlrev_b32_e32 v63, 16, v25
	v_and_b32_e32 v25, 0xffff0000, v25
	v_lshlrev_b32_e32 v58, 16, v20
	v_ashrrev_i32_e32 v49, 31, v48
	v_lshlrev_b32_e32 v1, 16, v16
	s_waitcnt vmcnt(4)
	v_lshlrev_b32_e32 v68, 16, v30
	v_and_b32_e32 v30, 0xffff0000, v30
	s_waitcnt vmcnt(3)
	v_lshlrev_b32_e32 v71, 16, v33
	v_lshlrev_b64 v[48:49], 1, v[48:49]
	v_and_b32_e32 v33, 0xffff0000, v33
	v_lshlrev_b32_e32 v62, 16, v24
	v_and_b32_e32 v6, 0xffff0000, v16
	s_waitcnt vmcnt(1)
	v_lshlrev_b32_e32 v78, 16, v40
	v_and_b32_e32 v40, 0xffff0000, v40
	s_waitcnt lgkmcnt(0)
	v_add_co_u32 v48, vcc_lo, s4, v48
	v_add_co_ci_u32_e32 v49, vcc_lo, s5, v49, vcc_lo
	v_and_b32_e32 v24, 0xffff0000, v24
	v_lshlrev_b32_e32 v16, 16, v17
	v_lshlrev_b32_e32 v52, 2, v51
	global_load_b64 v[48:49], v[48:49], off
	v_ashrrev_i32_e32 v51, 31, v50
	v_lshlrev_b32_e32 v60, 16, v22
	v_and_b32_e32 v17, 0xffff0000, v17
	v_lshlrev_b32_e32 v54, 2, v53
	v_ashrrev_i32_e32 v53, 31, v52
	v_lshlrev_b64 v[50:51], 1, v[50:51]
	v_lshlrev_b32_e32 v56, 16, v18
	v_and_b32_e32 v22, 0xffff0000, v22
	v_ashrrev_i32_e32 v55, 31, v54
	v_lshlrev_b64 v[52:53], 1, v[52:53]
	v_lshlrev_b32_e32 v70, 16, v32
	v_add_co_u32 v50, vcc_lo, s4, v50
	v_add_co_ci_u32_e32 v51, vcc_lo, s5, v51, vcc_lo
	s_delay_alu instid0(VALU_DEP_4)
	v_add_co_u32 v52, vcc_lo, s4, v52
	v_add_co_ci_u32_e32 v53, vcc_lo, s5, v53, vcc_lo
	global_load_b64 v[50:51], v[50:51], off
	v_lshlrev_b64 v[54:55], 1, v[54:55]
	v_and_b32_e32 v18, 0xffff0000, v18
	global_load_b64 v[52:53], v[52:53], off
	v_and_b32_e32 v32, 0xffff0000, v32
	v_and_b32_e32 v20, 0xffff0000, v20
	v_lshlrev_b32_e32 v72, 16, v34
	v_add_co_u32 v54, vcc_lo, s4, v54
	v_add_co_ci_u32_e32 v55, vcc_lo, s5, v55, vcc_lo
	v_and_b32_e32 v34, 0xffff0000, v34
	v_lshlrev_b32_e32 v74, 16, v36
	v_and_b32_e32 v36, 0xffff0000, v36
	global_load_b64 v[54:55], v[54:55], off
	v_lshlrev_b32_e32 v79, 16, v41
	v_lshlrev_b32_e32 v64, 16, v26
	v_and_b32_e32 v41, 0xffff0000, v41
	v_lshlrev_b32_e32 v66, 16, v28
	v_and_b32_e32 v26, 0xffff0000, v26
	v_and_b32_e32 v28, 0xffff0000, v28
	v_lshlrev_b32_e32 v76, 16, v38
	v_lshlrev_b32_e32 v80, 16, v42
	v_and_b32_e32 v42, 0xffff0000, v42
	v_and_b32_e32 v38, 0xffff0000, v38
	s_waitcnt vmcnt(4)
	v_lshlrev_b32_e32 v82, 16, v44
	v_and_b32_e32 v44, 0xffff0000, v44
	v_lshlrev_b32_e32 v84, 16, v46
	v_and_b32_e32 v46, 0xffff0000, v46
	v_add_co_u32 v7, vcc_lo, 0x800, v7
	v_add_co_ci_u32_e32 v8, vcc_lo, 0, v8, vcc_lo
	s_waitcnt vmcnt(3)
	v_lshlrev_b32_e32 v86, 16, v48
	v_add_nc_u32_e32 v5, 64, v5
	v_and_b32_e32 v48, 0xffff0000, v48
	s_delay_alu instid0(VALU_DEP_3) | instskip(SKIP_3) | instid1(VALU_DEP_4)
	v_fmac_f32_e32 v14, v56, v86
	v_fmac_f32_e32 v12, v58, v86
	v_fmac_f32_e32 v11, v1, v86
	v_dual_fmac_f32 v10, v60, v86 :: v_dual_lshlrev_b32 v57, 16, v19
	v_dual_fmac_f32 v14, v18, v48 :: v_dual_and_b32 v19, 0xffff0000, v19
	s_delay_alu instid0(VALU_DEP_4) | instskip(NEXT) | instid1(VALU_DEP_3)
	v_dual_fmac_f32 v12, v20, v48 :: v_dual_lshlrev_b32 v59, 16, v21
	v_dual_fmac_f32 v10, v22, v48 :: v_dual_lshlrev_b32 v1, 16, v49
	v_lshlrev_b32_e32 v61, 16, v23
	v_fmac_f32_e32 v11, v6, v48
	v_and_b32_e32 v23, 0xffff0000, v23
	v_and_b32_e32 v6, 0xffff0000, v49
	v_fmac_f32_e32 v12, v59, v1
	v_fmac_f32_e32 v14, v57, v1
	v_and_b32_e32 v21, 0xffff0000, v21
	v_dual_fmac_f32 v10, v61, v1 :: v_dual_lshlrev_b32 v65, 16, v27
	v_fmac_f32_e32 v11, v16, v1
	s_waitcnt vmcnt(2)
	v_lshlrev_b32_e32 v1, 16, v50
	v_fmac_f32_e32 v14, v19, v6
	v_fmac_f32_e32 v12, v21, v6
	;; [unrolled: 1-line block ×4, first 2 shown]
	s_delay_alu instid0(VALU_DEP_4) | instskip(NEXT) | instid1(VALU_DEP_4)
	v_dual_fmac_f32 v14, v64, v1 :: v_dual_and_b32 v27, 0xffff0000, v27
	v_dual_fmac_f32 v12, v66, v1 :: v_dual_lshlrev_b32 v69, 16, v31
	s_delay_alu instid0(VALU_DEP_4) | instskip(NEXT) | instid1(VALU_DEP_4)
	v_dual_fmac_f32 v10, v68, v1 :: v_dual_and_b32 v31, 0xffff0000, v31
	v_dual_fmac_f32 v11, v62, v1 :: v_dual_and_b32 v6, 0xffff0000, v50
	v_lshlrev_b32_e32 v67, 16, v29
	v_and_b32_e32 v29, 0xffff0000, v29
	s_delay_alu instid0(VALU_DEP_3) | instskip(NEXT) | instid1(VALU_DEP_4)
	v_dual_fmac_f32 v14, v26, v6 :: v_dual_lshlrev_b32 v1, 16, v51
	v_fmac_f32_e32 v11, v24, v6
	v_fmac_f32_e32 v12, v28, v6
	v_dual_fmac_f32 v10, v30, v6 :: v_dual_lshlrev_b32 v73, 16, v35
	s_delay_alu instid0(VALU_DEP_4) | instskip(NEXT) | instid1(VALU_DEP_3)
	v_dual_fmac_f32 v14, v65, v1 :: v_dual_and_b32 v35, 0xffff0000, v35
	v_dual_fmac_f32 v12, v67, v1 :: v_dual_lshlrev_b32 v77, 16, v39
	s_delay_alu instid0(VALU_DEP_3) | instskip(SKIP_4) | instid1(VALU_DEP_3)
	v_fmac_f32_e32 v10, v69, v1
	v_dual_fmac_f32 v11, v63, v1 :: v_dual_and_b32 v6, 0xffff0000, v51
	v_lshlrev_b32_e32 v75, 16, v37
	v_and_b32_e32 v37, 0xffff0000, v37
	s_waitcnt vmcnt(1)
	v_dual_fmac_f32 v14, v27, v6 :: v_dual_lshlrev_b32 v1, 16, v52
	v_fmac_f32_e32 v11, v25, v6
	v_fmac_f32_e32 v12, v29, v6
	v_dual_fmac_f32 v10, v31, v6 :: v_dual_and_b32 v39, 0xffff0000, v39
	s_delay_alu instid0(VALU_DEP_4) | instskip(NEXT) | instid1(VALU_DEP_3)
	v_dual_fmac_f32 v14, v72, v1 :: v_dual_lshlrev_b32 v81, 16, v43
	v_dual_fmac_f32 v12, v74, v1 :: v_dual_and_b32 v43, 0xffff0000, v43
	s_delay_alu instid0(VALU_DEP_3) | instskip(SKIP_4) | instid1(VALU_DEP_4)
	v_fmac_f32_e32 v10, v76, v1
	v_dual_fmac_f32 v11, v70, v1 :: v_dual_and_b32 v6, 0xffff0000, v52
	v_lshlrev_b32_e32 v83, 16, v45
	v_lshlrev_b32_e32 v1, 16, v53
	v_cmp_ge_i32_e32 vcc_lo, v5, v13
	v_fmac_f32_e32 v14, v34, v6
	v_fmac_f32_e32 v11, v32, v6
	;; [unrolled: 1-line block ×3, first 2 shown]
	v_dual_fmac_f32 v10, v38, v6 :: v_dual_lshlrev_b32 v85, 16, v47
	s_delay_alu instid0(VALU_DEP_4) | instskip(NEXT) | instid1(VALU_DEP_3)
	v_dual_fmac_f32 v14, v73, v1 :: v_dual_and_b32 v47, 0xffff0000, v47
	v_fmac_f32_e32 v12, v75, v1
	v_and_b32_e32 v6, 0xffff0000, v53
	v_fmac_f32_e32 v11, v71, v1
	s_waitcnt vmcnt(0)
	v_dual_fmac_f32 v10, v77, v1 :: v_dual_lshlrev_b32 v1, 16, v54
	s_delay_alu instid0(VALU_DEP_3) | instskip(NEXT) | instid1(VALU_DEP_3)
	v_dual_fmac_f32 v14, v35, v6 :: v_dual_and_b32 v45, 0xffff0000, v45
	v_fmac_f32_e32 v11, v33, v6
	v_fmac_f32_e32 v12, v37, v6
	s_delay_alu instid0(VALU_DEP_4)
	v_fmac_f32_e32 v10, v39, v6
	v_and_b32_e32 v6, 0xffff0000, v54
	v_fmac_f32_e32 v14, v80, v1
	v_fmac_f32_e32 v11, v78, v1
	;; [unrolled: 1-line block ×3, first 2 shown]
	v_dual_fmac_f32 v10, v84, v1 :: v_dual_lshlrev_b32 v1, 16, v55
	s_delay_alu instid0(VALU_DEP_4) | instskip(NEXT) | instid1(VALU_DEP_4)
	v_fmac_f32_e32 v14, v42, v6
	v_fmac_f32_e32 v11, v40, v6
	s_delay_alu instid0(VALU_DEP_4) | instskip(NEXT) | instid1(VALU_DEP_4)
	v_fmac_f32_e32 v12, v44, v6
	v_fmac_f32_e32 v10, v46, v6
	v_and_b32_e32 v6, 0xffff0000, v55
	v_fmac_f32_e32 v14, v81, v1
	v_fmac_f32_e32 v11, v79, v1
	;; [unrolled: 1-line block ×4, first 2 shown]
	s_or_b32 s10, vcc_lo, s10
	v_fmac_f32_e32 v14, v43, v6
	v_fmac_f32_e32 v11, v41, v6
	;; [unrolled: 1-line block ×4, first 2 shown]
	s_and_not1_b32 exec_lo, exec_lo, s10
	s_cbranch_execnz .LBB107_21
; %bb.22:
	s_or_b32 exec_lo, exec_lo, s10
.LBB107_23:
	s_delay_alu instid0(SALU_CYCLE_1)
	s_or_b32 exec_lo, exec_lo, s7
.LBB107_24:
	s_delay_alu instid0(SALU_CYCLE_1) | instskip(NEXT) | instid1(SALU_CYCLE_1)
	s_or_b32 exec_lo, exec_lo, s6
	s_and_not1_b32 vcc_lo, exec_lo, s3
	s_cbranch_vccz .LBB107_26
	s_branch .LBB107_37
.LBB107_25:
                                        ; implicit-def: $vgpr10
                                        ; implicit-def: $vgpr12
                                        ; implicit-def: $vgpr14
                                        ; implicit-def: $vgpr11
.LBB107_26:
	v_dual_mov_b32 v10, 0 :: v_dual_mov_b32 v11, 0
	v_mov_b32_e32 v12, 0
	v_mov_b32_e32 v14, 0
	s_and_saveexec_b32 s3, s2
	s_cbranch_execz .LBB107_36
; %bb.27:
	v_dual_mov_b32 v14, 0 :: v_dual_add_nc_u32 v1, v15, v9
	v_not_b32_e32 v5, v15
	v_mov_b32_e32 v11, 0
	s_mov_b32 s6, 0
	s_delay_alu instid0(VALU_DEP_3) | instskip(SKIP_2) | instid1(VALU_DEP_2)
	v_subrev_nc_u32_e32 v1, s18, v1
	s_mov_b32 s2, exec_lo
	v_mov_b32_e32 v12, 0
	v_dual_mov_b32 v10, 0 :: v_dual_add_nc_u32 v1, 16, v1
	s_delay_alu instid0(VALU_DEP_1) | instskip(NEXT) | instid1(VALU_DEP_1)
	v_max_i32_e32 v1, v1, v13
	v_add3_u32 v1, v1, s18, v5
	s_delay_alu instid0(VALU_DEP_1) | instskip(NEXT) | instid1(VALU_DEP_1)
	v_sub_nc_u32_e32 v5, v1, v9
	v_lshrrev_b32_e32 v1, 4, v5
	s_delay_alu instid0(VALU_DEP_1) | instskip(NEXT) | instid1(VALU_DEP_1)
	v_add_nc_u32_e32 v1, 1, v1
	v_and_b32_e32 v1, 3, v1
	s_delay_alu instid0(VALU_DEP_1)
	v_cmpx_ne_u32_e32 0, v1
	s_cbranch_execz .LBB107_31
; %bb.28:
	v_dual_mov_b32 v11, 0 :: v_dual_lshlrev_b32 v6, 5, v1
	v_mov_b32_e32 v10, 0
	v_mov_b32_e32 v12, 0
	;; [unrolled: 1-line block ×3, first 2 shown]
.LBB107_29:                             ; =>This Inner Loop Header: Depth=1
	v_ashrrev_i32_e32 v1, 31, v0
	v_subrev_nc_u32_e32 v6, 32, v6
	s_delay_alu instid0(VALU_DEP_2) | instskip(NEXT) | instid1(VALU_DEP_1)
	v_lshlrev_b64 v[7:8], 2, v[0:1]
	v_add_co_u32 v7, vcc_lo, s8, v7
	s_delay_alu instid0(VALU_DEP_2) | instskip(SKIP_4) | instid1(VALU_DEP_1)
	v_add_co_ci_u32_e32 v8, vcc_lo, s9, v8, vcc_lo
	global_load_b32 v1, v[7:8], off
	global_load_b128 v[15:18], v[2:3], off
	s_waitcnt vmcnt(1)
	v_subrev_nc_u32_e32 v1, s18, v1
	v_lshlrev_b32_e32 v7, 2, v1
	s_delay_alu instid0(VALU_DEP_1) | instskip(NEXT) | instid1(VALU_DEP_1)
	v_ashrrev_i32_e32 v8, 31, v7
	v_lshlrev_b64 v[7:8], 1, v[7:8]
	s_waitcnt lgkmcnt(0)
	s_delay_alu instid0(VALU_DEP_1) | instskip(NEXT) | instid1(VALU_DEP_2)
	v_add_co_u32 v7, vcc_lo, s4, v7
	v_add_co_ci_u32_e32 v8, vcc_lo, s5, v8, vcc_lo
	global_load_b64 v[7:8], v[7:8], off
	global_load_b128 v[19:22], v[2:3], off offset:16
	v_add_co_u32 v2, vcc_lo, 0x200, v2
	v_add_co_ci_u32_e32 v3, vcc_lo, 0, v3, vcc_lo
	v_cmp_eq_u32_e32 vcc_lo, 0, v6
	s_or_b32 s6, vcc_lo, s6
	s_waitcnt vmcnt(1)
	v_lshlrev_b32_e32 v30, 16, v7
	s_waitcnt vmcnt(0)
	v_lshlrev_b32_e32 v28, 16, v21
	v_lshlrev_b32_e32 v24, 16, v17
	v_and_b32_e32 v7, 0xffff0000, v7
	v_lshlrev_b32_e32 v25, 16, v18
	v_and_b32_e32 v17, 0xffff0000, v17
	v_lshlrev_b32_e32 v23, 16, v16
	v_lshlrev_b32_e32 v1, 16, v15
	v_and_b32_e32 v16, 0xffff0000, v16
	v_and_b32_e32 v15, 0xffff0000, v15
	v_lshlrev_b32_e32 v26, 16, v19
	s_delay_alu instid0(VALU_DEP_3) | instskip(NEXT) | instid1(VALU_DEP_3)
	v_fmac_f32_e32 v10, v16, v30
	v_fmac_f32_e32 v14, v15, v30
	s_delay_alu instid0(VALU_DEP_1) | instskip(SKIP_4) | instid1(VALU_DEP_3)
	v_fmac_f32_e32 v14, v17, v7
	v_fmac_f32_e32 v12, v23, v30
	v_dual_fmac_f32 v11, v1, v30 :: v_dual_add_nc_u32 v0, 16, v0
	v_lshlrev_b32_e32 v1, 16, v8
	v_lshlrev_b32_e32 v27, 16, v20
	v_dual_fmac_f32 v11, v24, v7 :: v_dual_and_b32 v20, 0xffff0000, v20
	s_delay_alu instid0(VALU_DEP_1) | instskip(NEXT) | instid1(VALU_DEP_1)
	v_dual_fmac_f32 v11, v26, v1 :: v_dual_and_b32 v18, 0xffff0000, v18
	v_fmac_f32_e32 v10, v18, v7
	v_fmac_f32_e32 v12, v25, v7
	v_and_b32_e32 v19, 0xffff0000, v19
	v_lshlrev_b32_e32 v29, 16, v22
	v_and_b32_e32 v22, 0xffff0000, v22
	v_dual_fmac_f32 v10, v20, v1 :: v_dual_and_b32 v7, 0xffff0000, v8
	v_fmac_f32_e32 v12, v27, v1
	v_and_b32_e32 v21, 0xffff0000, v21
	s_delay_alu instid0(VALU_DEP_3) | instskip(NEXT) | instid1(VALU_DEP_3)
	v_dual_fmac_f32 v14, v19, v1 :: v_dual_fmac_f32 v11, v28, v7
	v_fmac_f32_e32 v12, v29, v7
	v_fmac_f32_e32 v10, v22, v7
	s_delay_alu instid0(VALU_DEP_3)
	v_fmac_f32_e32 v14, v21, v7
	s_and_not1_b32 exec_lo, exec_lo, s6
	s_cbranch_execnz .LBB107_29
; %bb.30:
	s_or_b32 exec_lo, exec_lo, s6
.LBB107_31:
	s_delay_alu instid0(SALU_CYCLE_1) | instskip(NEXT) | instid1(SALU_CYCLE_1)
	s_or_b32 exec_lo, exec_lo, s2
	s_mov_b32 s2, exec_lo
	v_cmpx_lt_u32_e32 47, v5
	s_cbranch_execz .LBB107_35
; %bb.32:
	s_mov_b32 s6, 0
.LBB107_33:                             ; =>This Inner Loop Header: Depth=1
	v_ashrrev_i32_e32 v1, 31, v0
	s_delay_alu instid0(VALU_DEP_1) | instskip(NEXT) | instid1(VALU_DEP_1)
	v_lshlrev_b64 v[5:6], 2, v[0:1]
	v_add_co_u32 v5, vcc_lo, s8, v5
	s_delay_alu instid0(VALU_DEP_2)
	v_add_co_ci_u32_e32 v6, vcc_lo, s9, v6, vcc_lo
	s_clause 0x3
	global_load_b32 v1, v[5:6], off
	global_load_b32 v39, v[5:6], off offset:64
	global_load_b32 v40, v[5:6], off offset:128
	;; [unrolled: 1-line block ×3, first 2 shown]
	s_clause 0x6
	global_load_b128 v[5:8], v[2:3], off
	global_load_b128 v[15:18], v[2:3], off offset:16
	global_load_b128 v[19:22], v[2:3], off offset:512
	;; [unrolled: 1-line block ×6, first 2 shown]
	s_waitcnt vmcnt(10)
	v_subrev_nc_u32_e32 v1, s18, v1
	s_waitcnt vmcnt(9)
	v_subrev_nc_u32_e32 v42, s18, v39
	;; [unrolled: 2-line block ×4, first 2 shown]
	v_lshlrev_b32_e32 v39, 2, v1
	s_waitcnt vmcnt(5)
	v_lshlrev_b32_e32 v57, 16, v18
	v_lshlrev_b32_e32 v55, 16, v16
	s_waitcnt vmcnt(3)
	v_lshlrev_b32_e32 v64, 16, v25
	v_lshlrev_b32_e32 v58, 16, v19
	v_lshlrev_b32_e32 v54, 16, v15
	v_lshlrev_b32_e32 v52, 16, v7
	v_and_b32_e32 v7, 0xffff0000, v7
	v_lshlrev_b32_e32 v41, 2, v42
	v_lshlrev_b32_e32 v56, 16, v17
	v_and_b32_e32 v17, 0xffff0000, v17
	v_and_b32_e32 v15, 0xffff0000, v15
	v_lshlrev_b32_e32 v51, 16, v6
	v_lshlrev_b32_e32 v43, 2, v40
	v_ashrrev_i32_e32 v40, 31, v39
	v_ashrrev_i32_e32 v42, 31, v41
	v_and_b32_e32 v6, 0xffff0000, v6
	v_lshlrev_b32_e32 v45, 2, v44
	v_ashrrev_i32_e32 v44, 31, v43
	v_lshlrev_b64 v[39:40], 1, v[39:40]
	v_lshlrev_b64 v[41:42], 1, v[41:42]
	v_lshlrev_b32_e32 v60, 16, v21
	v_ashrrev_i32_e32 v46, 31, v45
	v_lshlrev_b64 v[43:44], 1, v[43:44]
	v_and_b32_e32 v16, 0xffff0000, v16
	s_waitcnt lgkmcnt(0)
	v_add_co_u32 v39, vcc_lo, s4, v39
	v_add_co_ci_u32_e32 v40, vcc_lo, s5, v40, vcc_lo
	v_lshlrev_b64 v[45:46], 1, v[45:46]
	v_add_co_u32 v41, vcc_lo, s4, v41
	v_add_co_ci_u32_e32 v42, vcc_lo, s5, v42, vcc_lo
	v_add_co_u32 v43, vcc_lo, s4, v43
	v_add_co_ci_u32_e32 v44, vcc_lo, s5, v44, vcc_lo
	;; [unrolled: 2-line block ×3, first 2 shown]
	s_clause 0x3
	global_load_b64 v[47:48], v[39:40], off
	global_load_b64 v[49:50], v[41:42], off
	global_load_b64 v[43:44], v[43:44], off
	global_load_b64 v[45:46], v[45:46], off
	global_load_b128 v[39:42], v[2:3], off offset:1552
	v_lshlrev_b32_e32 v53, 16, v8
	s_waitcnt vmcnt(6)
	v_lshlrev_b32_e32 v72, 16, v33
	v_and_b32_e32 v33, 0xffff0000, v33
	v_lshlrev_b32_e32 v70, 16, v31
	v_lshlrev_b32_e32 v62, 16, v23
	v_and_b32_e32 v18, 0xffff0000, v18
	s_waitcnt vmcnt(5)
	v_lshlrev_b32_e32 v76, 16, v37
	v_lshlrev_b32_e32 v66, 16, v27
	v_and_b32_e32 v21, 0xffff0000, v21
	v_lshlrev_b32_e32 v68, 16, v29
	v_and_b32_e32 v25, 0xffff0000, v25
	;; [unrolled: 2-line block ×3, first 2 shown]
	v_and_b32_e32 v37, 0xffff0000, v37
	v_add_co_u32 v2, vcc_lo, 0x800, v2
	v_add_co_ci_u32_e32 v3, vcc_lo, 0, v3, vcc_lo
	s_waitcnt vmcnt(4)
	v_lshlrev_b32_e32 v82, 16, v47
	v_and_b32_e32 v47, 0xffff0000, v47
	s_waitcnt vmcnt(0)
	v_lshlrev_b32_e32 v78, 16, v39
	s_delay_alu instid0(VALU_DEP_3) | instskip(SKIP_1) | instid1(VALU_DEP_2)
	v_dual_fmac_f32 v12, v51, v82 :: v_dual_lshlrev_b32 v1, 16, v5
	v_lshlrev_b32_e32 v80, 16, v41
	v_dual_fmac_f32 v12, v53, v47 :: v_dual_and_b32 v41, 0xffff0000, v41
	s_delay_alu instid0(VALU_DEP_3) | instskip(SKIP_1) | instid1(VALU_DEP_2)
	v_dual_fmac_f32 v11, v1, v82 :: v_dual_add_nc_u32 v0, 64, v0
	v_lshlrev_b32_e32 v1, 16, v48
	v_cmp_ge_i32_e32 vcc_lo, v0, v13
	s_delay_alu instid0(VALU_DEP_3) | instskip(NEXT) | instid1(VALU_DEP_3)
	v_dual_fmac_f32 v11, v52, v47 :: v_dual_fmac_f32 v10, v6, v82
	v_fmac_f32_e32 v12, v55, v1
	s_or_b32 s6, vcc_lo, s6
	s_delay_alu instid0(VALU_DEP_2) | instskip(NEXT) | instid1(VALU_DEP_1)
	v_dual_fmac_f32 v11, v54, v1 :: v_dual_and_b32 v8, 0xffff0000, v8
	v_dual_fmac_f32 v10, v8, v47 :: v_dual_and_b32 v5, 0xffff0000, v5
	s_delay_alu instid0(VALU_DEP_1) | instskip(NEXT) | instid1(VALU_DEP_2)
	v_dual_fmac_f32 v14, v5, v82 :: v_dual_and_b32 v5, 0xffff0000, v48
	v_fmac_f32_e32 v10, v16, v1
	s_delay_alu instid0(VALU_DEP_2) | instskip(NEXT) | instid1(VALU_DEP_2)
	v_dual_fmac_f32 v14, v7, v47 :: v_dual_fmac_f32 v11, v56, v5
	v_fmac_f32_e32 v10, v18, v5
	s_delay_alu instid0(VALU_DEP_2) | instskip(SKIP_2) | instid1(VALU_DEP_3)
	v_fmac_f32_e32 v14, v15, v1
	v_lshlrev_b32_e32 v1, 16, v49
	v_fmac_f32_e32 v12, v57, v5
	v_dual_fmac_f32 v14, v17, v5 :: v_dual_lshlrev_b32 v59, 16, v20
	v_and_b32_e32 v19, 0xffff0000, v19
	v_and_b32_e32 v20, 0xffff0000, v20
	v_lshlrev_b32_e32 v61, 16, v22
	v_and_b32_e32 v22, 0xffff0000, v22
	v_and_b32_e32 v5, 0xffff0000, v49
	v_fmac_f32_e32 v11, v58, v1
	v_fmac_f32_e32 v12, v59, v1
	;; [unrolled: 1-line block ×3, first 2 shown]
	v_dual_fmac_f32 v10, v20, v1 :: v_dual_and_b32 v23, 0xffff0000, v23
	s_delay_alu instid0(VALU_DEP_3) | instskip(SKIP_1) | instid1(VALU_DEP_3)
	v_dual_fmac_f32 v12, v61, v5 :: v_dual_lshlrev_b32 v63, 16, v24
	v_and_b32_e32 v24, 0xffff0000, v24
	v_dual_fmac_f32 v10, v22, v5 :: v_dual_lshlrev_b32 v65, 16, v26
	v_lshlrev_b32_e32 v1, 16, v50
	v_fmac_f32_e32 v11, v60, v5
	v_fmac_f32_e32 v14, v21, v5
	v_and_b32_e32 v26, 0xffff0000, v26
	v_and_b32_e32 v27, 0xffff0000, v27
	v_dual_fmac_f32 v12, v63, v1 :: v_dual_lshlrev_b32 v67, 16, v28
	v_dual_fmac_f32 v10, v24, v1 :: v_dual_lshlrev_b32 v69, 16, v30
	v_and_b32_e32 v5, 0xffff0000, v50
	v_fmac_f32_e32 v11, v62, v1
	v_fmac_f32_e32 v14, v23, v1
	v_and_b32_e32 v28, 0xffff0000, v28
	v_and_b32_e32 v31, 0xffff0000, v31
	v_dual_fmac_f32 v12, v65, v5 :: v_dual_lshlrev_b32 v71, 16, v32
	v_dual_fmac_f32 v10, v26, v5 :: v_dual_lshlrev_b32 v73, 16, v34
	v_and_b32_e32 v34, 0xffff0000, v34
	v_lshlrev_b32_e32 v1, 16, v43
	v_fmac_f32_e32 v11, v64, v5
	v_fmac_f32_e32 v14, v25, v5
	v_and_b32_e32 v30, 0xffff0000, v30
	v_and_b32_e32 v35, 0xffff0000, v35
	v_dual_fmac_f32 v12, v67, v1 :: v_dual_lshlrev_b32 v75, 16, v36
	v_dual_fmac_f32 v10, v28, v1 :: v_dual_lshlrev_b32 v77, 16, v38
	v_fmac_f32_e32 v11, v66, v1
	v_dual_fmac_f32 v14, v27, v1 :: v_dual_and_b32 v5, 0xffff0000, v43
	v_and_b32_e32 v32, 0xffff0000, v32
	v_and_b32_e32 v39, 0xffff0000, v39
	v_lshlrev_b32_e32 v79, 16, v40
	s_delay_alu instid0(VALU_DEP_4)
	v_dual_fmac_f32 v10, v30, v5 :: v_dual_lshlrev_b32 v81, 16, v42
	v_lshlrev_b32_e32 v1, 16, v44
	v_fmac_f32_e32 v11, v68, v5
	v_fmac_f32_e32 v14, v29, v5
	v_fmac_f32_e32 v12, v69, v5
	v_and_b32_e32 v36, 0xffff0000, v36
	v_fmac_f32_e32 v10, v32, v1
	v_fmac_f32_e32 v11, v70, v1
	v_fmac_f32_e32 v14, v31, v1
	v_fmac_f32_e32 v12, v71, v1
	v_lshlrev_b32_e32 v1, 16, v45
	v_and_b32_e32 v5, 0xffff0000, v44
	v_and_b32_e32 v38, 0xffff0000, v38
	;; [unrolled: 1-line block ×4, first 2 shown]
	s_delay_alu instid0(VALU_DEP_4) | instskip(NEXT) | instid1(VALU_DEP_1)
	v_fmac_f32_e32 v12, v73, v5
	v_fmac_f32_e32 v12, v75, v1
	;; [unrolled: 1-line block ×5, first 2 shown]
	v_and_b32_e32 v5, 0xffff0000, v45
	s_delay_alu instid0(VALU_DEP_4) | instskip(NEXT) | instid1(VALU_DEP_4)
	v_fmac_f32_e32 v11, v74, v1
	v_fmac_f32_e32 v14, v35, v1
	s_delay_alu instid0(VALU_DEP_4) | instskip(NEXT) | instid1(VALU_DEP_4)
	v_dual_fmac_f32 v10, v36, v1 :: v_dual_lshlrev_b32 v1, 16, v46
	v_fmac_f32_e32 v12, v77, v5
	s_delay_alu instid0(VALU_DEP_4) | instskip(NEXT) | instid1(VALU_DEP_4)
	v_fmac_f32_e32 v11, v76, v5
	v_fmac_f32_e32 v14, v37, v5
	s_delay_alu instid0(VALU_DEP_4) | instskip(NEXT) | instid1(VALU_DEP_4)
	v_dual_fmac_f32 v10, v38, v5 :: v_dual_and_b32 v5, 0xffff0000, v46
	v_fmac_f32_e32 v12, v79, v1
	s_delay_alu instid0(VALU_DEP_4) | instskip(NEXT) | instid1(VALU_DEP_4)
	v_fmac_f32_e32 v11, v78, v1
	v_fmac_f32_e32 v14, v39, v1
	s_delay_alu instid0(VALU_DEP_4) | instskip(NEXT) | instid1(VALU_DEP_4)
	v_fmac_f32_e32 v10, v40, v1
	;; [unrolled: 3-line block ×3, first 2 shown]
	v_fmac_f32_e32 v14, v41, v5
	s_delay_alu instid0(VALU_DEP_4)
	v_fmac_f32_e32 v10, v42, v5
	s_and_not1_b32 exec_lo, exec_lo, s6
	s_cbranch_execnz .LBB107_33
; %bb.34:
	s_or_b32 exec_lo, exec_lo, s6
.LBB107_35:
	s_delay_alu instid0(SALU_CYCLE_1)
	s_or_b32 exec_lo, exec_lo, s2
.LBB107_36:
	s_delay_alu instid0(SALU_CYCLE_1)
	s_or_b32 exec_lo, exec_lo, s3
.LBB107_37:
	v_mbcnt_lo_u32_b32 v0, -1, 0
	s_mov_b32 s2, -1
	s_delay_alu instid0(VALU_DEP_1) | instskip(SKIP_1) | instid1(VALU_DEP_2)
	v_xor_b32_e32 v1, 8, v0
	v_xor_b32_e32 v6, 4, v0
	v_cmp_gt_i32_e32 vcc_lo, 32, v1
	v_cndmask_b32_e32 v1, v0, v1, vcc_lo
	s_delay_alu instid0(VALU_DEP_3) | instskip(SKIP_1) | instid1(VALU_DEP_1)
	v_cmp_gt_i32_e32 vcc_lo, 32, v6
	v_cndmask_b32_e32 v6, v0, v6, vcc_lo
	v_lshlrev_b32_e32 v6, 2, v6
	s_delay_alu instid0(VALU_DEP_4)
	v_lshlrev_b32_e32 v1, 2, v1
	ds_bpermute_b32 v2, v1, v11
	s_waitcnt lgkmcnt(0)
	v_add_f32_e32 v2, v11, v2
	ds_bpermute_b32 v3, v1, v14
	ds_bpermute_b32 v5, v1, v12
	;; [unrolled: 1-line block ×3, first 2 shown]
	v_xor_b32_e32 v11, 2, v0
	ds_bpermute_b32 v7, v6, v2
	v_cmp_gt_i32_e32 vcc_lo, 32, v11
	s_waitcnt lgkmcnt(3)
	v_add_f32_e32 v3, v14, v3
	s_waitcnt lgkmcnt(2)
	v_add_f32_e32 v5, v12, v5
	;; [unrolled: 2-line block ×4, first 2 shown]
	ds_bpermute_b32 v8, v6, v3
	ds_bpermute_b32 v10, v6, v5
	;; [unrolled: 1-line block ×3, first 2 shown]
	v_cndmask_b32_e32 v11, v0, v11, vcc_lo
	s_waitcnt lgkmcnt(2)
	v_add_f32_e32 v3, v3, v8
	s_waitcnt lgkmcnt(1)
	v_add_f32_e32 v5, v5, v10
	s_waitcnt lgkmcnt(0)
	v_dual_add_f32 v6, v1, v6 :: v_dual_lshlrev_b32 v11, 2, v11
	ds_bpermute_b32 v1, v11, v2
	ds_bpermute_b32 v7, v11, v3
	;; [unrolled: 1-line block ×4, first 2 shown]
	v_xor_b32_e32 v11, 1, v0
	s_delay_alu instid0(VALU_DEP_1) | instskip(SKIP_3) | instid1(VALU_DEP_2)
	v_cmp_gt_i32_e32 vcc_lo, 32, v11
	v_cndmask_b32_e32 v0, v0, v11, vcc_lo
	v_cmp_eq_u32_e32 vcc_lo, 15, v9
	s_waitcnt lgkmcnt(3)
	v_dual_add_f32 v0, v2, v1 :: v_dual_lshlrev_b32 v11, 2, v0
	s_waitcnt lgkmcnt(1)
	v_dual_add_f32 v1, v3, v7 :: v_dual_add_f32 v2, v5, v8
	s_waitcnt lgkmcnt(0)
	v_add_f32_e32 v3, v6, v10
	ds_bpermute_b32 v5, v11, v0
	ds_bpermute_b32 v6, v11, v1
	;; [unrolled: 1-line block ×4, first 2 shown]
	s_and_b32 exec_lo, exec_lo, vcc_lo
	s_cbranch_execz .LBB107_10
; %bb.38:
	s_load_b64 s[0:1], s[0:1], 0x50
	s_waitcnt lgkmcnt(0)
	v_dual_add_f32 v0, v0, v5 :: v_dual_add_f32 v1, v1, v6
	v_dual_add_f32 v2, v2, v7 :: v_dual_add_f32 v3, v3, v8
	v_cmp_eq_f32_e64 s3, s12, 0
	s_delay_alu instid0(VALU_DEP_3) | instskip(NEXT) | instid1(VALU_DEP_3)
	v_dual_mul_f32 v0, s16, v0 :: v_dual_mul_f32 v1, s16, v1
	v_dual_mul_f32 v2, s16, v2 :: v_dual_mul_f32 v3, s16, v3
	v_lshlrev_b32_e32 v4, 2, v4
	s_delay_alu instid0(VALU_DEP_4)
	s_and_b32 vcc_lo, exec_lo, s3
	s_cbranch_vccz .LBB107_40
; %bb.39:
	s_delay_alu instid0(VALU_DEP_1) | instskip(SKIP_1) | instid1(VALU_DEP_1)
	v_ashrrev_i32_e32 v5, 31, v4
	s_mov_b32 s2, 0
	v_lshlrev_b64 v[5:6], 2, v[4:5]
	s_delay_alu instid0(VALU_DEP_1) | instskip(NEXT) | instid1(VALU_DEP_2)
	v_add_co_u32 v5, vcc_lo, s0, v5
	v_add_co_ci_u32_e32 v6, vcc_lo, s1, v6, vcc_lo
	global_store_b128 v[5:6], v[0:3], off
.LBB107_40:
	s_and_not1_b32 vcc_lo, exec_lo, s2
	s_cbranch_vccnz .LBB107_10
; %bb.41:
	v_ashrrev_i32_e32 v5, 31, v4
	s_delay_alu instid0(VALU_DEP_1) | instskip(NEXT) | instid1(VALU_DEP_1)
	v_lshlrev_b64 v[4:5], 2, v[4:5]
	v_add_co_u32 v8, vcc_lo, s0, v4
	s_delay_alu instid0(VALU_DEP_2)
	v_add_co_ci_u32_e32 v9, vcc_lo, s1, v5, vcc_lo
	global_load_b128 v[4:7], v[8:9], off
	s_waitcnt vmcnt(0)
	v_dual_fmac_f32 v0, s12, v4 :: v_dual_fmac_f32 v1, s12, v5
	v_dual_fmac_f32 v2, s12, v6 :: v_dual_fmac_f32 v3, s12, v7
	global_store_b128 v[8:9], v[0:3], off
	s_nop 0
	s_sendmsg sendmsg(MSG_DEALLOC_VGPRS)
	s_endpgm
	.section	.rodata,"a",@progbits
	.p2align	6, 0x0
	.amdhsa_kernel _ZN9rocsparseL18bsrxmvn_4x4_kernelILj128ELj16Efii18rocsparse_bfloat16S1_fEEvT3_20rocsparse_direction_NS_24const_host_device_scalarIT1_EES2_PKS2_PKT2_SB_S8_PKT4_PKT5_S6_PT6_21rocsparse_index_base_b
		.amdhsa_group_segment_fixed_size 0
		.amdhsa_private_segment_fixed_size 0
		.amdhsa_kernarg_size 96
		.amdhsa_user_sgpr_count 15
		.amdhsa_user_sgpr_dispatch_ptr 0
		.amdhsa_user_sgpr_queue_ptr 0
		.amdhsa_user_sgpr_kernarg_segment_ptr 1
		.amdhsa_user_sgpr_dispatch_id 0
		.amdhsa_user_sgpr_private_segment_size 0
		.amdhsa_wavefront_size32 1
		.amdhsa_uses_dynamic_stack 0
		.amdhsa_enable_private_segment 0
		.amdhsa_system_sgpr_workgroup_id_x 1
		.amdhsa_system_sgpr_workgroup_id_y 0
		.amdhsa_system_sgpr_workgroup_id_z 0
		.amdhsa_system_sgpr_workgroup_info 0
		.amdhsa_system_vgpr_workitem_id 0
		.amdhsa_next_free_vgpr 87
		.amdhsa_next_free_sgpr 20
		.amdhsa_reserve_vcc 1
		.amdhsa_float_round_mode_32 0
		.amdhsa_float_round_mode_16_64 0
		.amdhsa_float_denorm_mode_32 3
		.amdhsa_float_denorm_mode_16_64 3
		.amdhsa_dx10_clamp 1
		.amdhsa_ieee_mode 1
		.amdhsa_fp16_overflow 0
		.amdhsa_workgroup_processor_mode 1
		.amdhsa_memory_ordered 1
		.amdhsa_forward_progress 0
		.amdhsa_shared_vgpr_count 0
		.amdhsa_exception_fp_ieee_invalid_op 0
		.amdhsa_exception_fp_denorm_src 0
		.amdhsa_exception_fp_ieee_div_zero 0
		.amdhsa_exception_fp_ieee_overflow 0
		.amdhsa_exception_fp_ieee_underflow 0
		.amdhsa_exception_fp_ieee_inexact 0
		.amdhsa_exception_int_div_zero 0
	.end_amdhsa_kernel
	.section	.text._ZN9rocsparseL18bsrxmvn_4x4_kernelILj128ELj16Efii18rocsparse_bfloat16S1_fEEvT3_20rocsparse_direction_NS_24const_host_device_scalarIT1_EES2_PKS2_PKT2_SB_S8_PKT4_PKT5_S6_PT6_21rocsparse_index_base_b,"axG",@progbits,_ZN9rocsparseL18bsrxmvn_4x4_kernelILj128ELj16Efii18rocsparse_bfloat16S1_fEEvT3_20rocsparse_direction_NS_24const_host_device_scalarIT1_EES2_PKS2_PKT2_SB_S8_PKT4_PKT5_S6_PT6_21rocsparse_index_base_b,comdat
.Lfunc_end107:
	.size	_ZN9rocsparseL18bsrxmvn_4x4_kernelILj128ELj16Efii18rocsparse_bfloat16S1_fEEvT3_20rocsparse_direction_NS_24const_host_device_scalarIT1_EES2_PKS2_PKT2_SB_S8_PKT4_PKT5_S6_PT6_21rocsparse_index_base_b, .Lfunc_end107-_ZN9rocsparseL18bsrxmvn_4x4_kernelILj128ELj16Efii18rocsparse_bfloat16S1_fEEvT3_20rocsparse_direction_NS_24const_host_device_scalarIT1_EES2_PKS2_PKT2_SB_S8_PKT4_PKT5_S6_PT6_21rocsparse_index_base_b
                                        ; -- End function
	.section	.AMDGPU.csdata,"",@progbits
; Kernel info:
; codeLenInByte = 4572
; NumSgprs: 22
; NumVgprs: 87
; ScratchSize: 0
; MemoryBound: 0
; FloatMode: 240
; IeeeMode: 1
; LDSByteSize: 0 bytes/workgroup (compile time only)
; SGPRBlocks: 2
; VGPRBlocks: 10
; NumSGPRsForWavesPerEU: 22
; NumVGPRsForWavesPerEU: 87
; Occupancy: 16
; WaveLimiterHint : 1
; COMPUTE_PGM_RSRC2:SCRATCH_EN: 0
; COMPUTE_PGM_RSRC2:USER_SGPR: 15
; COMPUTE_PGM_RSRC2:TRAP_HANDLER: 0
; COMPUTE_PGM_RSRC2:TGID_X_EN: 1
; COMPUTE_PGM_RSRC2:TGID_Y_EN: 0
; COMPUTE_PGM_RSRC2:TGID_Z_EN: 0
; COMPUTE_PGM_RSRC2:TIDIG_COMP_CNT: 0
	.section	.text._ZN9rocsparseL18bsrxmvn_4x4_kernelILj128ELj32Efii18rocsparse_bfloat16S1_fEEvT3_20rocsparse_direction_NS_24const_host_device_scalarIT1_EES2_PKS2_PKT2_SB_S8_PKT4_PKT5_S6_PT6_21rocsparse_index_base_b,"axG",@progbits,_ZN9rocsparseL18bsrxmvn_4x4_kernelILj128ELj32Efii18rocsparse_bfloat16S1_fEEvT3_20rocsparse_direction_NS_24const_host_device_scalarIT1_EES2_PKS2_PKT2_SB_S8_PKT4_PKT5_S6_PT6_21rocsparse_index_base_b,comdat
	.globl	_ZN9rocsparseL18bsrxmvn_4x4_kernelILj128ELj32Efii18rocsparse_bfloat16S1_fEEvT3_20rocsparse_direction_NS_24const_host_device_scalarIT1_EES2_PKS2_PKT2_SB_S8_PKT4_PKT5_S6_PT6_21rocsparse_index_base_b ; -- Begin function _ZN9rocsparseL18bsrxmvn_4x4_kernelILj128ELj32Efii18rocsparse_bfloat16S1_fEEvT3_20rocsparse_direction_NS_24const_host_device_scalarIT1_EES2_PKS2_PKT2_SB_S8_PKT4_PKT5_S6_PT6_21rocsparse_index_base_b
	.p2align	8
	.type	_ZN9rocsparseL18bsrxmvn_4x4_kernelILj128ELj32Efii18rocsparse_bfloat16S1_fEEvT3_20rocsparse_direction_NS_24const_host_device_scalarIT1_EES2_PKS2_PKT2_SB_S8_PKT4_PKT5_S6_PT6_21rocsparse_index_base_b,@function
_ZN9rocsparseL18bsrxmvn_4x4_kernelILj128ELj32Efii18rocsparse_bfloat16S1_fEEvT3_20rocsparse_direction_NS_24const_host_device_scalarIT1_EES2_PKS2_PKT2_SB_S8_PKT4_PKT5_S6_PT6_21rocsparse_index_base_b: ; @_ZN9rocsparseL18bsrxmvn_4x4_kernelILj128ELj32Efii18rocsparse_bfloat16S1_fEEvT3_20rocsparse_direction_NS_24const_host_device_scalarIT1_EES2_PKS2_PKT2_SB_S8_PKT4_PKT5_S6_PT6_21rocsparse_index_base_b
; %bb.0:
	s_clause 0x2
	s_load_b64 s[18:19], s[0:1], 0x58
	s_load_b64 s[16:17], s[0:1], 0x8
	s_load_b64 s[12:13], s[0:1], 0x48
	s_waitcnt lgkmcnt(0)
	s_bitcmp1_b32 s19, 0
	s_cselect_b32 s2, -1, 0
	s_delay_alu instid0(SALU_CYCLE_1)
	s_and_b32 vcc_lo, exec_lo, s2
	s_xor_b32 s2, s2, -1
	s_cbranch_vccnz .LBB108_2
; %bb.1:
	s_load_b32 s16, s[16:17], 0x0
.LBB108_2:
	s_and_not1_b32 vcc_lo, exec_lo, s2
	s_cbranch_vccnz .LBB108_4
; %bb.3:
	s_load_b32 s12, s[12:13], 0x0
.LBB108_4:
	s_waitcnt lgkmcnt(0)
	v_cmp_neq_f32_e64 s2, s16, 0
	v_cmp_neq_f32_e64 s3, s12, 1.0
	s_mov_b32 s6, 0
	s_delay_alu instid0(VALU_DEP_1) | instskip(NEXT) | instid1(SALU_CYCLE_1)
	s_or_b32 s2, s2, s3
	s_and_not1_b32 vcc_lo, exec_lo, s2
	s_cbranch_vccnz .LBB108_10
; %bb.5:
	s_clause 0x1
	s_load_b64 s[4:5], s[0:1], 0x18
	s_load_b64 s[2:3], s[0:1], 0x0
	v_lshrrev_b32_e32 v1, 5, v0
	s_delay_alu instid0(VALU_DEP_1)
	v_lshl_or_b32 v4, s15, 2, v1
	s_waitcnt lgkmcnt(0)
	s_cmp_lg_u64 s[4:5], 0
	s_cbranch_scc0 .LBB108_11
; %bb.6:
	s_load_b32 s6, s[0:1], 0x10
	s_mov_b32 s7, 0
                                        ; implicit-def: $vgpr1
	s_waitcnt lgkmcnt(0)
	v_cmp_gt_i32_e32 vcc_lo, s6, v4
	s_mov_b32 s6, 0
	s_and_saveexec_b32 s8, vcc_lo
	s_delay_alu instid0(SALU_CYCLE_1)
	s_xor_b32 s8, exec_lo, s8
	s_cbranch_execz .LBB108_8
; %bb.7:
	v_ashrrev_i32_e32 v5, 31, v4
	s_mov_b32 s6, exec_lo
	s_delay_alu instid0(VALU_DEP_1) | instskip(NEXT) | instid1(VALU_DEP_1)
	v_lshlrev_b64 v[1:2], 2, v[4:5]
	v_add_co_u32 v1, vcc_lo, s4, v1
	s_delay_alu instid0(VALU_DEP_2)
	v_add_co_ci_u32_e32 v2, vcc_lo, s5, v2, vcc_lo
	global_load_b32 v1, v[1:2], off
	s_waitcnt vmcnt(0)
	v_subrev_nc_u32_e32 v1, s18, v1
.LBB108_8:
	s_or_b32 exec_lo, exec_lo, s8
	s_delay_alu instid0(SALU_CYCLE_1)
	s_and_b32 vcc_lo, exec_lo, s7
	s_cbranch_vccz .LBB108_12
.LBB108_9:
	v_cmp_gt_i32_e32 vcc_lo, s2, v4
	s_and_not1_b32 s2, s6, exec_lo
	s_and_b32 s4, vcc_lo, exec_lo
	s_delay_alu instid0(SALU_CYCLE_1) | instskip(NEXT) | instid1(SALU_CYCLE_1)
	s_or_b32 s6, s2, s4
	s_and_saveexec_b32 s2, s6
	s_cbranch_execnz .LBB108_13
.LBB108_10:
	s_nop 0
	s_sendmsg sendmsg(MSG_DEALLOC_VGPRS)
	s_endpgm
.LBB108_11:
                                        ; implicit-def: $vgpr1
	s_cbranch_execnz .LBB108_9
.LBB108_12:
	s_delay_alu instid0(VALU_DEP_1)
	v_mov_b32_e32 v4, v1
	s_and_saveexec_b32 s2, s6
	s_cbranch_execz .LBB108_10
.LBB108_13:
	s_load_b256 s[4:11], s[0:1], 0x20
	s_delay_alu instid0(VALU_DEP_1) | instskip(SKIP_1) | instid1(VALU_DEP_2)
	v_ashrrev_i32_e32 v5, 31, v4
	v_and_b32_e32 v9, 31, v0
	v_lshlrev_b64 v[1:2], 2, v[4:5]
	s_waitcnt lgkmcnt(0)
	s_delay_alu instid0(VALU_DEP_1) | instskip(NEXT) | instid1(VALU_DEP_2)
	v_add_co_u32 v5, vcc_lo, s4, v1
	v_add_co_ci_u32_e32 v6, vcc_lo, s5, v2, vcc_lo
	v_add_co_u32 v1, vcc_lo, s6, v1
	v_add_co_ci_u32_e32 v2, vcc_lo, s7, v2, vcc_lo
	global_load_b32 v15, v[5:6], off
	v_add_co_u32 v3, vcc_lo, v5, 4
	v_add_co_ci_u32_e32 v5, vcc_lo, 0, v6, vcc_lo
	s_cmp_eq_u64 s[6:7], 0
	s_load_b64 s[4:5], s[0:1], 0x40
	s_cselect_b32 vcc_lo, -1, 0
	s_cmp_eq_u32 s3, 1
	v_dual_cndmask_b32 v2, v2, v5 :: v_dual_cndmask_b32 v1, v1, v3
	global_load_b32 v5, v[1:2], off
	s_waitcnt vmcnt(1)
	v_subrev_nc_u32_e32 v0, s18, v15
	s_delay_alu instid0(VALU_DEP_1) | instskip(NEXT) | instid1(VALU_DEP_1)
	v_add_nc_u32_e32 v0, v0, v9
	v_ashrrev_i32_e32 v1, 31, v0
	s_waitcnt vmcnt(0)
	v_subrev_nc_u32_e32 v14, s18, v5
	s_delay_alu instid0(VALU_DEP_2) | instskip(NEXT) | instid1(VALU_DEP_2)
	v_lshlrev_b64 v[2:3], 5, v[0:1]
	v_cmp_lt_i32_e64 s2, v0, v14
	s_delay_alu instid0(VALU_DEP_2) | instskip(NEXT) | instid1(VALU_DEP_3)
	v_add_co_u32 v2, vcc_lo, s10, v2
	v_add_co_ci_u32_e32 v3, vcc_lo, s11, v3, vcc_lo
	s_cbranch_scc1 .LBB108_25
; %bb.14:
	v_dual_mov_b32 v10, 0 :: v_dual_mov_b32 v13, 0
	v_dual_mov_b32 v12, 0 :: v_dual_mov_b32 v11, 0
	s_mov_b32 s3, 0
	s_and_saveexec_b32 s6, s2
	s_cbranch_execz .LBB108_24
; %bb.15:
	v_dual_mov_b32 v12, 0 :: v_dual_add_nc_u32 v1, v15, v9
	v_not_b32_e32 v5, v15
	v_mov_b32_e32 v13, 0
	s_mov_b32 s10, 0
	s_delay_alu instid0(VALU_DEP_3) | instskip(SKIP_3) | instid1(VALU_DEP_3)
	v_subrev_nc_u32_e32 v1, s18, v1
	s_mov_b32 s7, exec_lo
	v_mov_b32_e32 v10, 0
	v_dual_mov_b32 v8, v3 :: v_dual_mov_b32 v7, v2
	v_add_nc_u32_e32 v1, 32, v1
	s_delay_alu instid0(VALU_DEP_1) | instskip(NEXT) | instid1(VALU_DEP_1)
	v_max_i32_e32 v1, v1, v14
	v_add3_u32 v1, v1, s18, v5
	s_delay_alu instid0(VALU_DEP_1) | instskip(NEXT) | instid1(VALU_DEP_1)
	v_sub_nc_u32_e32 v1, v1, v9
	v_lshrrev_b32_e32 v5, 5, v1
	s_delay_alu instid0(VALU_DEP_1) | instskip(NEXT) | instid1(VALU_DEP_1)
	v_add_nc_u32_e32 v5, 1, v5
	v_dual_mov_b32 v11, 0 :: v_dual_and_b32 v6, 3, v5
	v_mov_b32_e32 v5, v0
	s_delay_alu instid0(VALU_DEP_2)
	v_cmpx_ne_u32_e32 0, v6
	s_cbranch_execz .LBB108_19
; %bb.16:
	v_dual_mov_b32 v8, v3 :: v_dual_mov_b32 v13, 0
	v_dual_mov_b32 v7, v2 :: v_dual_lshlrev_b32 v16, 5, v6
	v_dual_mov_b32 v10, 0 :: v_dual_mov_b32 v5, v0
	v_dual_mov_b32 v12, 0 :: v_dual_mov_b32 v11, 0
.LBB108_17:                             ; =>This Inner Loop Header: Depth=1
	s_delay_alu instid0(VALU_DEP_2) | instskip(NEXT) | instid1(VALU_DEP_4)
	v_ashrrev_i32_e32 v6, 31, v5
	v_subrev_nc_u32_e32 v16, 32, v16
	s_delay_alu instid0(VALU_DEP_2) | instskip(NEXT) | instid1(VALU_DEP_1)
	v_lshlrev_b64 v[17:18], 2, v[5:6]
	v_add_co_u32 v17, vcc_lo, s8, v17
	s_delay_alu instid0(VALU_DEP_2) | instskip(SKIP_4) | instid1(VALU_DEP_1)
	v_add_co_ci_u32_e32 v18, vcc_lo, s9, v18, vcc_lo
	global_load_b32 v6, v[17:18], off
	global_load_b128 v[17:20], v[7:8], off
	s_waitcnt vmcnt(1)
	v_subrev_nc_u32_e32 v6, s18, v6
	v_lshlrev_b32_e32 v21, 2, v6
	s_delay_alu instid0(VALU_DEP_1) | instskip(NEXT) | instid1(VALU_DEP_1)
	v_ashrrev_i32_e32 v22, 31, v21
	v_lshlrev_b64 v[21:22], 1, v[21:22]
	s_waitcnt lgkmcnt(0)
	s_delay_alu instid0(VALU_DEP_1) | instskip(NEXT) | instid1(VALU_DEP_2)
	v_add_co_u32 v25, vcc_lo, s4, v21
	v_add_co_ci_u32_e32 v26, vcc_lo, s5, v22, vcc_lo
	global_load_b128 v[21:24], v[7:8], off offset:16
	global_load_b64 v[25:26], v[25:26], off
	v_add_co_u32 v7, vcc_lo, 0x400, v7
	v_add_co_ci_u32_e32 v8, vcc_lo, 0, v8, vcc_lo
	v_cmp_eq_u32_e32 vcc_lo, 0, v16
	s_or_b32 s10, vcc_lo, s10
	s_waitcnt vmcnt(1)
	v_lshlrev_b32_e32 v33, 16, v24
	s_waitcnt vmcnt(0)
	v_lshlrev_b32_e32 v34, 16, v25
	v_lshlrev_b32_e32 v28, 16, v19
	;; [unrolled: 1-line block ×3, first 2 shown]
	v_and_b32_e32 v25, 0xffff0000, v25
	s_delay_alu instid0(VALU_DEP_3) | instskip(NEXT) | instid1(VALU_DEP_3)
	v_fmac_f32_e32 v13, v28, v34
	v_fmac_f32_e32 v11, v6, v34
	v_lshlrev_b32_e32 v6, 16, v26
	v_lshlrev_b32_e32 v30, 16, v21
	v_add_nc_u32_e32 v5, 32, v5
	v_and_b32_e32 v21, 0xffff0000, v21
	v_lshlrev_b32_e32 v32, 16, v23
	s_delay_alu instid0(VALU_DEP_4) | instskip(SKIP_1) | instid1(VALU_DEP_3)
	v_dual_fmac_f32 v12, v30, v34 :: v_dual_and_b32 v17, 0xffff0000, v17
	v_lshlrev_b32_e32 v27, 16, v18
	v_fmac_f32_e32 v10, v32, v34
	s_delay_alu instid0(VALU_DEP_3) | instskip(NEXT) | instid1(VALU_DEP_4)
	v_dual_fmac_f32 v11, v17, v25 :: v_dual_and_b32 v18, 0xffff0000, v18
	v_dual_fmac_f32 v12, v21, v25 :: v_dual_and_b32 v17, 0xffff0000, v26
	v_lshlrev_b32_e32 v31, 16, v22
	v_and_b32_e32 v19, 0xffff0000, v19
	v_and_b32_e32 v24, 0xffff0000, v24
	;; [unrolled: 1-line block ×3, first 2 shown]
	v_fmac_f32_e32 v11, v27, v6
	v_fmac_f32_e32 v12, v31, v6
	v_dual_fmac_f32 v13, v19, v25 :: v_dual_and_b32 v22, 0xffff0000, v22
	s_delay_alu instid0(VALU_DEP_4) | instskip(NEXT) | instid1(VALU_DEP_4)
	v_fmac_f32_e32 v10, v23, v25
	v_fmac_f32_e32 v11, v18, v17
	v_lshlrev_b32_e32 v29, 16, v20
	v_and_b32_e32 v20, 0xffff0000, v20
	v_fmac_f32_e32 v12, v22, v17
	v_fmac_f32_e32 v10, v33, v6
	s_delay_alu instid0(VALU_DEP_4) | instskip(NEXT) | instid1(VALU_DEP_1)
	v_fmac_f32_e32 v13, v29, v6
	v_fmac_f32_e32 v13, v20, v17
	s_delay_alu instid0(VALU_DEP_3)
	v_fmac_f32_e32 v10, v24, v17
	s_and_not1_b32 exec_lo, exec_lo, s10
	s_cbranch_execnz .LBB108_17
; %bb.18:
	s_or_b32 exec_lo, exec_lo, s10
.LBB108_19:
	s_delay_alu instid0(SALU_CYCLE_1) | instskip(NEXT) | instid1(SALU_CYCLE_1)
	s_or_b32 exec_lo, exec_lo, s7
	s_mov_b32 s7, exec_lo
	v_cmpx_lt_u32_e32 0x5f, v1
	s_cbranch_execz .LBB108_23
; %bb.20:
	s_mov_b32 s10, 0
.LBB108_21:                             ; =>This Inner Loop Header: Depth=1
	v_ashrrev_i32_e32 v6, 31, v5
	s_delay_alu instid0(VALU_DEP_1) | instskip(NEXT) | instid1(VALU_DEP_1)
	v_lshlrev_b64 v[16:17], 2, v[5:6]
	v_add_co_u32 v16, vcc_lo, s8, v16
	s_delay_alu instid0(VALU_DEP_2)
	v_add_co_ci_u32_e32 v17, vcc_lo, s9, v17, vcc_lo
	s_clause 0x3
	global_load_b32 v1, v[16:17], off
	global_load_b32 v6, v[16:17], off offset:128
	global_load_b32 v48, v[16:17], off offset:256
	;; [unrolled: 1-line block ×3, first 2 shown]
	s_clause 0x7
	global_load_b128 v[16:19], v[7:8], off
	global_load_b128 v[20:23], v[7:8], off offset:16
	global_load_b128 v[24:27], v[7:8], off offset:1024
	;; [unrolled: 1-line block ×7, first 2 shown]
	s_waitcnt vmcnt(11)
	v_subrev_nc_u32_e32 v1, s18, v1
	s_waitcnt vmcnt(10)
	v_subrev_nc_u32_e32 v6, s18, v6
	;; [unrolled: 2-line block ×4, first 2 shown]
	v_lshlrev_b32_e32 v48, 2, v1
	v_lshlrev_b32_e32 v50, 2, v6
	s_waitcnt vmcnt(4)
	v_lshlrev_b32_e32 v66, 16, v28
	v_and_b32_e32 v28, 0xffff0000, v28
	v_lshlrev_b32_e32 v63, 16, v25
	v_ashrrev_i32_e32 v49, 31, v48
	v_lshlrev_b32_e32 v60, 16, v22
	s_waitcnt vmcnt(2)
	v_lshlrev_b32_e32 v74, 16, v36
	v_and_b32_e32 v36, 0xffff0000, v36
	v_lshlrev_b32_e32 v71, 16, v33
	v_lshlrev_b64 v[48:49], 1, v[48:49]
	v_lshlrev_b32_e32 v68, 16, v30
	v_lshlrev_b32_e32 v65, 16, v27
	v_and_b32_e32 v22, 0xffff0000, v22
	v_lshlrev_b32_e32 v57, 16, v19
	v_lshlrev_b32_e32 v56, 16, v18
	s_waitcnt lgkmcnt(0)
	v_add_co_u32 v48, vcc_lo, s4, v48
	v_add_co_ci_u32_e32 v49, vcc_lo, s5, v49, vcc_lo
	v_lshlrev_b32_e32 v52, 2, v51
	v_ashrrev_i32_e32 v51, 31, v50
	v_lshlrev_b32_e32 v62, 16, v24
	global_load_b64 v[48:49], v[48:49], off
	v_and_b32_e32 v18, 0xffff0000, v18
	v_lshlrev_b32_e32 v54, 2, v53
	v_lshlrev_b64 v[50:51], 1, v[50:51]
	v_ashrrev_i32_e32 v53, 31, v52
	v_lshlrev_b32_e32 v70, 16, v32
	v_lshlrev_b32_e32 v64, 16, v26
	v_ashrrev_i32_e32 v55, 31, v54
	v_lshlrev_b32_e32 v61, 16, v23
	v_add_co_u32 v50, vcc_lo, s4, v50
	v_add_co_ci_u32_e32 v51, vcc_lo, s5, v51, vcc_lo
	v_lshlrev_b64 v[52:53], 1, v[52:53]
	v_lshlrev_b64 v[54:55], 1, v[54:55]
	s_waitcnt vmcnt(2)
	v_lshlrev_b32_e32 v78, 16, v40
	global_load_b64 v[50:51], v[50:51], off
	v_lshlrev_b32_e32 v72, 16, v34
	v_and_b32_e32 v26, 0xffff0000, v26
	v_add_co_u32 v52, vcc_lo, s4, v52
	v_add_co_ci_u32_e32 v53, vcc_lo, s5, v53, vcc_lo
	v_add_co_u32 v54, vcc_lo, s4, v54
	v_add_co_ci_u32_e32 v55, vcc_lo, s5, v55, vcc_lo
	global_load_b64 v[52:53], v[52:53], off
	s_waitcnt vmcnt(3)
	v_lshlrev_b32_e32 v82, 16, v44
	v_and_b32_e32 v44, 0xffff0000, v44
	global_load_b64 v[54:55], v[54:55], off
	v_lshlrev_b32_e32 v79, 16, v41
	v_lshlrev_b32_e32 v76, 16, v38
	v_lshlrev_b32_e32 v73, 16, v35
	v_and_b32_e32 v30, 0xffff0000, v30
	v_lshlrev_b32_e32 v69, 16, v31
	v_lshlrev_b32_e32 v80, 16, v42
	v_and_b32_e32 v34, 0xffff0000, v34
	v_lshlrev_b32_e32 v84, 16, v46
	v_lshlrev_b32_e32 v81, 16, v43
	v_and_b32_e32 v38, 0xffff0000, v38
	v_lshlrev_b32_e32 v77, 16, v39
	v_and_b32_e32 v42, 0xffff0000, v42
	v_and_b32_e32 v46, 0xffff0000, v46
	v_lshlrev_b32_e32 v85, 16, v47
	v_add_co_u32 v7, vcc_lo, 0x1000, v7
	v_add_co_ci_u32_e32 v8, vcc_lo, 0, v8, vcc_lo
	s_waitcnt vmcnt(3)
	v_lshlrev_b32_e32 v86, 16, v48
	v_lshlrev_b32_e32 v1, 16, v16
	v_and_b32_e32 v48, 0xffff0000, v48
	s_delay_alu instid0(VALU_DEP_3) | instskip(SKIP_1) | instid1(VALU_DEP_4)
	v_fmac_f32_e32 v10, v60, v86
	v_fmac_f32_e32 v13, v56, v86
	;; [unrolled: 1-line block ×3, first 2 shown]
	v_lshlrev_b32_e32 v1, 16, v49
	v_and_b32_e32 v6, 0xffff0000, v16
	v_fmac_f32_e32 v10, v22, v48
	v_fmac_f32_e32 v13, v18, v48
	v_and_b32_e32 v23, 0xffff0000, v23
	s_delay_alu instid0(VALU_DEP_3) | instskip(SKIP_1) | instid1(VALU_DEP_4)
	v_dual_fmac_f32 v11, v6, v48 :: v_dual_fmac_f32 v10, v61, v1
	v_and_b32_e32 v6, 0xffff0000, v49
	v_dual_fmac_f32 v13, v57, v1 :: v_dual_lshlrev_b32 v58, 16, v20
	v_add_nc_u32_e32 v5, 0x80, v5
	v_and_b32_e32 v20, 0xffff0000, v20
	v_lshlrev_b32_e32 v16, 16, v17
	s_delay_alu instid0(VALU_DEP_4) | instskip(SKIP_2) | instid1(VALU_DEP_4)
	v_dual_fmac_f32 v12, v58, v86 :: v_dual_lshlrev_b32 v59, 16, v21
	v_and_b32_e32 v17, 0xffff0000, v17
	v_dual_fmac_f32 v10, v23, v6 :: v_dual_and_b32 v21, 0xffff0000, v21
	v_fmac_f32_e32 v11, v16, v1
	s_delay_alu instid0(VALU_DEP_4) | instskip(SKIP_1) | instid1(VALU_DEP_2)
	v_dual_fmac_f32 v12, v20, v48 :: v_dual_and_b32 v19, 0xffff0000, v19
	v_cmp_ge_i32_e32 vcc_lo, v5, v14
	v_dual_fmac_f32 v11, v17, v6 :: v_dual_fmac_f32 v12, v59, v1
	s_waitcnt vmcnt(2)
	v_lshlrev_b32_e32 v1, 16, v50
	v_fmac_f32_e32 v13, v19, v6
	s_or_b32 s10, vcc_lo, s10
	v_fmac_f32_e32 v12, v21, v6
	s_delay_alu instid0(VALU_DEP_3) | instskip(NEXT) | instid1(VALU_DEP_3)
	v_dual_fmac_f32 v11, v62, v1 :: v_dual_and_b32 v6, 0xffff0000, v50
	v_dual_fmac_f32 v13, v64, v1 :: v_dual_and_b32 v24, 0xffff0000, v24
	s_delay_alu instid0(VALU_DEP_3)
	v_fmac_f32_e32 v12, v66, v1
	v_fmac_f32_e32 v10, v68, v1
	v_and_b32_e32 v25, 0xffff0000, v25
	v_lshlrev_b32_e32 v1, 16, v51
	v_fmac_f32_e32 v13, v26, v6
	v_fmac_f32_e32 v11, v24, v6
	;; [unrolled: 1-line block ×4, first 2 shown]
	v_and_b32_e32 v6, 0xffff0000, v51
	v_lshlrev_b32_e32 v67, 16, v29
	v_and_b32_e32 v27, 0xffff0000, v27
	v_dual_fmac_f32 v10, v69, v1 :: v_dual_and_b32 v31, 0xffff0000, v31
	v_and_b32_e32 v29, 0xffff0000, v29
	v_fmac_f32_e32 v11, v63, v1
	v_fmac_f32_e32 v13, v65, v1
	;; [unrolled: 1-line block ×3, first 2 shown]
	s_waitcnt vmcnt(1)
	v_dual_fmac_f32 v10, v31, v6 :: v_dual_lshlrev_b32 v1, 16, v52
	v_fmac_f32_e32 v11, v25, v6
	v_fmac_f32_e32 v13, v27, v6
	;; [unrolled: 1-line block ×3, first 2 shown]
	v_and_b32_e32 v6, 0xffff0000, v52
	v_fmac_f32_e32 v10, v76, v1
	v_fmac_f32_e32 v11, v70, v1
	v_dual_fmac_f32 v13, v72, v1 :: v_dual_and_b32 v32, 0xffff0000, v32
	v_fmac_f32_e32 v12, v74, v1
	s_delay_alu instid0(VALU_DEP_4) | instskip(SKIP_1) | instid1(VALU_DEP_4)
	v_dual_fmac_f32 v10, v38, v6 :: v_dual_and_b32 v33, 0xffff0000, v33
	v_lshlrev_b32_e32 v1, 16, v53
	v_fmac_f32_e32 v13, v34, v6
	v_fmac_f32_e32 v11, v32, v6
	;; [unrolled: 1-line block ×3, first 2 shown]
	v_and_b32_e32 v6, 0xffff0000, v53
	v_lshlrev_b32_e32 v75, 16, v37
	v_and_b32_e32 v35, 0xffff0000, v35
	v_dual_fmac_f32 v10, v77, v1 :: v_dual_and_b32 v39, 0xffff0000, v39
	v_and_b32_e32 v37, 0xffff0000, v37
	v_fmac_f32_e32 v11, v71, v1
	v_fmac_f32_e32 v13, v73, v1
	v_fmac_f32_e32 v12, v75, v1
	v_fmac_f32_e32 v10, v39, v6
	s_waitcnt vmcnt(0)
	v_lshlrev_b32_e32 v1, 16, v54
	v_fmac_f32_e32 v11, v33, v6
	v_fmac_f32_e32 v13, v35, v6
	;; [unrolled: 1-line block ×3, first 2 shown]
	v_and_b32_e32 v6, 0xffff0000, v54
	v_fmac_f32_e32 v10, v84, v1
	v_fmac_f32_e32 v11, v78, v1
	v_dual_fmac_f32 v13, v80, v1 :: v_dual_and_b32 v40, 0xffff0000, v40
	v_fmac_f32_e32 v12, v82, v1
	s_delay_alu instid0(VALU_DEP_4) | instskip(SKIP_1) | instid1(VALU_DEP_4)
	v_dual_fmac_f32 v10, v46, v6 :: v_dual_and_b32 v41, 0xffff0000, v41
	v_lshlrev_b32_e32 v1, 16, v55
	v_fmac_f32_e32 v13, v42, v6
	v_fmac_f32_e32 v11, v40, v6
	;; [unrolled: 1-line block ×3, first 2 shown]
	v_and_b32_e32 v6, 0xffff0000, v55
	v_lshlrev_b32_e32 v83, 16, v45
	v_and_b32_e32 v43, 0xffff0000, v43
	v_dual_fmac_f32 v10, v85, v1 :: v_dual_and_b32 v47, 0xffff0000, v47
	v_and_b32_e32 v45, 0xffff0000, v45
	v_fmac_f32_e32 v11, v79, v1
	v_fmac_f32_e32 v13, v81, v1
	;; [unrolled: 1-line block ×4, first 2 shown]
	s_delay_alu instid0(VALU_DEP_4) | instskip(NEXT) | instid1(VALU_DEP_4)
	v_fmac_f32_e32 v11, v41, v6
	v_fmac_f32_e32 v13, v43, v6
	s_delay_alu instid0(VALU_DEP_4)
	v_fmac_f32_e32 v12, v45, v6
	s_and_not1_b32 exec_lo, exec_lo, s10
	s_cbranch_execnz .LBB108_21
; %bb.22:
	s_or_b32 exec_lo, exec_lo, s10
.LBB108_23:
	s_delay_alu instid0(SALU_CYCLE_1)
	s_or_b32 exec_lo, exec_lo, s7
.LBB108_24:
	s_delay_alu instid0(SALU_CYCLE_1) | instskip(NEXT) | instid1(SALU_CYCLE_1)
	s_or_b32 exec_lo, exec_lo, s6
	s_and_not1_b32 vcc_lo, exec_lo, s3
	s_cbranch_vccz .LBB108_26
	s_branch .LBB108_37
.LBB108_25:
                                        ; implicit-def: $vgpr10
                                        ; implicit-def: $vgpr12
                                        ; implicit-def: $vgpr13
                                        ; implicit-def: $vgpr11
.LBB108_26:
	v_dual_mov_b32 v10, 0 :: v_dual_mov_b32 v13, 0
	v_dual_mov_b32 v12, 0 :: v_dual_mov_b32 v11, 0
	s_and_saveexec_b32 s3, s2
	s_cbranch_execz .LBB108_36
; %bb.27:
	v_dual_mov_b32 v12, 0 :: v_dual_add_nc_u32 v1, v15, v9
	v_not_b32_e32 v5, v15
	v_mov_b32_e32 v11, 0
	v_mov_b32_e32 v13, 0
	s_delay_alu instid0(VALU_DEP_4) | instskip(SKIP_2) | instid1(VALU_DEP_1)
	v_subrev_nc_u32_e32 v1, s18, v1
	s_mov_b32 s6, 0
	s_mov_b32 s2, exec_lo
	v_dual_mov_b32 v10, 0 :: v_dual_add_nc_u32 v1, 32, v1
	s_delay_alu instid0(VALU_DEP_1) | instskip(NEXT) | instid1(VALU_DEP_1)
	v_max_i32_e32 v1, v1, v14
	v_add3_u32 v1, v1, s18, v5
	s_delay_alu instid0(VALU_DEP_1) | instskip(NEXT) | instid1(VALU_DEP_1)
	v_sub_nc_u32_e32 v5, v1, v9
	v_lshrrev_b32_e32 v1, 5, v5
	s_delay_alu instid0(VALU_DEP_1) | instskip(NEXT) | instid1(VALU_DEP_1)
	v_add_nc_u32_e32 v1, 1, v1
	v_and_b32_e32 v1, 3, v1
	s_delay_alu instid0(VALU_DEP_1)
	v_cmpx_ne_u32_e32 0, v1
	s_cbranch_execz .LBB108_31
; %bb.28:
	v_dual_mov_b32 v13, 0 :: v_dual_lshlrev_b32 v6, 5, v1
	v_dual_mov_b32 v10, 0 :: v_dual_mov_b32 v11, 0
	v_mov_b32_e32 v12, 0
.LBB108_29:                             ; =>This Inner Loop Header: Depth=1
	v_ashrrev_i32_e32 v1, 31, v0
	s_delay_alu instid0(VALU_DEP_4) | instskip(NEXT) | instid1(VALU_DEP_2)
	v_subrev_nc_u32_e32 v6, 32, v6
	v_lshlrev_b64 v[7:8], 2, v[0:1]
	s_delay_alu instid0(VALU_DEP_1) | instskip(NEXT) | instid1(VALU_DEP_2)
	v_add_co_u32 v7, vcc_lo, s8, v7
	v_add_co_ci_u32_e32 v8, vcc_lo, s9, v8, vcc_lo
	global_load_b32 v1, v[7:8], off
	global_load_b128 v[15:18], v[2:3], off
	s_waitcnt vmcnt(1)
	v_subrev_nc_u32_e32 v1, s18, v1
	s_waitcnt vmcnt(0)
	v_lshlrev_b32_e32 v25, 16, v18
	v_lshlrev_b32_e32 v23, 16, v16
	s_delay_alu instid0(VALU_DEP_3) | instskip(NEXT) | instid1(VALU_DEP_1)
	v_lshlrev_b32_e32 v7, 2, v1
	v_ashrrev_i32_e32 v8, 31, v7
	s_delay_alu instid0(VALU_DEP_1) | instskip(SKIP_1) | instid1(VALU_DEP_1)
	v_lshlrev_b64 v[7:8], 1, v[7:8]
	s_waitcnt lgkmcnt(0)
	v_add_co_u32 v7, vcc_lo, s4, v7
	s_delay_alu instid0(VALU_DEP_2)
	v_add_co_ci_u32_e32 v8, vcc_lo, s5, v8, vcc_lo
	global_load_b64 v[7:8], v[7:8], off
	global_load_b128 v[19:22], v[2:3], off offset:16
	v_add_co_u32 v2, vcc_lo, 0x400, v2
	v_add_co_ci_u32_e32 v3, vcc_lo, 0, v3, vcc_lo
	v_cmp_eq_u32_e32 vcc_lo, 0, v6
	s_or_b32 s6, vcc_lo, s6
	s_waitcnt vmcnt(1)
	v_lshlrev_b32_e32 v30, 16, v7
	v_and_b32_e32 v16, 0xffff0000, v16
	v_lshlrev_b32_e32 v1, 16, v15
	v_and_b32_e32 v7, 0xffff0000, v7
	s_waitcnt vmcnt(0)
	v_lshlrev_b32_e32 v29, 16, v22
	v_fmac_f32_e32 v12, v23, v30
	v_fmac_f32_e32 v10, v16, v30
	v_dual_fmac_f32 v11, v1, v30 :: v_dual_add_nc_u32 v0, 32, v0
	v_lshlrev_b32_e32 v27, 16, v20
	s_delay_alu instid0(VALU_DEP_4) | instskip(NEXT) | instid1(VALU_DEP_1)
	v_dual_fmac_f32 v12, v25, v7 :: v_dual_lshlrev_b32 v1, 16, v8
	v_dual_fmac_f32 v12, v27, v1 :: v_dual_and_b32 v15, 0xffff0000, v15
	s_delay_alu instid0(VALU_DEP_1) | instskip(SKIP_1) | instid1(VALU_DEP_1)
	v_dual_fmac_f32 v13, v15, v30 :: v_dual_lshlrev_b32 v24, 16, v17
	v_and_b32_e32 v18, 0xffff0000, v18
	v_dual_fmac_f32 v10, v18, v7 :: v_dual_and_b32 v17, 0xffff0000, v17
	s_delay_alu instid0(VALU_DEP_1) | instskip(SKIP_4) | instid1(VALU_DEP_3)
	v_fmac_f32_e32 v13, v17, v7
	v_lshlrev_b32_e32 v26, 16, v19
	v_and_b32_e32 v19, 0xffff0000, v19
	v_fmac_f32_e32 v11, v24, v7
	v_and_b32_e32 v7, 0xffff0000, v8
	v_dual_fmac_f32 v13, v19, v1 :: v_dual_and_b32 v20, 0xffff0000, v20
	s_delay_alu instid0(VALU_DEP_3) | instskip(SKIP_4) | instid1(VALU_DEP_1)
	v_fmac_f32_e32 v11, v26, v1
	v_lshlrev_b32_e32 v28, 16, v21
	v_and_b32_e32 v22, 0xffff0000, v22
	v_fmac_f32_e32 v12, v29, v7
	v_fmac_f32_e32 v10, v20, v1
	v_dual_fmac_f32 v10, v22, v7 :: v_dual_and_b32 v21, 0xffff0000, v21
	s_delay_alu instid0(VALU_DEP_1)
	v_fmac_f32_e32 v13, v21, v7
	v_fmac_f32_e32 v11, v28, v7
	s_and_not1_b32 exec_lo, exec_lo, s6
	s_cbranch_execnz .LBB108_29
; %bb.30:
	s_or_b32 exec_lo, exec_lo, s6
.LBB108_31:
	s_delay_alu instid0(SALU_CYCLE_1) | instskip(NEXT) | instid1(SALU_CYCLE_1)
	s_or_b32 exec_lo, exec_lo, s2
	s_mov_b32 s2, exec_lo
	v_cmpx_lt_u32_e32 0x5f, v5
	s_cbranch_execz .LBB108_35
; %bb.32:
	s_mov_b32 s6, 0
.LBB108_33:                             ; =>This Inner Loop Header: Depth=1
	v_ashrrev_i32_e32 v1, 31, v0
	s_delay_alu instid0(VALU_DEP_1) | instskip(NEXT) | instid1(VALU_DEP_1)
	v_lshlrev_b64 v[5:6], 2, v[0:1]
	v_add_co_u32 v5, vcc_lo, s8, v5
	s_delay_alu instid0(VALU_DEP_2)
	v_add_co_ci_u32_e32 v6, vcc_lo, s9, v6, vcc_lo
	s_clause 0x3
	global_load_b32 v1, v[5:6], off
	global_load_b32 v39, v[5:6], off offset:128
	global_load_b32 v40, v[5:6], off offset:256
	;; [unrolled: 1-line block ×3, first 2 shown]
	s_clause 0x6
	global_load_b128 v[5:8], v[2:3], off
	global_load_b128 v[15:18], v[2:3], off offset:16
	global_load_b128 v[19:22], v[2:3], off offset:1024
	;; [unrolled: 1-line block ×6, first 2 shown]
	s_waitcnt vmcnt(10)
	v_subrev_nc_u32_e32 v1, s18, v1
	s_waitcnt vmcnt(9)
	v_subrev_nc_u32_e32 v42, s18, v39
	;; [unrolled: 2-line block ×4, first 2 shown]
	s_waitcnt vmcnt(5)
	v_lshlrev_b32_e32 v56, 16, v17
	v_and_b32_e32 v17, 0xffff0000, v17
	s_waitcnt vmcnt(3)
	v_lshlrev_b32_e32 v65, 16, v26
	v_lshlrev_b32_e32 v63, 16, v24
	v_lshlrev_b32_e32 v61, 16, v22
	v_and_b32_e32 v22, 0xffff0000, v22
	v_lshlrev_b32_e32 v59, 16, v20
	v_lshlrev_b32_e32 v55, 16, v16
	v_lshlrev_b32_e32 v51, 16, v6
	v_lshlrev_b32_e32 v39, 2, v1
	v_and_b32_e32 v20, 0xffff0000, v20
	v_lshlrev_b32_e32 v57, 16, v18
	;; [unrolled: 5-line block ×3, first 2 shown]
	v_and_b32_e32 v6, 0xffff0000, v6
	v_lshlrev_b32_e32 v43, 2, v40
	v_ashrrev_i32_e32 v40, 31, v39
	v_ashrrev_i32_e32 v42, 31, v41
	v_and_b32_e32 v8, 0xffff0000, v8
	v_lshlrev_b32_e32 v45, 2, v44
	v_ashrrev_i32_e32 v44, 31, v43
	v_lshlrev_b64 v[39:40], 1, v[39:40]
	v_lshlrev_b64 v[41:42], 1, v[41:42]
	s_waitcnt vmcnt(1)
	v_lshlrev_b32_e32 v72, 16, v33
	v_ashrrev_i32_e32 v46, 31, v45
	v_lshlrev_b64 v[43:44], 1, v[43:44]
	v_and_b32_e32 v33, 0xffff0000, v33
	s_waitcnt lgkmcnt(0)
	v_add_co_u32 v39, vcc_lo, s4, v39
	v_add_co_ci_u32_e32 v40, vcc_lo, s5, v40, vcc_lo
	v_lshlrev_b64 v[45:46], 1, v[45:46]
	v_add_co_u32 v41, vcc_lo, s4, v41
	v_add_co_ci_u32_e32 v42, vcc_lo, s5, v42, vcc_lo
	v_add_co_u32 v43, vcc_lo, s4, v43
	v_add_co_ci_u32_e32 v44, vcc_lo, s5, v44, vcc_lo
	;; [unrolled: 2-line block ×3, first 2 shown]
	s_clause 0x3
	global_load_b64 v[47:48], v[39:40], off
	global_load_b64 v[49:50], v[41:42], off
	;; [unrolled: 1-line block ×4, first 2 shown]
	global_load_b128 v[39:42], v[2:3], off offset:3088
	v_lshlrev_b32_e32 v60, 16, v21
	v_and_b32_e32 v21, 0xffff0000, v21
	v_lshlrev_b32_e32 v64, 16, v25
	v_and_b32_e32 v25, 0xffff0000, v25
	;; [unrolled: 2-line block ×3, first 2 shown]
	s_waitcnt vmcnt(5)
	v_lshlrev_b32_e32 v76, 16, v37
	v_and_b32_e32 v37, 0xffff0000, v37
	v_add_co_u32 v2, vcc_lo, 0x1000, v2
	v_add_co_ci_u32_e32 v3, vcc_lo, 0, v3, vcc_lo
	s_waitcnt vmcnt(4)
	v_lshlrev_b32_e32 v82, 16, v47
	v_add_nc_u32_e32 v0, 0x80, v0
	v_and_b32_e32 v47, 0xffff0000, v47
	s_waitcnt vmcnt(0)
	s_delay_alu instid0(VALU_DEP_3) | instskip(SKIP_3) | instid1(VALU_DEP_4)
	v_dual_fmac_f32 v11, v1, v82 :: v_dual_lshlrev_b32 v80, 16, v41
	v_fmac_f32_e32 v13, v5, v82
	v_dual_fmac_f32 v12, v51, v82 :: v_dual_lshlrev_b32 v1, 16, v48
	v_and_b32_e32 v5, 0xffff0000, v48
	v_dual_fmac_f32 v11, v52, v47 :: v_dual_fmac_f32 v10, v6, v82
	v_and_b32_e32 v16, 0xffff0000, v16
	v_and_b32_e32 v18, 0xffff0000, v18
	v_dual_fmac_f32 v12, v53, v47 :: v_dual_and_b32 v41, 0xffff0000, v41
	s_delay_alu instid0(VALU_DEP_4) | instskip(SKIP_2) | instid1(VALU_DEP_4)
	v_fmac_f32_e32 v10, v8, v47
	v_and_b32_e32 v7, 0xffff0000, v7
	v_cmp_ge_i32_e32 vcc_lo, v0, v14
	v_fmac_f32_e32 v12, v55, v1
	s_delay_alu instid0(VALU_DEP_3) | instskip(SKIP_3) | instid1(VALU_DEP_3)
	v_dual_fmac_f32 v10, v16, v1 :: v_dual_fmac_f32 v13, v7, v47
	v_lshlrev_b32_e32 v54, 16, v15
	v_and_b32_e32 v15, 0xffff0000, v15
	s_or_b32 s6, vcc_lo, s6
	v_fmac_f32_e32 v10, v18, v5
	s_delay_alu instid0(VALU_DEP_2) | instskip(SKIP_2) | instid1(VALU_DEP_3)
	v_fmac_f32_e32 v13, v15, v1
	v_dual_fmac_f32 v11, v54, v1 :: v_dual_lshlrev_b32 v58, 16, v19
	v_lshlrev_b32_e32 v1, 16, v49
	v_fmac_f32_e32 v13, v17, v5
	s_delay_alu instid0(VALU_DEP_3) | instskip(NEXT) | instid1(VALU_DEP_1)
	v_fmac_f32_e32 v11, v56, v5
	v_fmac_f32_e32 v11, v58, v1
	;; [unrolled: 1-line block ×4, first 2 shown]
	v_and_b32_e32 v5, 0xffff0000, v49
	s_delay_alu instid0(VALU_DEP_1) | instskip(NEXT) | instid1(VALU_DEP_4)
	v_dual_fmac_f32 v11, v60, v5 :: v_dual_lshlrev_b32 v62, 16, v23
	v_fmac_f32_e32 v10, v22, v5
	s_delay_alu instid0(VALU_DEP_4) | instskip(NEXT) | instid1(VALU_DEP_1)
	v_dual_fmac_f32 v12, v59, v1 :: v_dual_and_b32 v19, 0xffff0000, v19
	v_fmac_f32_e32 v12, v61, v5
	s_delay_alu instid0(VALU_DEP_2) | instskip(SKIP_1) | instid1(VALU_DEP_2)
	v_dual_fmac_f32 v13, v19, v1 :: v_dual_and_b32 v24, 0xffff0000, v24
	v_lshlrev_b32_e32 v1, 16, v50
	v_dual_fmac_f32 v13, v21, v5 :: v_dual_and_b32 v26, 0xffff0000, v26
	s_delay_alu instid0(VALU_DEP_2) | instskip(SKIP_2) | instid1(VALU_DEP_3)
	v_dual_fmac_f32 v10, v24, v1 :: v_dual_and_b32 v23, 0xffff0000, v23
	v_and_b32_e32 v5, 0xffff0000, v50
	v_dual_fmac_f32 v11, v62, v1 :: v_dual_lshlrev_b32 v66, 16, v27
	v_fmac_f32_e32 v13, v23, v1
	v_dual_fmac_f32 v12, v63, v1 :: v_dual_lshlrev_b32 v1, 16, v43
	s_delay_alu instid0(VALU_DEP_4) | instskip(NEXT) | instid1(VALU_DEP_4)
	v_dual_fmac_f32 v10, v26, v5 :: v_dual_lshlrev_b32 v67, 16, v28
	v_dual_fmac_f32 v11, v64, v5 :: v_dual_and_b32 v28, 0xffff0000, v28
	s_delay_alu instid0(VALU_DEP_4) | instskip(NEXT) | instid1(VALU_DEP_4)
	v_dual_fmac_f32 v13, v25, v5 :: v_dual_lshlrev_b32 v70, 16, v31
	v_dual_fmac_f32 v12, v65, v5 :: v_dual_and_b32 v5, 0xffff0000, v43
	s_delay_alu instid0(VALU_DEP_3) | instskip(SKIP_2) | instid1(VALU_DEP_4)
	v_dual_fmac_f32 v10, v28, v1 :: v_dual_and_b32 v27, 0xffff0000, v27
	v_lshlrev_b32_e32 v69, 16, v30
	v_dual_fmac_f32 v11, v66, v1 :: v_dual_and_b32 v30, 0xffff0000, v30
	v_fmac_f32_e32 v12, v67, v1
	s_delay_alu instid0(VALU_DEP_4) | instskip(NEXT) | instid1(VALU_DEP_3)
	v_dual_fmac_f32 v13, v27, v1 :: v_dual_lshlrev_b32 v74, 16, v35
	v_dual_fmac_f32 v10, v30, v5 :: v_dual_lshlrev_b32 v1, 16, v44
	v_lshlrev_b32_e32 v71, 16, v32
	v_dual_fmac_f32 v11, v68, v5 :: v_dual_and_b32 v32, 0xffff0000, v32
	v_dual_fmac_f32 v12, v69, v5 :: v_dual_and_b32 v31, 0xffff0000, v31
	v_fmac_f32_e32 v13, v29, v5
	s_delay_alu instid0(VALU_DEP_3) | instskip(SKIP_1) | instid1(VALU_DEP_3)
	v_dual_fmac_f32 v10, v32, v1 :: v_dual_lshlrev_b32 v73, 16, v34
	v_and_b32_e32 v34, 0xffff0000, v34
	v_dual_fmac_f32 v13, v31, v1 :: v_dual_lshlrev_b32 v78, 16, v39
	v_and_b32_e32 v5, 0xffff0000, v44
	v_lshlrev_b32_e32 v75, 16, v36
	v_dual_fmac_f32 v11, v70, v1 :: v_dual_and_b32 v36, 0xffff0000, v36
	v_dual_fmac_f32 v12, v71, v1 :: v_dual_and_b32 v35, 0xffff0000, v35
	v_lshlrev_b32_e32 v1, 16, v45
	v_fmac_f32_e32 v13, v33, v5
	s_delay_alu instid0(VALU_DEP_4) | instskip(NEXT) | instid1(VALU_DEP_4)
	v_fmac_f32_e32 v11, v72, v5
	v_fmac_f32_e32 v12, v73, v5
	v_dual_fmac_f32 v10, v34, v5 :: v_dual_lshlrev_b32 v77, 16, v38
	v_and_b32_e32 v38, 0xffff0000, v38
	v_and_b32_e32 v39, 0xffff0000, v39
	;; [unrolled: 1-line block ×3, first 2 shown]
	s_delay_alu instid0(VALU_DEP_4)
	v_dual_fmac_f32 v10, v36, v1 :: v_dual_lshlrev_b32 v81, 16, v42
	v_dual_fmac_f32 v13, v35, v1 :: v_dual_and_b32 v42, 0xffff0000, v42
	v_fmac_f32_e32 v11, v74, v1
	v_dual_fmac_f32 v12, v75, v1 :: v_dual_lshlrev_b32 v79, 16, v40
	v_and_b32_e32 v40, 0xffff0000, v40
	v_lshlrev_b32_e32 v1, 16, v46
	s_delay_alu instid0(VALU_DEP_4) | instskip(SKIP_3) | instid1(VALU_DEP_4)
	v_fmac_f32_e32 v11, v76, v5
	v_fmac_f32_e32 v13, v37, v5
	;; [unrolled: 1-line block ×3, first 2 shown]
	v_dual_fmac_f32 v10, v38, v5 :: v_dual_and_b32 v5, 0xffff0000, v46
	v_fmac_f32_e32 v11, v78, v1
	s_delay_alu instid0(VALU_DEP_4) | instskip(NEXT) | instid1(VALU_DEP_4)
	v_fmac_f32_e32 v13, v39, v1
	v_fmac_f32_e32 v12, v79, v1
	s_delay_alu instid0(VALU_DEP_4) | instskip(NEXT) | instid1(VALU_DEP_4)
	v_fmac_f32_e32 v10, v40, v1
	;; [unrolled: 3-line block ×3, first 2 shown]
	v_fmac_f32_e32 v12, v81, v5
	s_delay_alu instid0(VALU_DEP_4)
	v_fmac_f32_e32 v10, v42, v5
	s_and_not1_b32 exec_lo, exec_lo, s6
	s_cbranch_execnz .LBB108_33
; %bb.34:
	s_or_b32 exec_lo, exec_lo, s6
.LBB108_35:
	s_delay_alu instid0(SALU_CYCLE_1)
	s_or_b32 exec_lo, exec_lo, s2
.LBB108_36:
	s_delay_alu instid0(SALU_CYCLE_1)
	s_or_b32 exec_lo, exec_lo, s3
.LBB108_37:
	v_mbcnt_lo_u32_b32 v0, -1, 0
	s_mov_b32 s2, -1
	s_delay_alu instid0(VALU_DEP_1) | instskip(SKIP_1) | instid1(VALU_DEP_2)
	v_xor_b32_e32 v1, 16, v0
	v_xor_b32_e32 v6, 8, v0
	v_cmp_gt_i32_e32 vcc_lo, 32, v1
	v_cndmask_b32_e32 v1, v0, v1, vcc_lo
	s_delay_alu instid0(VALU_DEP_3) | instskip(SKIP_1) | instid1(VALU_DEP_1)
	v_cmp_gt_i32_e32 vcc_lo, 32, v6
	v_cndmask_b32_e32 v6, v0, v6, vcc_lo
	v_lshlrev_b32_e32 v6, 2, v6
	s_delay_alu instid0(VALU_DEP_4)
	v_lshlrev_b32_e32 v1, 2, v1
	ds_bpermute_b32 v2, v1, v11
	s_waitcnt lgkmcnt(0)
	v_add_f32_e32 v2, v11, v2
	ds_bpermute_b32 v3, v1, v13
	ds_bpermute_b32 v5, v1, v12
	;; [unrolled: 1-line block ×3, first 2 shown]
	v_xor_b32_e32 v11, 4, v0
	ds_bpermute_b32 v7, v6, v2
	v_cmp_gt_i32_e32 vcc_lo, 32, v11
	s_waitcnt lgkmcnt(3)
	v_add_f32_e32 v3, v13, v3
	s_waitcnt lgkmcnt(2)
	v_add_f32_e32 v5, v12, v5
	;; [unrolled: 2-line block ×4, first 2 shown]
	ds_bpermute_b32 v8, v6, v3
	ds_bpermute_b32 v10, v6, v5
	;; [unrolled: 1-line block ×3, first 2 shown]
	v_cndmask_b32_e32 v11, v0, v11, vcc_lo
	s_waitcnt lgkmcnt(1)
	v_add_f32_e32 v5, v5, v10
	s_waitcnt lgkmcnt(0)
	v_add_f32_e32 v1, v1, v6
	v_lshlrev_b32_e32 v11, 2, v11
	ds_bpermute_b32 v6, v11, v2
	ds_bpermute_b32 v10, v11, v1
	s_waitcnt lgkmcnt(1)
	v_add_f32_e32 v2, v2, v6
	s_waitcnt lgkmcnt(0)
	v_dual_add_f32 v6, v1, v10 :: v_dual_add_f32 v3, v3, v8
	ds_bpermute_b32 v8, v11, v5
	ds_bpermute_b32 v7, v11, v3
	v_xor_b32_e32 v11, 2, v0
	s_delay_alu instid0(VALU_DEP_1)
	v_cmp_gt_i32_e32 vcc_lo, 32, v11
	s_waitcnt lgkmcnt(1)
	v_add_f32_e32 v5, v5, v8
	v_cndmask_b32_e32 v11, v0, v11, vcc_lo
	s_waitcnt lgkmcnt(0)
	v_add_f32_e32 v3, v3, v7
	s_delay_alu instid0(VALU_DEP_2)
	v_lshlrev_b32_e32 v11, 2, v11
	ds_bpermute_b32 v1, v11, v2
	ds_bpermute_b32 v7, v11, v3
	;; [unrolled: 1-line block ×4, first 2 shown]
	v_xor_b32_e32 v11, 1, v0
	s_delay_alu instid0(VALU_DEP_1) | instskip(SKIP_3) | instid1(VALU_DEP_2)
	v_cmp_gt_i32_e32 vcc_lo, 32, v11
	v_cndmask_b32_e32 v0, v0, v11, vcc_lo
	v_cmp_eq_u32_e32 vcc_lo, 31, v9
	s_waitcnt lgkmcnt(3)
	v_dual_add_f32 v0, v2, v1 :: v_dual_lshlrev_b32 v11, 2, v0
	s_waitcnt lgkmcnt(1)
	v_dual_add_f32 v1, v3, v7 :: v_dual_add_f32 v2, v5, v8
	s_waitcnt lgkmcnt(0)
	v_add_f32_e32 v3, v6, v10
	ds_bpermute_b32 v5, v11, v0
	ds_bpermute_b32 v6, v11, v1
	;; [unrolled: 1-line block ×4, first 2 shown]
	s_and_b32 exec_lo, exec_lo, vcc_lo
	s_cbranch_execz .LBB108_10
; %bb.38:
	s_load_b64 s[0:1], s[0:1], 0x50
	s_waitcnt lgkmcnt(0)
	v_dual_add_f32 v0, v0, v5 :: v_dual_add_f32 v1, v1, v6
	v_dual_add_f32 v2, v2, v7 :: v_dual_add_f32 v3, v3, v8
	v_cmp_eq_f32_e64 s3, s12, 0
	s_delay_alu instid0(VALU_DEP_3) | instskip(NEXT) | instid1(VALU_DEP_3)
	v_dual_mul_f32 v0, s16, v0 :: v_dual_mul_f32 v1, s16, v1
	v_dual_mul_f32 v2, s16, v2 :: v_dual_mul_f32 v3, s16, v3
	v_lshlrev_b32_e32 v4, 2, v4
	s_delay_alu instid0(VALU_DEP_4)
	s_and_b32 vcc_lo, exec_lo, s3
	s_cbranch_vccz .LBB108_40
; %bb.39:
	s_delay_alu instid0(VALU_DEP_1) | instskip(SKIP_1) | instid1(VALU_DEP_1)
	v_ashrrev_i32_e32 v5, 31, v4
	s_mov_b32 s2, 0
	v_lshlrev_b64 v[5:6], 2, v[4:5]
	s_delay_alu instid0(VALU_DEP_1) | instskip(NEXT) | instid1(VALU_DEP_2)
	v_add_co_u32 v5, vcc_lo, s0, v5
	v_add_co_ci_u32_e32 v6, vcc_lo, s1, v6, vcc_lo
	global_store_b128 v[5:6], v[0:3], off
.LBB108_40:
	s_and_not1_b32 vcc_lo, exec_lo, s2
	s_cbranch_vccnz .LBB108_10
; %bb.41:
	v_ashrrev_i32_e32 v5, 31, v4
	s_delay_alu instid0(VALU_DEP_1) | instskip(NEXT) | instid1(VALU_DEP_1)
	v_lshlrev_b64 v[4:5], 2, v[4:5]
	v_add_co_u32 v8, vcc_lo, s0, v4
	s_delay_alu instid0(VALU_DEP_2)
	v_add_co_ci_u32_e32 v9, vcc_lo, s1, v5, vcc_lo
	global_load_b128 v[4:7], v[8:9], off
	s_waitcnt vmcnt(0)
	v_dual_fmac_f32 v0, s12, v4 :: v_dual_fmac_f32 v1, s12, v5
	v_dual_fmac_f32 v2, s12, v6 :: v_dual_fmac_f32 v3, s12, v7
	global_store_b128 v[8:9], v[0:3], off
	s_nop 0
	s_sendmsg sendmsg(MSG_DEALLOC_VGPRS)
	s_endpgm
	.section	.rodata,"a",@progbits
	.p2align	6, 0x0
	.amdhsa_kernel _ZN9rocsparseL18bsrxmvn_4x4_kernelILj128ELj32Efii18rocsparse_bfloat16S1_fEEvT3_20rocsparse_direction_NS_24const_host_device_scalarIT1_EES2_PKS2_PKT2_SB_S8_PKT4_PKT5_S6_PT6_21rocsparse_index_base_b
		.amdhsa_group_segment_fixed_size 0
		.amdhsa_private_segment_fixed_size 0
		.amdhsa_kernarg_size 96
		.amdhsa_user_sgpr_count 15
		.amdhsa_user_sgpr_dispatch_ptr 0
		.amdhsa_user_sgpr_queue_ptr 0
		.amdhsa_user_sgpr_kernarg_segment_ptr 1
		.amdhsa_user_sgpr_dispatch_id 0
		.amdhsa_user_sgpr_private_segment_size 0
		.amdhsa_wavefront_size32 1
		.amdhsa_uses_dynamic_stack 0
		.amdhsa_enable_private_segment 0
		.amdhsa_system_sgpr_workgroup_id_x 1
		.amdhsa_system_sgpr_workgroup_id_y 0
		.amdhsa_system_sgpr_workgroup_id_z 0
		.amdhsa_system_sgpr_workgroup_info 0
		.amdhsa_system_vgpr_workitem_id 0
		.amdhsa_next_free_vgpr 87
		.amdhsa_next_free_sgpr 20
		.amdhsa_reserve_vcc 1
		.amdhsa_float_round_mode_32 0
		.amdhsa_float_round_mode_16_64 0
		.amdhsa_float_denorm_mode_32 3
		.amdhsa_float_denorm_mode_16_64 3
		.amdhsa_dx10_clamp 1
		.amdhsa_ieee_mode 1
		.amdhsa_fp16_overflow 0
		.amdhsa_workgroup_processor_mode 1
		.amdhsa_memory_ordered 1
		.amdhsa_forward_progress 0
		.amdhsa_shared_vgpr_count 0
		.amdhsa_exception_fp_ieee_invalid_op 0
		.amdhsa_exception_fp_denorm_src 0
		.amdhsa_exception_fp_ieee_div_zero 0
		.amdhsa_exception_fp_ieee_overflow 0
		.amdhsa_exception_fp_ieee_underflow 0
		.amdhsa_exception_fp_ieee_inexact 0
		.amdhsa_exception_int_div_zero 0
	.end_amdhsa_kernel
	.section	.text._ZN9rocsparseL18bsrxmvn_4x4_kernelILj128ELj32Efii18rocsparse_bfloat16S1_fEEvT3_20rocsparse_direction_NS_24const_host_device_scalarIT1_EES2_PKS2_PKT2_SB_S8_PKT4_PKT5_S6_PT6_21rocsparse_index_base_b,"axG",@progbits,_ZN9rocsparseL18bsrxmvn_4x4_kernelILj128ELj32Efii18rocsparse_bfloat16S1_fEEvT3_20rocsparse_direction_NS_24const_host_device_scalarIT1_EES2_PKS2_PKT2_SB_S8_PKT4_PKT5_S6_PT6_21rocsparse_index_base_b,comdat
.Lfunc_end108:
	.size	_ZN9rocsparseL18bsrxmvn_4x4_kernelILj128ELj32Efii18rocsparse_bfloat16S1_fEEvT3_20rocsparse_direction_NS_24const_host_device_scalarIT1_EES2_PKS2_PKT2_SB_S8_PKT4_PKT5_S6_PT6_21rocsparse_index_base_b, .Lfunc_end108-_ZN9rocsparseL18bsrxmvn_4x4_kernelILj128ELj32Efii18rocsparse_bfloat16S1_fEEvT3_20rocsparse_direction_NS_24const_host_device_scalarIT1_EES2_PKS2_PKT2_SB_S8_PKT4_PKT5_S6_PT6_21rocsparse_index_base_b
                                        ; -- End function
	.section	.AMDGPU.csdata,"",@progbits
; Kernel info:
; codeLenInByte = 4668
; NumSgprs: 22
; NumVgprs: 87
; ScratchSize: 0
; MemoryBound: 0
; FloatMode: 240
; IeeeMode: 1
; LDSByteSize: 0 bytes/workgroup (compile time only)
; SGPRBlocks: 2
; VGPRBlocks: 10
; NumSGPRsForWavesPerEU: 22
; NumVGPRsForWavesPerEU: 87
; Occupancy: 16
; WaveLimiterHint : 1
; COMPUTE_PGM_RSRC2:SCRATCH_EN: 0
; COMPUTE_PGM_RSRC2:USER_SGPR: 15
; COMPUTE_PGM_RSRC2:TRAP_HANDLER: 0
; COMPUTE_PGM_RSRC2:TGID_X_EN: 1
; COMPUTE_PGM_RSRC2:TGID_Y_EN: 0
; COMPUTE_PGM_RSRC2:TGID_Z_EN: 0
; COMPUTE_PGM_RSRC2:TIDIG_COMP_CNT: 0
	.section	.text._ZN9rocsparseL18bsrxmvn_4x4_kernelILj128ELj64Efii18rocsparse_bfloat16S1_fEEvT3_20rocsparse_direction_NS_24const_host_device_scalarIT1_EES2_PKS2_PKT2_SB_S8_PKT4_PKT5_S6_PT6_21rocsparse_index_base_b,"axG",@progbits,_ZN9rocsparseL18bsrxmvn_4x4_kernelILj128ELj64Efii18rocsparse_bfloat16S1_fEEvT3_20rocsparse_direction_NS_24const_host_device_scalarIT1_EES2_PKS2_PKT2_SB_S8_PKT4_PKT5_S6_PT6_21rocsparse_index_base_b,comdat
	.globl	_ZN9rocsparseL18bsrxmvn_4x4_kernelILj128ELj64Efii18rocsparse_bfloat16S1_fEEvT3_20rocsparse_direction_NS_24const_host_device_scalarIT1_EES2_PKS2_PKT2_SB_S8_PKT4_PKT5_S6_PT6_21rocsparse_index_base_b ; -- Begin function _ZN9rocsparseL18bsrxmvn_4x4_kernelILj128ELj64Efii18rocsparse_bfloat16S1_fEEvT3_20rocsparse_direction_NS_24const_host_device_scalarIT1_EES2_PKS2_PKT2_SB_S8_PKT4_PKT5_S6_PT6_21rocsparse_index_base_b
	.p2align	8
	.type	_ZN9rocsparseL18bsrxmvn_4x4_kernelILj128ELj64Efii18rocsparse_bfloat16S1_fEEvT3_20rocsparse_direction_NS_24const_host_device_scalarIT1_EES2_PKS2_PKT2_SB_S8_PKT4_PKT5_S6_PT6_21rocsparse_index_base_b,@function
_ZN9rocsparseL18bsrxmvn_4x4_kernelILj128ELj64Efii18rocsparse_bfloat16S1_fEEvT3_20rocsparse_direction_NS_24const_host_device_scalarIT1_EES2_PKS2_PKT2_SB_S8_PKT4_PKT5_S6_PT6_21rocsparse_index_base_b: ; @_ZN9rocsparseL18bsrxmvn_4x4_kernelILj128ELj64Efii18rocsparse_bfloat16S1_fEEvT3_20rocsparse_direction_NS_24const_host_device_scalarIT1_EES2_PKS2_PKT2_SB_S8_PKT4_PKT5_S6_PT6_21rocsparse_index_base_b
; %bb.0:
	s_clause 0x2
	s_load_b64 s[18:19], s[0:1], 0x58
	s_load_b64 s[16:17], s[0:1], 0x8
	;; [unrolled: 1-line block ×3, first 2 shown]
	s_waitcnt lgkmcnt(0)
	s_bitcmp1_b32 s19, 0
	s_cselect_b32 s2, -1, 0
	s_delay_alu instid0(SALU_CYCLE_1)
	s_and_b32 vcc_lo, exec_lo, s2
	s_xor_b32 s2, s2, -1
	s_cbranch_vccnz .LBB109_2
; %bb.1:
	s_load_b32 s16, s[16:17], 0x0
.LBB109_2:
	s_and_not1_b32 vcc_lo, exec_lo, s2
	s_cbranch_vccnz .LBB109_4
; %bb.3:
	s_load_b32 s12, s[12:13], 0x0
.LBB109_4:
	s_waitcnt lgkmcnt(0)
	v_cmp_neq_f32_e64 s2, s16, 0
	v_cmp_neq_f32_e64 s3, s12, 1.0
	s_mov_b32 s6, 0
	s_delay_alu instid0(VALU_DEP_1) | instskip(NEXT) | instid1(SALU_CYCLE_1)
	s_or_b32 s2, s2, s3
	s_and_not1_b32 vcc_lo, exec_lo, s2
	s_cbranch_vccnz .LBB109_10
; %bb.5:
	s_clause 0x1
	s_load_b64 s[4:5], s[0:1], 0x18
	s_load_b64 s[2:3], s[0:1], 0x0
	v_lshrrev_b32_e32 v1, 6, v0
	s_delay_alu instid0(VALU_DEP_1)
	v_lshl_or_b32 v4, s15, 1, v1
	s_waitcnt lgkmcnt(0)
	s_cmp_lg_u64 s[4:5], 0
	s_cbranch_scc0 .LBB109_11
; %bb.6:
	s_load_b32 s6, s[0:1], 0x10
	s_mov_b32 s7, 0
                                        ; implicit-def: $vgpr1
	s_waitcnt lgkmcnt(0)
	v_cmp_gt_i32_e32 vcc_lo, s6, v4
	s_mov_b32 s6, 0
	s_and_saveexec_b32 s8, vcc_lo
	s_delay_alu instid0(SALU_CYCLE_1)
	s_xor_b32 s8, exec_lo, s8
	s_cbranch_execz .LBB109_8
; %bb.7:
	v_ashrrev_i32_e32 v5, 31, v4
	s_mov_b32 s6, exec_lo
	s_delay_alu instid0(VALU_DEP_1) | instskip(NEXT) | instid1(VALU_DEP_1)
	v_lshlrev_b64 v[1:2], 2, v[4:5]
	v_add_co_u32 v1, vcc_lo, s4, v1
	s_delay_alu instid0(VALU_DEP_2)
	v_add_co_ci_u32_e32 v2, vcc_lo, s5, v2, vcc_lo
	global_load_b32 v1, v[1:2], off
	s_waitcnt vmcnt(0)
	v_subrev_nc_u32_e32 v1, s18, v1
.LBB109_8:
	s_or_b32 exec_lo, exec_lo, s8
	s_delay_alu instid0(SALU_CYCLE_1)
	s_and_b32 vcc_lo, exec_lo, s7
	s_cbranch_vccz .LBB109_12
.LBB109_9:
	v_cmp_gt_i32_e32 vcc_lo, s2, v4
	s_and_not1_b32 s2, s6, exec_lo
	s_and_b32 s4, vcc_lo, exec_lo
	s_delay_alu instid0(SALU_CYCLE_1) | instskip(NEXT) | instid1(SALU_CYCLE_1)
	s_or_b32 s6, s2, s4
	s_and_saveexec_b32 s2, s6
	s_cbranch_execnz .LBB109_13
.LBB109_10:
	s_nop 0
	s_sendmsg sendmsg(MSG_DEALLOC_VGPRS)
	s_endpgm
.LBB109_11:
                                        ; implicit-def: $vgpr1
	s_cbranch_execnz .LBB109_9
.LBB109_12:
	s_delay_alu instid0(VALU_DEP_1)
	v_mov_b32_e32 v4, v1
	s_and_saveexec_b32 s2, s6
	s_cbranch_execz .LBB109_10
.LBB109_13:
	s_load_b256 s[4:11], s[0:1], 0x20
	s_delay_alu instid0(VALU_DEP_1) | instskip(SKIP_1) | instid1(VALU_DEP_2)
	v_ashrrev_i32_e32 v5, 31, v4
	v_and_b32_e32 v9, 63, v0
	v_lshlrev_b64 v[1:2], 2, v[4:5]
	s_waitcnt lgkmcnt(0)
	s_delay_alu instid0(VALU_DEP_1) | instskip(NEXT) | instid1(VALU_DEP_2)
	v_add_co_u32 v5, vcc_lo, s4, v1
	v_add_co_ci_u32_e32 v6, vcc_lo, s5, v2, vcc_lo
	v_add_co_u32 v1, vcc_lo, s6, v1
	v_add_co_ci_u32_e32 v2, vcc_lo, s7, v2, vcc_lo
	global_load_b32 v15, v[5:6], off
	v_add_co_u32 v3, vcc_lo, v5, 4
	v_add_co_ci_u32_e32 v5, vcc_lo, 0, v6, vcc_lo
	s_cmp_eq_u64 s[6:7], 0
	s_load_b64 s[4:5], s[0:1], 0x40
	s_cselect_b32 vcc_lo, -1, 0
	s_cmp_eq_u32 s3, 1
	v_dual_cndmask_b32 v2, v2, v5 :: v_dual_cndmask_b32 v1, v1, v3
	global_load_b32 v5, v[1:2], off
	s_waitcnt vmcnt(1)
	v_subrev_nc_u32_e32 v0, s18, v15
	s_delay_alu instid0(VALU_DEP_1) | instskip(NEXT) | instid1(VALU_DEP_1)
	v_add_nc_u32_e32 v0, v0, v9
	v_ashrrev_i32_e32 v1, 31, v0
	s_waitcnt vmcnt(0)
	v_subrev_nc_u32_e32 v14, s18, v5
	s_delay_alu instid0(VALU_DEP_2) | instskip(NEXT) | instid1(VALU_DEP_2)
	v_lshlrev_b64 v[2:3], 5, v[0:1]
	v_cmp_lt_i32_e64 s2, v0, v14
	s_delay_alu instid0(VALU_DEP_2) | instskip(NEXT) | instid1(VALU_DEP_3)
	v_add_co_u32 v2, vcc_lo, s10, v2
	v_add_co_ci_u32_e32 v3, vcc_lo, s11, v3, vcc_lo
	s_cbranch_scc1 .LBB109_25
; %bb.14:
	v_dual_mov_b32 v10, 0 :: v_dual_mov_b32 v13, 0
	v_dual_mov_b32 v12, 0 :: v_dual_mov_b32 v11, 0
	s_mov_b32 s3, 0
	s_and_saveexec_b32 s6, s2
	s_cbranch_execz .LBB109_24
; %bb.15:
	v_dual_mov_b32 v12, 0 :: v_dual_add_nc_u32 v1, v15, v9
	v_not_b32_e32 v5, v15
	v_mov_b32_e32 v13, 0
	s_mov_b32 s10, 0
	s_delay_alu instid0(VALU_DEP_3) | instskip(SKIP_3) | instid1(VALU_DEP_3)
	v_subrev_nc_u32_e32 v1, s18, v1
	s_mov_b32 s7, exec_lo
	v_mov_b32_e32 v10, 0
	v_dual_mov_b32 v8, v3 :: v_dual_mov_b32 v7, v2
	v_add_nc_u32_e32 v1, 64, v1
	s_delay_alu instid0(VALU_DEP_1) | instskip(NEXT) | instid1(VALU_DEP_1)
	v_max_i32_e32 v1, v1, v14
	v_add3_u32 v1, v1, s18, v5
	s_delay_alu instid0(VALU_DEP_1) | instskip(NEXT) | instid1(VALU_DEP_1)
	v_sub_nc_u32_e32 v1, v1, v9
	v_lshrrev_b32_e32 v5, 6, v1
	s_delay_alu instid0(VALU_DEP_1) | instskip(NEXT) | instid1(VALU_DEP_1)
	v_add_nc_u32_e32 v5, 1, v5
	v_dual_mov_b32 v11, 0 :: v_dual_and_b32 v6, 3, v5
	v_mov_b32_e32 v5, v0
	s_delay_alu instid0(VALU_DEP_2)
	v_cmpx_ne_u32_e32 0, v6
	s_cbranch_execz .LBB109_19
; %bb.16:
	v_dual_mov_b32 v8, v3 :: v_dual_mov_b32 v13, 0
	v_dual_mov_b32 v7, v2 :: v_dual_lshlrev_b32 v16, 5, v6
	v_dual_mov_b32 v10, 0 :: v_dual_mov_b32 v5, v0
	v_dual_mov_b32 v12, 0 :: v_dual_mov_b32 v11, 0
.LBB109_17:                             ; =>This Inner Loop Header: Depth=1
	s_delay_alu instid0(VALU_DEP_2) | instskip(NEXT) | instid1(VALU_DEP_4)
	v_ashrrev_i32_e32 v6, 31, v5
	v_subrev_nc_u32_e32 v16, 32, v16
	s_delay_alu instid0(VALU_DEP_2) | instskip(NEXT) | instid1(VALU_DEP_1)
	v_lshlrev_b64 v[17:18], 2, v[5:6]
	v_add_co_u32 v17, vcc_lo, s8, v17
	s_delay_alu instid0(VALU_DEP_2) | instskip(SKIP_4) | instid1(VALU_DEP_1)
	v_add_co_ci_u32_e32 v18, vcc_lo, s9, v18, vcc_lo
	global_load_b32 v6, v[17:18], off
	global_load_b128 v[17:20], v[7:8], off
	s_waitcnt vmcnt(1)
	v_subrev_nc_u32_e32 v6, s18, v6
	v_lshlrev_b32_e32 v21, 2, v6
	s_delay_alu instid0(VALU_DEP_1) | instskip(NEXT) | instid1(VALU_DEP_1)
	v_ashrrev_i32_e32 v22, 31, v21
	v_lshlrev_b64 v[21:22], 1, v[21:22]
	s_waitcnt lgkmcnt(0)
	s_delay_alu instid0(VALU_DEP_1) | instskip(NEXT) | instid1(VALU_DEP_2)
	v_add_co_u32 v25, vcc_lo, s4, v21
	v_add_co_ci_u32_e32 v26, vcc_lo, s5, v22, vcc_lo
	global_load_b128 v[21:24], v[7:8], off offset:16
	global_load_b64 v[25:26], v[25:26], off
	v_add_co_u32 v7, vcc_lo, 0x800, v7
	v_add_co_ci_u32_e32 v8, vcc_lo, 0, v8, vcc_lo
	v_cmp_eq_u32_e32 vcc_lo, 0, v16
	s_or_b32 s10, vcc_lo, s10
	s_waitcnt vmcnt(1)
	v_lshlrev_b32_e32 v33, 16, v24
	s_waitcnt vmcnt(0)
	v_lshlrev_b32_e32 v34, 16, v25
	v_lshlrev_b32_e32 v28, 16, v19
	;; [unrolled: 1-line block ×3, first 2 shown]
	v_and_b32_e32 v25, 0xffff0000, v25
	s_delay_alu instid0(VALU_DEP_3) | instskip(NEXT) | instid1(VALU_DEP_3)
	v_fmac_f32_e32 v13, v28, v34
	v_fmac_f32_e32 v11, v6, v34
	v_lshlrev_b32_e32 v6, 16, v26
	v_lshlrev_b32_e32 v30, 16, v21
	v_add_nc_u32_e32 v5, 64, v5
	v_and_b32_e32 v21, 0xffff0000, v21
	v_lshlrev_b32_e32 v32, 16, v23
	s_delay_alu instid0(VALU_DEP_4) | instskip(SKIP_1) | instid1(VALU_DEP_3)
	v_dual_fmac_f32 v12, v30, v34 :: v_dual_and_b32 v17, 0xffff0000, v17
	v_lshlrev_b32_e32 v27, 16, v18
	v_fmac_f32_e32 v10, v32, v34
	s_delay_alu instid0(VALU_DEP_3) | instskip(NEXT) | instid1(VALU_DEP_4)
	v_dual_fmac_f32 v11, v17, v25 :: v_dual_and_b32 v18, 0xffff0000, v18
	v_dual_fmac_f32 v12, v21, v25 :: v_dual_and_b32 v17, 0xffff0000, v26
	v_lshlrev_b32_e32 v31, 16, v22
	v_and_b32_e32 v19, 0xffff0000, v19
	v_and_b32_e32 v24, 0xffff0000, v24
	;; [unrolled: 1-line block ×3, first 2 shown]
	v_fmac_f32_e32 v11, v27, v6
	v_fmac_f32_e32 v12, v31, v6
	v_dual_fmac_f32 v13, v19, v25 :: v_dual_and_b32 v22, 0xffff0000, v22
	s_delay_alu instid0(VALU_DEP_4) | instskip(NEXT) | instid1(VALU_DEP_4)
	v_fmac_f32_e32 v10, v23, v25
	v_fmac_f32_e32 v11, v18, v17
	v_lshlrev_b32_e32 v29, 16, v20
	v_and_b32_e32 v20, 0xffff0000, v20
	v_fmac_f32_e32 v12, v22, v17
	v_fmac_f32_e32 v10, v33, v6
	s_delay_alu instid0(VALU_DEP_4) | instskip(NEXT) | instid1(VALU_DEP_1)
	v_fmac_f32_e32 v13, v29, v6
	v_fmac_f32_e32 v13, v20, v17
	s_delay_alu instid0(VALU_DEP_3)
	v_fmac_f32_e32 v10, v24, v17
	s_and_not1_b32 exec_lo, exec_lo, s10
	s_cbranch_execnz .LBB109_17
; %bb.18:
	s_or_b32 exec_lo, exec_lo, s10
.LBB109_19:
	s_delay_alu instid0(SALU_CYCLE_1) | instskip(NEXT) | instid1(SALU_CYCLE_1)
	s_or_b32 exec_lo, exec_lo, s7
	s_mov_b32 s7, exec_lo
	v_cmpx_lt_u32_e32 0xbf, v1
	s_cbranch_execz .LBB109_23
; %bb.20:
	s_mov_b32 s10, 0
.LBB109_21:                             ; =>This Inner Loop Header: Depth=1
	v_ashrrev_i32_e32 v6, 31, v5
	s_delay_alu instid0(VALU_DEP_1) | instskip(NEXT) | instid1(VALU_DEP_1)
	v_lshlrev_b64 v[16:17], 2, v[5:6]
	v_add_co_u32 v16, vcc_lo, s8, v16
	s_delay_alu instid0(VALU_DEP_2)
	v_add_co_ci_u32_e32 v17, vcc_lo, s9, v17, vcc_lo
	v_add_co_u32 v44, vcc_lo, 0x1000, v7
	v_add_co_ci_u32_e32 v45, vcc_lo, 0, v8, vcc_lo
	s_clause 0x3
	global_load_b32 v1, v[16:17], off
	global_load_b32 v6, v[16:17], off offset:256
	global_load_b32 v48, v[16:17], off offset:512
	;; [unrolled: 1-line block ×3, first 2 shown]
	s_clause 0x7
	global_load_b128 v[16:19], v[7:8], off
	global_load_b128 v[20:23], v[7:8], off offset:16
	global_load_b128 v[24:27], v[7:8], off offset:2048
	;; [unrolled: 1-line block ×3, first 2 shown]
	global_load_b128 v[32:35], v[44:45], off
	global_load_b128 v[36:39], v[44:45], off offset:16
	global_load_b128 v[40:43], v[44:45], off offset:2048
	;; [unrolled: 1-line block ×3, first 2 shown]
	s_waitcnt vmcnt(11)
	v_subrev_nc_u32_e32 v1, s18, v1
	s_waitcnt vmcnt(10)
	v_subrev_nc_u32_e32 v6, s18, v6
	;; [unrolled: 2-line block ×4, first 2 shown]
	v_lshlrev_b32_e32 v48, 2, v1
	v_lshlrev_b32_e32 v50, 2, v6
	s_waitcnt vmcnt(4)
	v_lshlrev_b32_e32 v66, 16, v28
	v_and_b32_e32 v28, 0xffff0000, v28
	v_lshlrev_b32_e32 v63, 16, v25
	v_ashrrev_i32_e32 v49, 31, v48
	v_lshlrev_b32_e32 v60, 16, v22
	s_waitcnt vmcnt(2)
	v_lshlrev_b32_e32 v74, 16, v36
	v_and_b32_e32 v36, 0xffff0000, v36
	v_lshlrev_b32_e32 v71, 16, v33
	v_lshlrev_b64 v[48:49], 1, v[48:49]
	v_lshlrev_b32_e32 v68, 16, v30
	v_lshlrev_b32_e32 v65, 16, v27
	v_and_b32_e32 v22, 0xffff0000, v22
	v_lshlrev_b32_e32 v57, 16, v19
	v_lshlrev_b32_e32 v56, 16, v18
	s_waitcnt lgkmcnt(0)
	v_add_co_u32 v48, vcc_lo, s4, v48
	v_add_co_ci_u32_e32 v49, vcc_lo, s5, v49, vcc_lo
	v_lshlrev_b32_e32 v52, 2, v51
	v_ashrrev_i32_e32 v51, 31, v50
	v_lshlrev_b32_e32 v62, 16, v24
	global_load_b64 v[48:49], v[48:49], off
	v_and_b32_e32 v18, 0xffff0000, v18
	v_lshlrev_b32_e32 v54, 2, v53
	v_lshlrev_b64 v[50:51], 1, v[50:51]
	v_ashrrev_i32_e32 v53, 31, v52
	v_lshlrev_b32_e32 v70, 16, v32
	v_lshlrev_b32_e32 v64, 16, v26
	v_ashrrev_i32_e32 v55, 31, v54
	v_lshlrev_b32_e32 v61, 16, v23
	v_add_co_u32 v50, vcc_lo, s4, v50
	v_add_co_ci_u32_e32 v51, vcc_lo, s5, v51, vcc_lo
	v_lshlrev_b64 v[52:53], 1, v[52:53]
	v_lshlrev_b64 v[54:55], 1, v[54:55]
	s_waitcnt vmcnt(2)
	v_lshlrev_b32_e32 v78, 16, v40
	global_load_b64 v[50:51], v[50:51], off
	v_lshlrev_b32_e32 v72, 16, v34
	v_and_b32_e32 v26, 0xffff0000, v26
	v_add_co_u32 v52, vcc_lo, s4, v52
	v_add_co_ci_u32_e32 v53, vcc_lo, s5, v53, vcc_lo
	v_add_co_u32 v54, vcc_lo, s4, v54
	v_add_co_ci_u32_e32 v55, vcc_lo, s5, v55, vcc_lo
	global_load_b64 v[52:53], v[52:53], off
	s_waitcnt vmcnt(3)
	v_lshlrev_b32_e32 v82, 16, v44
	v_and_b32_e32 v44, 0xffff0000, v44
	global_load_b64 v[54:55], v[54:55], off
	v_lshlrev_b32_e32 v79, 16, v41
	v_lshlrev_b32_e32 v76, 16, v38
	;; [unrolled: 1-line block ×3, first 2 shown]
	v_and_b32_e32 v30, 0xffff0000, v30
	v_lshlrev_b32_e32 v69, 16, v31
	v_lshlrev_b32_e32 v80, 16, v42
	v_and_b32_e32 v34, 0xffff0000, v34
	v_lshlrev_b32_e32 v84, 16, v46
	v_lshlrev_b32_e32 v81, 16, v43
	v_and_b32_e32 v38, 0xffff0000, v38
	v_lshlrev_b32_e32 v77, 16, v39
	v_and_b32_e32 v42, 0xffff0000, v42
	v_and_b32_e32 v46, 0xffff0000, v46
	v_lshlrev_b32_e32 v85, 16, v47
	v_add_co_u32 v7, vcc_lo, 0x2000, v7
	v_add_co_ci_u32_e32 v8, vcc_lo, 0, v8, vcc_lo
	s_waitcnt vmcnt(3)
	v_lshlrev_b32_e32 v86, 16, v48
	v_lshlrev_b32_e32 v1, 16, v16
	v_and_b32_e32 v48, 0xffff0000, v48
	s_delay_alu instid0(VALU_DEP_3) | instskip(SKIP_1) | instid1(VALU_DEP_4)
	v_fmac_f32_e32 v10, v60, v86
	v_fmac_f32_e32 v13, v56, v86
	;; [unrolled: 1-line block ×3, first 2 shown]
	v_lshlrev_b32_e32 v1, 16, v49
	v_and_b32_e32 v6, 0xffff0000, v16
	v_fmac_f32_e32 v10, v22, v48
	v_fmac_f32_e32 v13, v18, v48
	v_and_b32_e32 v23, 0xffff0000, v23
	s_delay_alu instid0(VALU_DEP_3) | instskip(SKIP_1) | instid1(VALU_DEP_4)
	v_dual_fmac_f32 v11, v6, v48 :: v_dual_fmac_f32 v10, v61, v1
	v_and_b32_e32 v6, 0xffff0000, v49
	v_dual_fmac_f32 v13, v57, v1 :: v_dual_lshlrev_b32 v58, 16, v20
	v_add_nc_u32_e32 v5, 0x100, v5
	v_and_b32_e32 v20, 0xffff0000, v20
	v_lshlrev_b32_e32 v16, 16, v17
	s_delay_alu instid0(VALU_DEP_4) | instskip(SKIP_2) | instid1(VALU_DEP_4)
	v_dual_fmac_f32 v12, v58, v86 :: v_dual_lshlrev_b32 v59, 16, v21
	v_and_b32_e32 v17, 0xffff0000, v17
	v_dual_fmac_f32 v10, v23, v6 :: v_dual_and_b32 v21, 0xffff0000, v21
	v_fmac_f32_e32 v11, v16, v1
	s_delay_alu instid0(VALU_DEP_4) | instskip(SKIP_1) | instid1(VALU_DEP_2)
	v_dual_fmac_f32 v12, v20, v48 :: v_dual_and_b32 v19, 0xffff0000, v19
	v_cmp_ge_i32_e32 vcc_lo, v5, v14
	v_dual_fmac_f32 v11, v17, v6 :: v_dual_fmac_f32 v12, v59, v1
	s_waitcnt vmcnt(2)
	v_lshlrev_b32_e32 v1, 16, v50
	v_fmac_f32_e32 v13, v19, v6
	s_or_b32 s10, vcc_lo, s10
	v_fmac_f32_e32 v12, v21, v6
	s_delay_alu instid0(VALU_DEP_3) | instskip(NEXT) | instid1(VALU_DEP_3)
	v_dual_fmac_f32 v11, v62, v1 :: v_dual_and_b32 v6, 0xffff0000, v50
	v_dual_fmac_f32 v13, v64, v1 :: v_dual_and_b32 v24, 0xffff0000, v24
	s_delay_alu instid0(VALU_DEP_3)
	v_fmac_f32_e32 v12, v66, v1
	v_fmac_f32_e32 v10, v68, v1
	v_and_b32_e32 v25, 0xffff0000, v25
	v_lshlrev_b32_e32 v1, 16, v51
	v_fmac_f32_e32 v13, v26, v6
	v_fmac_f32_e32 v11, v24, v6
	;; [unrolled: 1-line block ×4, first 2 shown]
	v_and_b32_e32 v6, 0xffff0000, v51
	v_lshlrev_b32_e32 v67, 16, v29
	v_and_b32_e32 v27, 0xffff0000, v27
	v_dual_fmac_f32 v10, v69, v1 :: v_dual_and_b32 v31, 0xffff0000, v31
	v_and_b32_e32 v29, 0xffff0000, v29
	v_fmac_f32_e32 v11, v63, v1
	v_fmac_f32_e32 v13, v65, v1
	;; [unrolled: 1-line block ×3, first 2 shown]
	s_waitcnt vmcnt(1)
	v_dual_fmac_f32 v10, v31, v6 :: v_dual_lshlrev_b32 v1, 16, v52
	v_fmac_f32_e32 v11, v25, v6
	v_fmac_f32_e32 v13, v27, v6
	;; [unrolled: 1-line block ×3, first 2 shown]
	v_and_b32_e32 v6, 0xffff0000, v52
	v_fmac_f32_e32 v10, v76, v1
	v_fmac_f32_e32 v11, v70, v1
	v_dual_fmac_f32 v13, v72, v1 :: v_dual_and_b32 v32, 0xffff0000, v32
	v_fmac_f32_e32 v12, v74, v1
	s_delay_alu instid0(VALU_DEP_4) | instskip(SKIP_1) | instid1(VALU_DEP_4)
	v_dual_fmac_f32 v10, v38, v6 :: v_dual_and_b32 v33, 0xffff0000, v33
	v_lshlrev_b32_e32 v1, 16, v53
	v_fmac_f32_e32 v13, v34, v6
	v_fmac_f32_e32 v11, v32, v6
	;; [unrolled: 1-line block ×3, first 2 shown]
	v_and_b32_e32 v6, 0xffff0000, v53
	v_lshlrev_b32_e32 v75, 16, v37
	v_and_b32_e32 v35, 0xffff0000, v35
	v_dual_fmac_f32 v10, v77, v1 :: v_dual_and_b32 v39, 0xffff0000, v39
	v_and_b32_e32 v37, 0xffff0000, v37
	v_fmac_f32_e32 v11, v71, v1
	v_fmac_f32_e32 v13, v73, v1
	;; [unrolled: 1-line block ×4, first 2 shown]
	s_waitcnt vmcnt(0)
	v_lshlrev_b32_e32 v1, 16, v54
	v_fmac_f32_e32 v11, v33, v6
	v_fmac_f32_e32 v13, v35, v6
	;; [unrolled: 1-line block ×3, first 2 shown]
	v_and_b32_e32 v6, 0xffff0000, v54
	v_fmac_f32_e32 v10, v84, v1
	v_fmac_f32_e32 v11, v78, v1
	v_dual_fmac_f32 v13, v80, v1 :: v_dual_and_b32 v40, 0xffff0000, v40
	v_fmac_f32_e32 v12, v82, v1
	s_delay_alu instid0(VALU_DEP_4) | instskip(SKIP_1) | instid1(VALU_DEP_4)
	v_dual_fmac_f32 v10, v46, v6 :: v_dual_and_b32 v41, 0xffff0000, v41
	v_lshlrev_b32_e32 v1, 16, v55
	v_fmac_f32_e32 v13, v42, v6
	v_fmac_f32_e32 v11, v40, v6
	;; [unrolled: 1-line block ×3, first 2 shown]
	v_and_b32_e32 v6, 0xffff0000, v55
	v_lshlrev_b32_e32 v83, 16, v45
	v_and_b32_e32 v43, 0xffff0000, v43
	v_dual_fmac_f32 v10, v85, v1 :: v_dual_and_b32 v47, 0xffff0000, v47
	v_and_b32_e32 v45, 0xffff0000, v45
	v_fmac_f32_e32 v11, v79, v1
	v_fmac_f32_e32 v13, v81, v1
	;; [unrolled: 1-line block ×4, first 2 shown]
	s_delay_alu instid0(VALU_DEP_4) | instskip(NEXT) | instid1(VALU_DEP_4)
	v_fmac_f32_e32 v11, v41, v6
	v_fmac_f32_e32 v13, v43, v6
	s_delay_alu instid0(VALU_DEP_4)
	v_fmac_f32_e32 v12, v45, v6
	s_and_not1_b32 exec_lo, exec_lo, s10
	s_cbranch_execnz .LBB109_21
; %bb.22:
	s_or_b32 exec_lo, exec_lo, s10
.LBB109_23:
	s_delay_alu instid0(SALU_CYCLE_1)
	s_or_b32 exec_lo, exec_lo, s7
.LBB109_24:
	s_delay_alu instid0(SALU_CYCLE_1) | instskip(NEXT) | instid1(SALU_CYCLE_1)
	s_or_b32 exec_lo, exec_lo, s6
	s_and_not1_b32 vcc_lo, exec_lo, s3
	s_cbranch_vccz .LBB109_26
	s_branch .LBB109_37
.LBB109_25:
                                        ; implicit-def: $vgpr10
                                        ; implicit-def: $vgpr12
                                        ; implicit-def: $vgpr13
                                        ; implicit-def: $vgpr11
.LBB109_26:
	v_dual_mov_b32 v10, 0 :: v_dual_mov_b32 v13, 0
	v_dual_mov_b32 v12, 0 :: v_dual_mov_b32 v11, 0
	s_and_saveexec_b32 s3, s2
	s_cbranch_execz .LBB109_36
; %bb.27:
	v_dual_mov_b32 v12, 0 :: v_dual_add_nc_u32 v1, v15, v9
	v_not_b32_e32 v5, v15
	v_mov_b32_e32 v11, 0
	v_mov_b32_e32 v13, 0
	s_delay_alu instid0(VALU_DEP_4) | instskip(SKIP_2) | instid1(VALU_DEP_1)
	v_subrev_nc_u32_e32 v1, s18, v1
	s_mov_b32 s6, 0
	s_mov_b32 s2, exec_lo
	v_dual_mov_b32 v10, 0 :: v_dual_add_nc_u32 v1, 64, v1
	s_delay_alu instid0(VALU_DEP_1) | instskip(NEXT) | instid1(VALU_DEP_1)
	v_max_i32_e32 v1, v1, v14
	v_add3_u32 v1, v1, s18, v5
	s_delay_alu instid0(VALU_DEP_1) | instskip(NEXT) | instid1(VALU_DEP_1)
	v_sub_nc_u32_e32 v5, v1, v9
	v_lshrrev_b32_e32 v1, 6, v5
	s_delay_alu instid0(VALU_DEP_1) | instskip(NEXT) | instid1(VALU_DEP_1)
	v_add_nc_u32_e32 v1, 1, v1
	v_and_b32_e32 v1, 3, v1
	s_delay_alu instid0(VALU_DEP_1)
	v_cmpx_ne_u32_e32 0, v1
	s_cbranch_execz .LBB109_31
; %bb.28:
	v_dual_mov_b32 v13, 0 :: v_dual_lshlrev_b32 v6, 5, v1
	v_dual_mov_b32 v10, 0 :: v_dual_mov_b32 v11, 0
	v_mov_b32_e32 v12, 0
.LBB109_29:                             ; =>This Inner Loop Header: Depth=1
	v_ashrrev_i32_e32 v1, 31, v0
	s_delay_alu instid0(VALU_DEP_4) | instskip(NEXT) | instid1(VALU_DEP_2)
	v_subrev_nc_u32_e32 v6, 32, v6
	v_lshlrev_b64 v[7:8], 2, v[0:1]
	s_delay_alu instid0(VALU_DEP_1) | instskip(NEXT) | instid1(VALU_DEP_2)
	v_add_co_u32 v7, vcc_lo, s8, v7
	v_add_co_ci_u32_e32 v8, vcc_lo, s9, v8, vcc_lo
	global_load_b32 v1, v[7:8], off
	global_load_b128 v[15:18], v[2:3], off
	s_waitcnt vmcnt(1)
	v_subrev_nc_u32_e32 v1, s18, v1
	s_waitcnt vmcnt(0)
	v_lshlrev_b32_e32 v25, 16, v18
	v_lshlrev_b32_e32 v23, 16, v16
	s_delay_alu instid0(VALU_DEP_3) | instskip(NEXT) | instid1(VALU_DEP_1)
	v_lshlrev_b32_e32 v7, 2, v1
	v_ashrrev_i32_e32 v8, 31, v7
	s_delay_alu instid0(VALU_DEP_1) | instskip(SKIP_1) | instid1(VALU_DEP_1)
	v_lshlrev_b64 v[7:8], 1, v[7:8]
	s_waitcnt lgkmcnt(0)
	v_add_co_u32 v7, vcc_lo, s4, v7
	s_delay_alu instid0(VALU_DEP_2)
	v_add_co_ci_u32_e32 v8, vcc_lo, s5, v8, vcc_lo
	global_load_b64 v[7:8], v[7:8], off
	global_load_b128 v[19:22], v[2:3], off offset:16
	v_add_co_u32 v2, vcc_lo, 0x800, v2
	v_add_co_ci_u32_e32 v3, vcc_lo, 0, v3, vcc_lo
	v_cmp_eq_u32_e32 vcc_lo, 0, v6
	s_or_b32 s6, vcc_lo, s6
	s_waitcnt vmcnt(1)
	v_lshlrev_b32_e32 v30, 16, v7
	v_and_b32_e32 v16, 0xffff0000, v16
	v_lshlrev_b32_e32 v1, 16, v15
	v_and_b32_e32 v7, 0xffff0000, v7
	s_waitcnt vmcnt(0)
	v_lshlrev_b32_e32 v29, 16, v22
	v_fmac_f32_e32 v12, v23, v30
	v_fmac_f32_e32 v10, v16, v30
	v_dual_fmac_f32 v11, v1, v30 :: v_dual_add_nc_u32 v0, 64, v0
	v_lshlrev_b32_e32 v27, 16, v20
	s_delay_alu instid0(VALU_DEP_4) | instskip(NEXT) | instid1(VALU_DEP_1)
	v_dual_fmac_f32 v12, v25, v7 :: v_dual_lshlrev_b32 v1, 16, v8
	v_dual_fmac_f32 v12, v27, v1 :: v_dual_and_b32 v15, 0xffff0000, v15
	s_delay_alu instid0(VALU_DEP_1) | instskip(SKIP_1) | instid1(VALU_DEP_1)
	v_dual_fmac_f32 v13, v15, v30 :: v_dual_lshlrev_b32 v24, 16, v17
	v_and_b32_e32 v18, 0xffff0000, v18
	v_dual_fmac_f32 v10, v18, v7 :: v_dual_and_b32 v17, 0xffff0000, v17
	s_delay_alu instid0(VALU_DEP_1) | instskip(SKIP_4) | instid1(VALU_DEP_3)
	v_fmac_f32_e32 v13, v17, v7
	v_lshlrev_b32_e32 v26, 16, v19
	v_and_b32_e32 v19, 0xffff0000, v19
	v_fmac_f32_e32 v11, v24, v7
	v_and_b32_e32 v7, 0xffff0000, v8
	v_dual_fmac_f32 v13, v19, v1 :: v_dual_and_b32 v20, 0xffff0000, v20
	s_delay_alu instid0(VALU_DEP_3) | instskip(SKIP_4) | instid1(VALU_DEP_1)
	v_fmac_f32_e32 v11, v26, v1
	v_lshlrev_b32_e32 v28, 16, v21
	v_and_b32_e32 v22, 0xffff0000, v22
	v_fmac_f32_e32 v12, v29, v7
	v_fmac_f32_e32 v10, v20, v1
	v_dual_fmac_f32 v10, v22, v7 :: v_dual_and_b32 v21, 0xffff0000, v21
	s_delay_alu instid0(VALU_DEP_1)
	v_fmac_f32_e32 v13, v21, v7
	v_fmac_f32_e32 v11, v28, v7
	s_and_not1_b32 exec_lo, exec_lo, s6
	s_cbranch_execnz .LBB109_29
; %bb.30:
	s_or_b32 exec_lo, exec_lo, s6
.LBB109_31:
	s_delay_alu instid0(SALU_CYCLE_1) | instskip(NEXT) | instid1(SALU_CYCLE_1)
	s_or_b32 exec_lo, exec_lo, s2
	s_mov_b32 s2, exec_lo
	v_cmpx_lt_u32_e32 0xbf, v5
	s_cbranch_execz .LBB109_35
; %bb.32:
	s_mov_b32 s6, 0
.LBB109_33:                             ; =>This Inner Loop Header: Depth=1
	v_ashrrev_i32_e32 v1, 31, v0
	s_delay_alu instid0(VALU_DEP_1) | instskip(NEXT) | instid1(VALU_DEP_1)
	v_lshlrev_b64 v[5:6], 2, v[0:1]
	v_add_co_u32 v5, vcc_lo, s8, v5
	s_delay_alu instid0(VALU_DEP_2)
	v_add_co_ci_u32_e32 v6, vcc_lo, s9, v6, vcc_lo
	v_add_co_u32 v39, vcc_lo, 0x1000, v2
	v_add_co_ci_u32_e32 v40, vcc_lo, 0, v3, vcc_lo
	s_clause 0x3
	global_load_b32 v1, v[5:6], off
	global_load_b32 v41, v[5:6], off offset:256
	global_load_b32 v42, v[5:6], off offset:512
	;; [unrolled: 1-line block ×3, first 2 shown]
	s_clause 0x6
	global_load_b128 v[5:8], v[2:3], off
	global_load_b128 v[15:18], v[2:3], off offset:16
	global_load_b128 v[19:22], v[2:3], off offset:2048
	;; [unrolled: 1-line block ×3, first 2 shown]
	global_load_b128 v[27:30], v[39:40], off
	global_load_b128 v[31:34], v[39:40], off offset:16
	global_load_b128 v[35:38], v[39:40], off offset:2048
	s_waitcnt vmcnt(5)
	v_lshlrev_b32_e32 v56, 16, v17
	v_subrev_nc_u32_e32 v1, s18, v1
	v_subrev_nc_u32_e32 v44, s18, v41
	;; [unrolled: 1-line block ×3, first 2 shown]
	s_waitcnt vmcnt(3)
	v_lshlrev_b32_e32 v65, 16, v26
	v_lshlrev_b32_e32 v63, 16, v24
	;; [unrolled: 1-line block ×3, first 2 shown]
	v_and_b32_e32 v22, 0xffff0000, v22
	v_lshlrev_b32_e32 v59, 16, v20
	v_lshlrev_b32_e32 v55, 16, v16
	;; [unrolled: 1-line block ×4, first 2 shown]
	v_subrev_nc_u32_e32 v46, s18, v43
	v_lshlrev_b32_e32 v1, 16, v5
	v_and_b32_e32 v5, 0xffff0000, v5
	v_lshlrev_b32_e32 v52, 16, v7
	v_and_b32_e32 v6, 0xffff0000, v6
	;; [unrolled: 2-line block ×3, first 2 shown]
	v_lshlrev_b32_e32 v57, 16, v18
	v_lshlrev_b32_e32 v53, 16, v8
	;; [unrolled: 1-line block ×3, first 2 shown]
	v_ashrrev_i32_e32 v42, 31, v41
	v_ashrrev_i32_e32 v44, 31, v43
	v_and_b32_e32 v8, 0xffff0000, v8
	v_lshlrev_b32_e32 v47, 2, v46
	v_ashrrev_i32_e32 v46, 31, v45
	v_lshlrev_b64 v[41:42], 1, v[41:42]
	v_lshlrev_b64 v[43:44], 1, v[43:44]
	v_and_b32_e32 v17, 0xffff0000, v17
	v_ashrrev_i32_e32 v48, 31, v47
	v_lshlrev_b64 v[45:46], 1, v[45:46]
	v_lshlrev_b32_e32 v60, 16, v21
	s_waitcnt lgkmcnt(0)
	v_add_co_u32 v41, vcc_lo, s4, v41
	v_add_co_ci_u32_e32 v42, vcc_lo, s5, v42, vcc_lo
	v_lshlrev_b64 v[47:48], 1, v[47:48]
	v_add_co_u32 v43, vcc_lo, s4, v43
	v_add_co_ci_u32_e32 v44, vcc_lo, s5, v44, vcc_lo
	v_add_co_u32 v45, vcc_lo, s4, v45
	v_add_co_ci_u32_e32 v46, vcc_lo, s5, v46, vcc_lo
	;; [unrolled: 2-line block ×3, first 2 shown]
	s_clause 0x3
	global_load_b64 v[49:50], v[41:42], off
	global_load_b64 v[43:44], v[43:44], off
	;; [unrolled: 1-line block ×4, first 2 shown]
	global_load_b128 v[39:42], v[39:40], off offset:2064
	v_and_b32_e32 v21, 0xffff0000, v21
	v_lshlrev_b32_e32 v64, 16, v25
	v_and_b32_e32 v25, 0xffff0000, v25
	s_waitcnt vmcnt(7)
	v_lshlrev_b32_e32 v68, 16, v29
	v_and_b32_e32 v29, 0xffff0000, v29
	s_waitcnt vmcnt(6)
	;; [unrolled: 3-line block ×3, first 2 shown]
	v_lshlrev_b32_e32 v76, 16, v37
	v_and_b32_e32 v37, 0xffff0000, v37
	v_add_co_u32 v2, vcc_lo, 0x2000, v2
	v_add_co_ci_u32_e32 v3, vcc_lo, 0, v3, vcc_lo
	s_waitcnt vmcnt(4)
	v_lshlrev_b32_e32 v82, 16, v49
	v_add_nc_u32_e32 v0, 0x100, v0
	v_and_b32_e32 v49, 0xffff0000, v49
	s_waitcnt vmcnt(0)
	s_delay_alu instid0(VALU_DEP_3)
	v_dual_fmac_f32 v11, v1, v82 :: v_dual_lshlrev_b32 v80, 16, v41
	v_fmac_f32_e32 v13, v5, v82
	v_lshlrev_b32_e32 v1, 16, v50
	v_fmac_f32_e32 v12, v51, v82
	v_and_b32_e32 v5, 0xffff0000, v50
	v_dual_fmac_f32 v11, v52, v49 :: v_dual_fmac_f32 v10, v6, v82
	v_and_b32_e32 v16, 0xffff0000, v16
	v_and_b32_e32 v18, 0xffff0000, v18
	v_fmac_f32_e32 v12, v53, v49
	v_and_b32_e32 v41, 0xffff0000, v41
	v_dual_fmac_f32 v10, v8, v49 :: v_dual_and_b32 v7, 0xffff0000, v7
	v_cmp_ge_i32_e32 vcc_lo, v0, v14
	s_delay_alu instid0(VALU_DEP_4) | instskip(NEXT) | instid1(VALU_DEP_3)
	v_fmac_f32_e32 v12, v55, v1
	v_fmac_f32_e32 v10, v16, v1
	s_delay_alu instid0(VALU_DEP_4) | instskip(SKIP_2) | instid1(VALU_DEP_3)
	v_dual_fmac_f32 v13, v7, v49 :: v_dual_lshlrev_b32 v54, 16, v15
	v_and_b32_e32 v15, 0xffff0000, v15
	s_or_b32 s6, vcc_lo, s6
	v_fmac_f32_e32 v10, v18, v5
	s_delay_alu instid0(VALU_DEP_2) | instskip(SKIP_2) | instid1(VALU_DEP_3)
	v_fmac_f32_e32 v13, v15, v1
	v_dual_fmac_f32 v11, v54, v1 :: v_dual_lshlrev_b32 v58, 16, v19
	v_lshlrev_b32_e32 v1, 16, v43
	v_fmac_f32_e32 v13, v17, v5
	s_delay_alu instid0(VALU_DEP_3) | instskip(NEXT) | instid1(VALU_DEP_1)
	v_fmac_f32_e32 v11, v56, v5
	v_fmac_f32_e32 v11, v58, v1
	;; [unrolled: 1-line block ×3, first 2 shown]
	v_dual_fmac_f32 v12, v57, v5 :: v_dual_and_b32 v5, 0xffff0000, v43
	s_delay_alu instid0(VALU_DEP_1) | instskip(NEXT) | instid1(VALU_DEP_3)
	v_dual_fmac_f32 v11, v60, v5 :: v_dual_lshlrev_b32 v62, 16, v23
	v_fmac_f32_e32 v10, v22, v5
	s_delay_alu instid0(VALU_DEP_3) | instskip(NEXT) | instid1(VALU_DEP_1)
	v_dual_fmac_f32 v12, v59, v1 :: v_dual_and_b32 v19, 0xffff0000, v19
	v_fmac_f32_e32 v12, v61, v5
	s_delay_alu instid0(VALU_DEP_2) | instskip(SKIP_1) | instid1(VALU_DEP_2)
	v_dual_fmac_f32 v13, v19, v1 :: v_dual_and_b32 v24, 0xffff0000, v24
	v_lshlrev_b32_e32 v1, 16, v44
	v_dual_fmac_f32 v13, v21, v5 :: v_dual_and_b32 v26, 0xffff0000, v26
	s_delay_alu instid0(VALU_DEP_2) | instskip(SKIP_2) | instid1(VALU_DEP_3)
	v_dual_fmac_f32 v10, v24, v1 :: v_dual_and_b32 v23, 0xffff0000, v23
	v_and_b32_e32 v5, 0xffff0000, v44
	v_dual_fmac_f32 v11, v62, v1 :: v_dual_lshlrev_b32 v66, 16, v27
	v_fmac_f32_e32 v13, v23, v1
	v_fmac_f32_e32 v12, v63, v1
	v_lshlrev_b32_e32 v1, 16, v45
	v_dual_fmac_f32 v10, v26, v5 :: v_dual_lshlrev_b32 v67, 16, v28
	v_dual_fmac_f32 v11, v64, v5 :: v_dual_and_b32 v28, 0xffff0000, v28
	v_dual_fmac_f32 v13, v25, v5 :: v_dual_lshlrev_b32 v70, 16, v31
	v_fmac_f32_e32 v12, v65, v5
	v_and_b32_e32 v5, 0xffff0000, v45
	s_delay_alu instid0(VALU_DEP_4) | instskip(SKIP_3) | instid1(VALU_DEP_4)
	v_dual_fmac_f32 v10, v28, v1 :: v_dual_and_b32 v27, 0xffff0000, v27
	v_lshlrev_b32_e32 v69, 16, v30
	v_dual_fmac_f32 v11, v66, v1 :: v_dual_and_b32 v30, 0xffff0000, v30
	v_fmac_f32_e32 v12, v67, v1
	v_dual_fmac_f32 v13, v27, v1 :: v_dual_lshlrev_b32 v74, 16, v35
	s_delay_alu instid0(VALU_DEP_3) | instskip(SKIP_4) | instid1(VALU_DEP_3)
	v_dual_fmac_f32 v10, v30, v5 :: v_dual_lshlrev_b32 v1, 16, v46
	v_lshlrev_b32_e32 v71, 16, v32
	v_dual_fmac_f32 v11, v68, v5 :: v_dual_and_b32 v32, 0xffff0000, v32
	v_dual_fmac_f32 v12, v69, v5 :: v_dual_and_b32 v31, 0xffff0000, v31
	v_fmac_f32_e32 v13, v29, v5
	v_dual_fmac_f32 v10, v32, v1 :: v_dual_lshlrev_b32 v73, 16, v34
	v_and_b32_e32 v34, 0xffff0000, v34
	s_delay_alu instid0(VALU_DEP_3)
	v_dual_fmac_f32 v13, v31, v1 :: v_dual_lshlrev_b32 v78, 16, v39
	v_and_b32_e32 v5, 0xffff0000, v46
	v_lshlrev_b32_e32 v75, 16, v36
	v_dual_fmac_f32 v11, v70, v1 :: v_dual_and_b32 v36, 0xffff0000, v36
	v_dual_fmac_f32 v12, v71, v1 :: v_dual_and_b32 v35, 0xffff0000, v35
	v_lshlrev_b32_e32 v1, 16, v47
	v_fmac_f32_e32 v13, v33, v5
	s_delay_alu instid0(VALU_DEP_4) | instskip(NEXT) | instid1(VALU_DEP_4)
	v_fmac_f32_e32 v11, v72, v5
	v_fmac_f32_e32 v12, v73, v5
	v_dual_fmac_f32 v10, v34, v5 :: v_dual_lshlrev_b32 v77, 16, v38
	v_and_b32_e32 v38, 0xffff0000, v38
	v_and_b32_e32 v39, 0xffff0000, v39
	s_delay_alu instid0(VALU_DEP_3)
	v_dual_fmac_f32 v10, v36, v1 :: v_dual_and_b32 v5, 0xffff0000, v47
	v_lshlrev_b32_e32 v81, 16, v42
	v_dual_fmac_f32 v13, v35, v1 :: v_dual_and_b32 v42, 0xffff0000, v42
	v_fmac_f32_e32 v11, v74, v1
	v_dual_fmac_f32 v12, v75, v1 :: v_dual_lshlrev_b32 v79, 16, v40
	v_and_b32_e32 v40, 0xffff0000, v40
	v_lshlrev_b32_e32 v1, 16, v48
	s_delay_alu instid0(VALU_DEP_4) | instskip(SKIP_3) | instid1(VALU_DEP_4)
	v_fmac_f32_e32 v11, v76, v5
	v_fmac_f32_e32 v13, v37, v5
	;; [unrolled: 1-line block ×3, first 2 shown]
	v_dual_fmac_f32 v10, v38, v5 :: v_dual_and_b32 v5, 0xffff0000, v48
	v_fmac_f32_e32 v11, v78, v1
	s_delay_alu instid0(VALU_DEP_4) | instskip(NEXT) | instid1(VALU_DEP_4)
	v_fmac_f32_e32 v13, v39, v1
	v_fmac_f32_e32 v12, v79, v1
	s_delay_alu instid0(VALU_DEP_4) | instskip(NEXT) | instid1(VALU_DEP_4)
	v_fmac_f32_e32 v10, v40, v1
	;; [unrolled: 3-line block ×3, first 2 shown]
	v_fmac_f32_e32 v12, v81, v5
	s_delay_alu instid0(VALU_DEP_4)
	v_fmac_f32_e32 v10, v42, v5
	s_and_not1_b32 exec_lo, exec_lo, s6
	s_cbranch_execnz .LBB109_33
; %bb.34:
	s_or_b32 exec_lo, exec_lo, s6
.LBB109_35:
	s_delay_alu instid0(SALU_CYCLE_1)
	s_or_b32 exec_lo, exec_lo, s2
.LBB109_36:
	s_delay_alu instid0(SALU_CYCLE_1)
	s_or_b32 exec_lo, exec_lo, s3
.LBB109_37:
	v_mbcnt_lo_u32_b32 v0, -1, 0
	s_mov_b32 s2, -1
	s_delay_alu instid0(VALU_DEP_1) | instskip(SKIP_1) | instid1(VALU_DEP_2)
	v_or_b32_e32 v1, 32, v0
	v_xor_b32_e32 v6, 16, v0
	v_cmp_gt_i32_e32 vcc_lo, 32, v1
	v_cndmask_b32_e32 v1, v0, v1, vcc_lo
	s_delay_alu instid0(VALU_DEP_3) | instskip(SKIP_1) | instid1(VALU_DEP_1)
	v_cmp_gt_i32_e32 vcc_lo, 32, v6
	v_cndmask_b32_e32 v6, v0, v6, vcc_lo
	v_lshlrev_b32_e32 v6, 2, v6
	s_delay_alu instid0(VALU_DEP_4)
	v_lshlrev_b32_e32 v1, 2, v1
	ds_bpermute_b32 v2, v1, v11
	s_waitcnt lgkmcnt(0)
	v_add_f32_e32 v2, v11, v2
	ds_bpermute_b32 v3, v1, v13
	ds_bpermute_b32 v5, v1, v12
	;; [unrolled: 1-line block ×3, first 2 shown]
	v_xor_b32_e32 v11, 8, v0
	ds_bpermute_b32 v7, v6, v2
	v_cmp_gt_i32_e32 vcc_lo, 32, v11
	s_waitcnt lgkmcnt(3)
	v_add_f32_e32 v3, v13, v3
	s_waitcnt lgkmcnt(2)
	v_add_f32_e32 v5, v12, v5
	;; [unrolled: 2-line block ×4, first 2 shown]
	ds_bpermute_b32 v8, v6, v3
	ds_bpermute_b32 v10, v6, v5
	;; [unrolled: 1-line block ×3, first 2 shown]
	v_cndmask_b32_e32 v11, v0, v11, vcc_lo
	s_delay_alu instid0(VALU_DEP_1)
	v_lshlrev_b32_e32 v11, 2, v11
	s_waitcnt lgkmcnt(1)
	v_add_f32_e32 v5, v5, v10
	s_waitcnt lgkmcnt(0)
	v_add_f32_e32 v1, v1, v6
	ds_bpermute_b32 v6, v11, v2
	ds_bpermute_b32 v10, v11, v1
	s_waitcnt lgkmcnt(1)
	v_add_f32_e32 v2, v2, v6
	s_waitcnt lgkmcnt(0)
	v_add_f32_e32 v1, v1, v10
	v_add_f32_e32 v3, v3, v8
	ds_bpermute_b32 v8, v11, v5
	ds_bpermute_b32 v7, v11, v3
	v_xor_b32_e32 v11, 4, v0
	s_delay_alu instid0(VALU_DEP_1) | instskip(SKIP_1) | instid1(VALU_DEP_1)
	v_cmp_gt_i32_e32 vcc_lo, 32, v11
	v_cndmask_b32_e32 v11, v0, v11, vcc_lo
	v_lshlrev_b32_e32 v11, 2, v11
	s_waitcnt lgkmcnt(1)
	v_add_f32_e32 v5, v5, v8
	ds_bpermute_b32 v6, v11, v2
	ds_bpermute_b32 v10, v11, v1
	;; [unrolled: 1-line block ×3, first 2 shown]
	s_waitcnt lgkmcnt(2)
	v_add_f32_e32 v2, v2, v6
	s_waitcnt lgkmcnt(1)
	v_dual_add_f32 v6, v1, v10 :: v_dual_add_f32 v3, v3, v7
	s_waitcnt lgkmcnt(0)
	v_add_f32_e32 v5, v5, v8
	ds_bpermute_b32 v7, v11, v3
	v_xor_b32_e32 v11, 2, v0
	s_delay_alu instid0(VALU_DEP_1) | instskip(SKIP_1) | instid1(VALU_DEP_1)
	v_cmp_gt_i32_e32 vcc_lo, 32, v11
	v_cndmask_b32_e32 v11, v0, v11, vcc_lo
	v_lshlrev_b32_e32 v11, 2, v11
	s_waitcnt lgkmcnt(0)
	v_add_f32_e32 v3, v3, v7
	ds_bpermute_b32 v1, v11, v2
	ds_bpermute_b32 v8, v11, v5
	;; [unrolled: 1-line block ×4, first 2 shown]
	v_xor_b32_e32 v11, 1, v0
	s_delay_alu instid0(VALU_DEP_1) | instskip(SKIP_3) | instid1(VALU_DEP_2)
	v_cmp_gt_i32_e32 vcc_lo, 32, v11
	v_cndmask_b32_e32 v0, v0, v11, vcc_lo
	v_cmp_eq_u32_e32 vcc_lo, 63, v9
	s_waitcnt lgkmcnt(3)
	v_dual_add_f32 v0, v2, v1 :: v_dual_lshlrev_b32 v11, 2, v0
	s_waitcnt lgkmcnt(0)
	v_dual_add_f32 v2, v5, v8 :: v_dual_add_f32 v1, v3, v7
	v_add_f32_e32 v3, v6, v10
	ds_bpermute_b32 v5, v11, v0
	ds_bpermute_b32 v7, v11, v2
	ds_bpermute_b32 v6, v11, v1
	ds_bpermute_b32 v8, v11, v3
	s_and_b32 exec_lo, exec_lo, vcc_lo
	s_cbranch_execz .LBB109_10
; %bb.38:
	s_load_b64 s[0:1], s[0:1], 0x50
	s_waitcnt lgkmcnt(0)
	v_dual_add_f32 v0, v0, v5 :: v_dual_add_f32 v1, v1, v6
	v_dual_add_f32 v2, v2, v7 :: v_dual_add_f32 v3, v3, v8
	v_cmp_eq_f32_e64 s3, s12, 0
	s_delay_alu instid0(VALU_DEP_3) | instskip(NEXT) | instid1(VALU_DEP_3)
	v_dual_mul_f32 v0, s16, v0 :: v_dual_mul_f32 v1, s16, v1
	v_dual_mul_f32 v2, s16, v2 :: v_dual_mul_f32 v3, s16, v3
	v_lshlrev_b32_e32 v4, 2, v4
	s_delay_alu instid0(VALU_DEP_4)
	s_and_b32 vcc_lo, exec_lo, s3
	s_cbranch_vccz .LBB109_40
; %bb.39:
	s_delay_alu instid0(VALU_DEP_1) | instskip(SKIP_1) | instid1(VALU_DEP_1)
	v_ashrrev_i32_e32 v5, 31, v4
	s_mov_b32 s2, 0
	v_lshlrev_b64 v[5:6], 2, v[4:5]
	s_delay_alu instid0(VALU_DEP_1) | instskip(NEXT) | instid1(VALU_DEP_2)
	v_add_co_u32 v5, vcc_lo, s0, v5
	v_add_co_ci_u32_e32 v6, vcc_lo, s1, v6, vcc_lo
	global_store_b128 v[5:6], v[0:3], off
.LBB109_40:
	s_and_not1_b32 vcc_lo, exec_lo, s2
	s_cbranch_vccnz .LBB109_10
; %bb.41:
	v_ashrrev_i32_e32 v5, 31, v4
	s_delay_alu instid0(VALU_DEP_1) | instskip(NEXT) | instid1(VALU_DEP_1)
	v_lshlrev_b64 v[4:5], 2, v[4:5]
	v_add_co_u32 v8, vcc_lo, s0, v4
	s_delay_alu instid0(VALU_DEP_2)
	v_add_co_ci_u32_e32 v9, vcc_lo, s1, v5, vcc_lo
	global_load_b128 v[4:7], v[8:9], off
	s_waitcnt vmcnt(0)
	v_dual_fmac_f32 v0, s12, v4 :: v_dual_fmac_f32 v1, s12, v5
	v_dual_fmac_f32 v2, s12, v6 :: v_dual_fmac_f32 v3, s12, v7
	global_store_b128 v[8:9], v[0:3], off
	s_nop 0
	s_sendmsg sendmsg(MSG_DEALLOC_VGPRS)
	s_endpgm
	.section	.rodata,"a",@progbits
	.p2align	6, 0x0
	.amdhsa_kernel _ZN9rocsparseL18bsrxmvn_4x4_kernelILj128ELj64Efii18rocsparse_bfloat16S1_fEEvT3_20rocsparse_direction_NS_24const_host_device_scalarIT1_EES2_PKS2_PKT2_SB_S8_PKT4_PKT5_S6_PT6_21rocsparse_index_base_b
		.amdhsa_group_segment_fixed_size 0
		.amdhsa_private_segment_fixed_size 0
		.amdhsa_kernarg_size 96
		.amdhsa_user_sgpr_count 15
		.amdhsa_user_sgpr_dispatch_ptr 0
		.amdhsa_user_sgpr_queue_ptr 0
		.amdhsa_user_sgpr_kernarg_segment_ptr 1
		.amdhsa_user_sgpr_dispatch_id 0
		.amdhsa_user_sgpr_private_segment_size 0
		.amdhsa_wavefront_size32 1
		.amdhsa_uses_dynamic_stack 0
		.amdhsa_enable_private_segment 0
		.amdhsa_system_sgpr_workgroup_id_x 1
		.amdhsa_system_sgpr_workgroup_id_y 0
		.amdhsa_system_sgpr_workgroup_id_z 0
		.amdhsa_system_sgpr_workgroup_info 0
		.amdhsa_system_vgpr_workitem_id 0
		.amdhsa_next_free_vgpr 87
		.amdhsa_next_free_sgpr 20
		.amdhsa_reserve_vcc 1
		.amdhsa_float_round_mode_32 0
		.amdhsa_float_round_mode_16_64 0
		.amdhsa_float_denorm_mode_32 3
		.amdhsa_float_denorm_mode_16_64 3
		.amdhsa_dx10_clamp 1
		.amdhsa_ieee_mode 1
		.amdhsa_fp16_overflow 0
		.amdhsa_workgroup_processor_mode 1
		.amdhsa_memory_ordered 1
		.amdhsa_forward_progress 0
		.amdhsa_shared_vgpr_count 0
		.amdhsa_exception_fp_ieee_invalid_op 0
		.amdhsa_exception_fp_denorm_src 0
		.amdhsa_exception_fp_ieee_div_zero 0
		.amdhsa_exception_fp_ieee_overflow 0
		.amdhsa_exception_fp_ieee_underflow 0
		.amdhsa_exception_fp_ieee_inexact 0
		.amdhsa_exception_int_div_zero 0
	.end_amdhsa_kernel
	.section	.text._ZN9rocsparseL18bsrxmvn_4x4_kernelILj128ELj64Efii18rocsparse_bfloat16S1_fEEvT3_20rocsparse_direction_NS_24const_host_device_scalarIT1_EES2_PKS2_PKT2_SB_S8_PKT4_PKT5_S6_PT6_21rocsparse_index_base_b,"axG",@progbits,_ZN9rocsparseL18bsrxmvn_4x4_kernelILj128ELj64Efii18rocsparse_bfloat16S1_fEEvT3_20rocsparse_direction_NS_24const_host_device_scalarIT1_EES2_PKS2_PKT2_SB_S8_PKT4_PKT5_S6_PT6_21rocsparse_index_base_b,comdat
.Lfunc_end109:
	.size	_ZN9rocsparseL18bsrxmvn_4x4_kernelILj128ELj64Efii18rocsparse_bfloat16S1_fEEvT3_20rocsparse_direction_NS_24const_host_device_scalarIT1_EES2_PKS2_PKT2_SB_S8_PKT4_PKT5_S6_PT6_21rocsparse_index_base_b, .Lfunc_end109-_ZN9rocsparseL18bsrxmvn_4x4_kernelILj128ELj64Efii18rocsparse_bfloat16S1_fEEvT3_20rocsparse_direction_NS_24const_host_device_scalarIT1_EES2_PKS2_PKT2_SB_S8_PKT4_PKT5_S6_PT6_21rocsparse_index_base_b
                                        ; -- End function
	.section	.AMDGPU.csdata,"",@progbits
; Kernel info:
; codeLenInByte = 4756
; NumSgprs: 22
; NumVgprs: 87
; ScratchSize: 0
; MemoryBound: 0
; FloatMode: 240
; IeeeMode: 1
; LDSByteSize: 0 bytes/workgroup (compile time only)
; SGPRBlocks: 2
; VGPRBlocks: 10
; NumSGPRsForWavesPerEU: 22
; NumVGPRsForWavesPerEU: 87
; Occupancy: 16
; WaveLimiterHint : 1
; COMPUTE_PGM_RSRC2:SCRATCH_EN: 0
; COMPUTE_PGM_RSRC2:USER_SGPR: 15
; COMPUTE_PGM_RSRC2:TRAP_HANDLER: 0
; COMPUTE_PGM_RSRC2:TGID_X_EN: 1
; COMPUTE_PGM_RSRC2:TGID_Y_EN: 0
; COMPUTE_PGM_RSRC2:TGID_Z_EN: 0
; COMPUTE_PGM_RSRC2:TIDIG_COMP_CNT: 0
	.section	.text._ZN9rocsparseL18bsrxmvn_4x4_kernelILj128ELj4Efli18rocsparse_bfloat16S1_fEEvT3_20rocsparse_direction_NS_24const_host_device_scalarIT1_EES2_PKS2_PKT2_SB_S8_PKT4_PKT5_S6_PT6_21rocsparse_index_base_b,"axG",@progbits,_ZN9rocsparseL18bsrxmvn_4x4_kernelILj128ELj4Efli18rocsparse_bfloat16S1_fEEvT3_20rocsparse_direction_NS_24const_host_device_scalarIT1_EES2_PKS2_PKT2_SB_S8_PKT4_PKT5_S6_PT6_21rocsparse_index_base_b,comdat
	.globl	_ZN9rocsparseL18bsrxmvn_4x4_kernelILj128ELj4Efli18rocsparse_bfloat16S1_fEEvT3_20rocsparse_direction_NS_24const_host_device_scalarIT1_EES2_PKS2_PKT2_SB_S8_PKT4_PKT5_S6_PT6_21rocsparse_index_base_b ; -- Begin function _ZN9rocsparseL18bsrxmvn_4x4_kernelILj128ELj4Efli18rocsparse_bfloat16S1_fEEvT3_20rocsparse_direction_NS_24const_host_device_scalarIT1_EES2_PKS2_PKT2_SB_S8_PKT4_PKT5_S6_PT6_21rocsparse_index_base_b
	.p2align	8
	.type	_ZN9rocsparseL18bsrxmvn_4x4_kernelILj128ELj4Efli18rocsparse_bfloat16S1_fEEvT3_20rocsparse_direction_NS_24const_host_device_scalarIT1_EES2_PKS2_PKT2_SB_S8_PKT4_PKT5_S6_PT6_21rocsparse_index_base_b,@function
_ZN9rocsparseL18bsrxmvn_4x4_kernelILj128ELj4Efli18rocsparse_bfloat16S1_fEEvT3_20rocsparse_direction_NS_24const_host_device_scalarIT1_EES2_PKS2_PKT2_SB_S8_PKT4_PKT5_S6_PT6_21rocsparse_index_base_b: ; @_ZN9rocsparseL18bsrxmvn_4x4_kernelILj128ELj4Efli18rocsparse_bfloat16S1_fEEvT3_20rocsparse_direction_NS_24const_host_device_scalarIT1_EES2_PKS2_PKT2_SB_S8_PKT4_PKT5_S6_PT6_21rocsparse_index_base_b
; %bb.0:
	s_clause 0x2
	s_load_b64 s[18:19], s[0:1], 0x58
	s_load_b64 s[16:17], s[0:1], 0x8
	;; [unrolled: 1-line block ×3, first 2 shown]
	s_waitcnt lgkmcnt(0)
	s_bitcmp1_b32 s19, 0
	s_cselect_b32 s2, -1, 0
	s_delay_alu instid0(SALU_CYCLE_1)
	s_and_b32 vcc_lo, exec_lo, s2
	s_xor_b32 s2, s2, -1
	s_cbranch_vccnz .LBB110_2
; %bb.1:
	s_load_b32 s16, s[16:17], 0x0
.LBB110_2:
	s_and_not1_b32 vcc_lo, exec_lo, s2
	s_cbranch_vccnz .LBB110_4
; %bb.3:
	s_load_b32 s12, s[12:13], 0x0
.LBB110_4:
	s_waitcnt lgkmcnt(0)
	v_cmp_neq_f32_e64 s2, s16, 0
	v_cmp_neq_f32_e64 s3, s12, 1.0
	s_mov_b32 s6, 0
	s_delay_alu instid0(VALU_DEP_1) | instskip(NEXT) | instid1(SALU_CYCLE_1)
	s_or_b32 s2, s2, s3
	s_and_not1_b32 vcc_lo, exec_lo, s2
	s_cbranch_vccnz .LBB110_10
; %bb.5:
	s_clause 0x1
	s_load_b64 s[4:5], s[0:1], 0x18
	s_load_b64 s[2:3], s[0:1], 0x0
	v_lshrrev_b32_e32 v1, 2, v0
	s_delay_alu instid0(VALU_DEP_1)
	v_lshl_or_b32 v4, s15, 5, v1
	s_waitcnt lgkmcnt(0)
	s_cmp_lg_u64 s[4:5], 0
	s_cbranch_scc0 .LBB110_11
; %bb.6:
	s_load_b32 s6, s[0:1], 0x10
	s_mov_b32 s7, 0
                                        ; implicit-def: $vgpr1
	s_waitcnt lgkmcnt(0)
	v_cmp_gt_i32_e32 vcc_lo, s6, v4
	s_mov_b32 s6, 0
	s_and_saveexec_b32 s8, vcc_lo
	s_delay_alu instid0(SALU_CYCLE_1)
	s_xor_b32 s8, exec_lo, s8
	s_cbranch_execz .LBB110_8
; %bb.7:
	v_ashrrev_i32_e32 v5, 31, v4
	s_mov_b32 s6, exec_lo
	s_delay_alu instid0(VALU_DEP_1) | instskip(NEXT) | instid1(VALU_DEP_1)
	v_lshlrev_b64 v[1:2], 2, v[4:5]
	v_add_co_u32 v1, vcc_lo, s4, v1
	s_delay_alu instid0(VALU_DEP_2)
	v_add_co_ci_u32_e32 v2, vcc_lo, s5, v2, vcc_lo
	global_load_b32 v1, v[1:2], off
	s_waitcnt vmcnt(0)
	v_subrev_nc_u32_e32 v1, s18, v1
.LBB110_8:
	s_or_b32 exec_lo, exec_lo, s8
	s_delay_alu instid0(SALU_CYCLE_1)
	s_and_b32 vcc_lo, exec_lo, s7
	s_cbranch_vccz .LBB110_12
.LBB110_9:
	v_cmp_gt_i32_e32 vcc_lo, s2, v4
	s_and_not1_b32 s2, s6, exec_lo
	s_and_b32 s4, vcc_lo, exec_lo
	s_delay_alu instid0(SALU_CYCLE_1) | instskip(NEXT) | instid1(SALU_CYCLE_1)
	s_or_b32 s6, s2, s4
	s_and_saveexec_b32 s2, s6
	s_cbranch_execnz .LBB110_13
.LBB110_10:
	s_nop 0
	s_sendmsg sendmsg(MSG_DEALLOC_VGPRS)
	s_endpgm
.LBB110_11:
                                        ; implicit-def: $vgpr1
	s_cbranch_execnz .LBB110_9
.LBB110_12:
	s_delay_alu instid0(VALU_DEP_1)
	v_mov_b32_e32 v4, v1
	s_and_saveexec_b32 s2, s6
	s_cbranch_execz .LBB110_10
.LBB110_13:
	s_load_b256 s[4:11], s[0:1], 0x20
	s_delay_alu instid0(VALU_DEP_1) | instskip(SKIP_1) | instid1(VALU_DEP_2)
	v_ashrrev_i32_e32 v5, 31, v4
	v_dual_mov_b32 v20, 0 :: v_dual_and_b32 v19, 3, v0
	v_lshlrev_b64 v[1:2], 3, v[4:5]
	s_waitcnt lgkmcnt(0)
	s_delay_alu instid0(VALU_DEP_1) | instskip(NEXT) | instid1(VALU_DEP_2)
	v_add_co_u32 v5, vcc_lo, s4, v1
	v_add_co_ci_u32_e32 v6, vcc_lo, s5, v2, vcc_lo
	v_add_co_u32 v1, vcc_lo, s6, v1
	v_add_co_ci_u32_e32 v2, vcc_lo, s7, v2, vcc_lo
	s_delay_alu instid0(VALU_DEP_4)
	v_add_co_u32 v3, vcc_lo, v5, 8
	global_load_b64 v[7:8], v[5:6], off
	v_add_co_ci_u32_e32 v9, vcc_lo, 0, v6, vcc_lo
	s_cmp_eq_u64 s[6:7], 0
	s_load_b64 s[4:5], s[0:1], 0x40
	s_cselect_b32 vcc_lo, -1, 0
	s_cmp_eq_u32 s3, 1
	v_dual_cndmask_b32 v2, v2, v9 :: v_dual_cndmask_b32 v1, v1, v3
	s_mov_b32 s3, 0
	global_load_b64 v[2:3], v[1:2], off
	s_waitcnt vmcnt(1)
	v_sub_co_u32 v0, vcc_lo, v7, s18
	v_subrev_co_ci_u32_e32 v1, vcc_lo, 0, v8, vcc_lo
	s_delay_alu instid0(VALU_DEP_2) | instskip(NEXT) | instid1(VALU_DEP_2)
	v_add_co_u32 v0, vcc_lo, v0, v19
	v_add_co_ci_u32_e32 v1, vcc_lo, 0, v1, vcc_lo
	s_delay_alu instid0(VALU_DEP_1) | instskip(SKIP_3) | instid1(VALU_DEP_3)
	v_lshlrev_b64 v[5:6], 5, v[0:1]
	s_waitcnt vmcnt(0)
	v_sub_co_u32 v2, vcc_lo, v2, s18
	v_subrev_co_ci_u32_e32 v3, vcc_lo, 0, v3, vcc_lo
	v_add_co_u32 v5, vcc_lo, s10, v5
	s_delay_alu instid0(VALU_DEP_2)
	v_cmp_lt_i64_e64 s2, v[0:1], v[2:3]
	v_add_co_ci_u32_e32 v6, vcc_lo, s11, v6, vcc_lo
	s_cbranch_scc1 .LBB110_25
; %bb.14:
	v_dual_mov_b32 v22, 0 :: v_dual_mov_b32 v23, 0
	v_mov_b32_e32 v21, 0
	s_delay_alu instid0(VALU_DEP_4)
	s_and_saveexec_b32 s6, s2
	s_cbranch_execz .LBB110_24
; %bb.15:
	v_or_b32_e32 v9, 4, v19
	v_not_b32_e32 v12, v7
	v_not_b32_e32 v11, v8
	v_mov_b32_e32 v23, 0
	v_dual_mov_b32 v21, 0 :: v_dual_mov_b32 v20, 0
	v_sub_co_u32 v9, s7, v9, s18
	s_delay_alu instid0(VALU_DEP_1) | instskip(SKIP_1) | instid1(VALU_DEP_3)
	v_sub_co_ci_u32_e64 v10, null, 0, 0, s7
	v_sub_co_u32 v13, s7, s18, v19
	v_add_co_u32 v9, vcc_lo, v9, v7
	s_delay_alu instid0(VALU_DEP_3) | instskip(SKIP_2) | instid1(VALU_DEP_2)
	v_add_co_ci_u32_e32 v10, vcc_lo, v10, v8, vcc_lo
	v_sub_co_ci_u32_e64 v14, null, 0, 0, s7
	s_mov_b32 s7, exec_lo
	v_cmp_gt_i64_e32 vcc_lo, v[9:10], v[2:3]
	v_mov_b32_e32 v22, 0
	v_dual_cndmask_b32 v10, v3, v10 :: v_dual_cndmask_b32 v9, v2, v9
	v_add_co_u32 v12, vcc_lo, v13, v12
	v_add_co_ci_u32_e32 v11, vcc_lo, v14, v11, vcc_lo
	s_delay_alu instid0(VALU_DEP_2) | instskip(NEXT) | instid1(VALU_DEP_2)
	v_add_co_u32 v13, vcc_lo, v12, v9
	v_add_co_ci_u32_e32 v14, vcc_lo, v11, v10, vcc_lo
	v_mov_b32_e32 v12, v6
	s_delay_alu instid0(VALU_DEP_3) | instskip(SKIP_1) | instid1(VALU_DEP_2)
	v_lshrrev_b32_e32 v9, 2, v13
	v_mov_b32_e32 v11, v5
	v_add_nc_u32_e32 v9, 1, v9
	s_delay_alu instid0(VALU_DEP_1) | instskip(SKIP_1) | instid1(VALU_DEP_2)
	v_dual_mov_b32 v10, v1 :: v_dual_and_b32 v15, 3, v9
	v_mov_b32_e32 v9, v0
	v_cmpx_ne_u32_e32 0, v15
	s_cbranch_execz .LBB110_19
; %bb.16:
	v_lshlrev_b64 v[9:10], 2, v[0:1]
	v_dual_mov_b32 v16, 0 :: v_dual_lshlrev_b32 v15, 3, v15
	v_dual_mov_b32 v12, v6 :: v_dual_mov_b32 v11, v5
	s_mov_b32 s10, 0
	s_delay_alu instid0(VALU_DEP_3) | instskip(NEXT) | instid1(VALU_DEP_4)
	v_add_co_u32 v17, vcc_lo, s8, v9
	v_add_co_ci_u32_e32 v18, vcc_lo, s9, v10, vcc_lo
	v_dual_mov_b32 v10, v1 :: v_dual_mov_b32 v9, v0
	v_mov_b32_e32 v20, v16
	v_mov_b32_e32 v22, v16
	;; [unrolled: 1-line block ×4, first 2 shown]
.LBB110_17:                             ; =>This Inner Loop Header: Depth=1
	global_load_b32 v28, v[17:18], off
	global_load_b128 v[24:27], v[11:12], off
	s_waitcnt vmcnt(1)
	v_subrev_nc_u32_e32 v28, s18, v28
	s_waitcnt vmcnt(0)
	v_lshlrev_b32_e32 v36, 16, v26
	v_lshlrev_b32_e32 v34, 16, v24
	s_delay_alu instid0(VALU_DEP_3) | instskip(NEXT) | instid1(VALU_DEP_1)
	v_lshlrev_b32_e32 v28, 2, v28
	v_ashrrev_i32_e32 v29, 31, v28
	s_delay_alu instid0(VALU_DEP_1) | instskip(SKIP_1) | instid1(VALU_DEP_1)
	v_lshlrev_b64 v[28:29], 1, v[28:29]
	s_waitcnt lgkmcnt(0)
	v_add_co_u32 v32, vcc_lo, s4, v28
	s_delay_alu instid0(VALU_DEP_2)
	v_add_co_ci_u32_e32 v33, vcc_lo, s5, v29, vcc_lo
	global_load_b128 v[28:31], v[11:12], off offset:16
	global_load_b64 v[32:33], v[32:33], off
	v_add_co_u32 v11, vcc_lo, 0x80, v11
	v_add_co_ci_u32_e32 v12, vcc_lo, 0, v12, vcc_lo
	v_add_co_u32 v9, vcc_lo, v9, 4
	v_add_co_ci_u32_e32 v10, vcc_lo, 0, v10, vcc_lo
	;; [unrolled: 2-line block ×3, first 2 shown]
	v_add_co_u32 v15, vcc_lo, v15, -8
	v_add_co_ci_u32_e32 v16, vcc_lo, -1, v16, vcc_lo
	s_delay_alu instid0(VALU_DEP_1) | instskip(SKIP_3) | instid1(VALU_DEP_1)
	v_cmp_eq_u64_e32 vcc_lo, 0, v[15:16]
	s_or_b32 s10, vcc_lo, s10
	s_waitcnt vmcnt(0)
	v_lshlrev_b32_e32 v42, 16, v32
	v_dual_fmac_f32 v23, v36, v42 :: v_dual_and_b32 v32, 0xffff0000, v32
	v_dual_fmac_f32 v21, v34, v42 :: v_dual_lshlrev_b32 v34, 16, v33
	v_lshlrev_b32_e32 v38, 16, v28
	v_lshlrev_b32_e32 v35, 16, v25
	;; [unrolled: 1-line block ×3, first 2 shown]
	v_and_b32_e32 v25, 0xffff0000, v25
	v_and_b32_e32 v28, 0xffff0000, v28
	v_fmac_f32_e32 v22, v38, v42
	v_and_b32_e32 v24, 0xffff0000, v24
	v_dual_fmac_f32 v20, v40, v42 :: v_dual_lshlrev_b32 v37, 16, v27
	s_delay_alu instid0(VALU_DEP_3) | instskip(NEXT) | instid1(VALU_DEP_3)
	v_fmac_f32_e32 v22, v28, v32
	v_dual_fmac_f32 v21, v24, v32 :: v_dual_and_b32 v24, 0xffff0000, v33
	v_lshlrev_b32_e32 v41, 16, v31
	v_and_b32_e32 v31, 0xffff0000, v31
	s_delay_alu instid0(VALU_DEP_3) | instskip(NEXT) | instid1(VALU_DEP_1)
	v_fmac_f32_e32 v21, v35, v34
	v_dual_fmac_f32 v21, v25, v24 :: v_dual_and_b32 v26, 0xffff0000, v26
	s_delay_alu instid0(VALU_DEP_1) | instskip(NEXT) | instid1(VALU_DEP_1)
	v_fmac_f32_e32 v23, v26, v32
	v_fmac_f32_e32 v23, v37, v34
	v_and_b32_e32 v30, 0xffff0000, v30
	s_delay_alu instid0(VALU_DEP_1) | instskip(SKIP_1) | instid1(VALU_DEP_2)
	v_dual_fmac_f32 v20, v30, v32 :: v_dual_and_b32 v27, 0xffff0000, v27
	v_lshlrev_b32_e32 v39, 16, v29
	v_dual_fmac_f32 v23, v27, v24 :: v_dual_fmac_f32 v20, v41, v34
	s_delay_alu instid0(VALU_DEP_2) | instskip(NEXT) | instid1(VALU_DEP_2)
	v_dual_fmac_f32 v22, v39, v34 :: v_dual_and_b32 v29, 0xffff0000, v29
	v_fmac_f32_e32 v20, v31, v24
	s_delay_alu instid0(VALU_DEP_2)
	v_fmac_f32_e32 v22, v29, v24
	s_and_not1_b32 exec_lo, exec_lo, s10
	s_cbranch_execnz .LBB110_17
; %bb.18:
	s_or_b32 exec_lo, exec_lo, s10
.LBB110_19:
	s_delay_alu instid0(SALU_CYCLE_1) | instskip(NEXT) | instid1(SALU_CYCLE_1)
	s_or_b32 exec_lo, exec_lo, s7
	s_mov_b32 s7, exec_lo
	v_cmpx_lt_u64_e32 11, v[13:14]
	s_cbranch_execz .LBB110_23
; %bb.20:
	v_lshlrev_b64 v[13:14], 2, v[9:10]
	s_mov_b32 s10, 0
	s_delay_alu instid0(VALU_DEP_1) | instskip(NEXT) | instid1(VALU_DEP_2)
	v_add_co_u32 v13, vcc_lo, v13, s8
	v_add_co_ci_u32_e32 v14, vcc_lo, s9, v14, vcc_lo
	s_delay_alu instid0(VALU_DEP_2) | instskip(NEXT) | instid1(VALU_DEP_2)
	v_add_co_u32 v13, vcc_lo, v13, 32
	v_add_co_ci_u32_e32 v14, vcc_lo, 0, v14, vcc_lo
.LBB110_21:                             ; =>This Inner Loop Header: Depth=1
	s_clause 0x3
	global_load_b32 v52, v[13:14], off offset:-32
	global_load_b32 v53, v[13:14], off offset:-16
	global_load_b32 v54, v[13:14], off
	global_load_b32 v55, v[13:14], off offset:16
	s_clause 0x7
	global_load_b128 v[15:18], v[11:12], off
	global_load_b128 v[24:27], v[11:12], off offset:16
	global_load_b128 v[28:31], v[11:12], off offset:128
	global_load_b128 v[32:35], v[11:12], off offset:144
	global_load_b128 v[36:39], v[11:12], off offset:256
	global_load_b128 v[40:43], v[11:12], off offset:272
	global_load_b128 v[44:47], v[11:12], off offset:384
	global_load_b128 v[48:51], v[11:12], off offset:400
	s_waitcnt vmcnt(11)
	v_subrev_nc_u32_e32 v52, s18, v52
	s_waitcnt vmcnt(10)
	v_subrev_nc_u32_e32 v53, s18, v53
	;; [unrolled: 2-line block ×4, first 2 shown]
	s_waitcnt vmcnt(7)
	v_lshlrev_b32_e32 v60, 16, v15
	v_lshlrev_b32_e32 v62, 16, v17
	s_waitcnt vmcnt(5)
	v_lshlrev_b32_e32 v69, 16, v29
	v_lshlrev_b32_e32 v70, 16, v30
	;; [unrolled: 1-line block ×3, first 2 shown]
	s_waitcnt vmcnt(3)
	v_lshlrev_b32_e32 v77, 16, v37
	v_and_b32_e32 v37, 0xffff0000, v37
	v_lshlrev_b32_e32 v76, 16, v36
	v_lshlrev_b32_e32 v74, 16, v34
	;; [unrolled: 1-line block ×3, first 2 shown]
	v_and_b32_e32 v30, 0xffff0000, v30
	v_lshlrev_b32_e32 v78, 16, v38
	v_and_b32_e32 v34, 0xffff0000, v34
	v_lshlrev_b32_e32 v73, 16, v33
	v_and_b32_e32 v31, 0xffff0000, v31
	s_waitcnt vmcnt(1)
	v_lshlrev_b32_e32 v85, 16, v45
	v_and_b32_e32 v45, 0xffff0000, v45
	v_lshlrev_b32_e32 v84, 16, v44
	v_lshlrev_b32_e32 v86, 16, v46
	s_waitcnt vmcnt(0)
	v_lshlrev_b32_e32 v88, 16, v48
	v_lshlrev_b32_e32 v83, 16, v43
	v_and_b32_e32 v48, 0xffff0000, v48
	v_lshlrev_b32_e32 v89, 16, v49
	v_lshlrev_b32_e32 v87, 16, v47
	v_and_b32_e32 v46, 0xffff0000, v46
	v_lshlrev_b32_e32 v91, 16, v51
	v_and_b32_e32 v47, 0xffff0000, v47
	v_and_b32_e32 v44, 0xffff0000, v44
	v_lshlrev_b32_e32 v80, 16, v40
	v_and_b32_e32 v40, 0xffff0000, v40
	v_lshlrev_b32_e32 v81, 16, v41
	v_lshlrev_b32_e32 v79, 16, v39
	v_and_b32_e32 v38, 0xffff0000, v38
	v_and_b32_e32 v39, 0xffff0000, v39
	;; [unrolled: 1-line block ×3, first 2 shown]
	v_lshlrev_b32_e32 v72, 16, v32
	v_and_b32_e32 v32, 0xffff0000, v32
	v_and_b32_e32 v29, 0xffff0000, v29
	v_lshlrev_b32_e32 v68, 16, v28
	v_and_b32_e32 v28, 0xffff0000, v28
	v_and_b32_e32 v24, 0xffff0000, v24
	v_lshlrev_b32_e32 v63, 16, v18
	v_lshlrev_b32_e32 v66, 16, v26
	v_and_b32_e32 v26, 0xffff0000, v26
	v_lshlrev_b32_e32 v65, 16, v25
	v_and_b32_e32 v25, 0xffff0000, v25
	;; [unrolled: 2-line block ×3, first 2 shown]
	v_lshlrev_b32_e32 v52, 2, v52
	v_lshlrev_b32_e32 v54, 2, v53
	;; [unrolled: 1-line block ×3, first 2 shown]
	v_and_b32_e32 v18, 0xffff0000, v18
	v_lshlrev_b32_e32 v56, 2, v56
	v_ashrrev_i32_e32 v53, 31, v52
	v_ashrrev_i32_e32 v55, 31, v54
	;; [unrolled: 1-line block ×3, first 2 shown]
	v_lshlrev_b32_e32 v75, 16, v35
	v_ashrrev_i32_e32 v57, 31, v56
	v_lshlrev_b64 v[52:53], 1, v[52:53]
	v_lshlrev_b64 v[54:55], 1, v[54:55]
	v_lshlrev_b64 v[58:59], 1, v[58:59]
	v_lshlrev_b32_e32 v82, 16, v42
	v_lshlrev_b64 v[56:57], 1, v[56:57]
	v_and_b32_e32 v42, 0xffff0000, v42
	s_waitcnt lgkmcnt(0)
	v_add_co_u32 v52, vcc_lo, s4, v52
	v_add_co_ci_u32_e32 v53, vcc_lo, s5, v53, vcc_lo
	v_add_co_u32 v54, vcc_lo, s4, v54
	v_add_co_ci_u32_e32 v55, vcc_lo, s5, v55, vcc_lo
	global_load_b64 v[52:53], v[52:53], off
	v_add_co_u32 v56, vcc_lo, s4, v56
	global_load_b64 v[54:55], v[54:55], off
	v_add_co_ci_u32_e32 v57, vcc_lo, s5, v57, vcc_lo
	v_add_co_u32 v58, vcc_lo, s4, v58
	v_add_co_ci_u32_e32 v59, vcc_lo, s5, v59, vcc_lo
	global_load_b64 v[56:57], v[56:57], off
	v_lshlrev_b32_e32 v90, 16, v50
	v_and_b32_e32 v50, 0xffff0000, v50
	global_load_b64 v[58:59], v[58:59], off
	v_add_co_u32 v11, vcc_lo, 0x200, v11
	v_add_co_ci_u32_e32 v12, vcc_lo, 0, v12, vcc_lo
	v_add_co_u32 v9, vcc_lo, v9, 16
	v_add_co_ci_u32_e32 v10, vcc_lo, 0, v10, vcc_lo
	v_add_co_u32 v13, vcc_lo, v13, 64
	v_and_b32_e32 v51, 0xffff0000, v51
	v_add_co_ci_u32_e32 v14, vcc_lo, 0, v14, vcc_lo
	s_delay_alu instid0(VALU_DEP_4)
	v_cmp_ge_i64_e32 vcc_lo, v[9:10], v[2:3]
	s_or_b32 s10, vcc_lo, s10
	s_waitcnt vmcnt(3)
	v_lshlrev_b32_e32 v92, 16, v52
	v_and_b32_e32 v15, 0xffff0000, v15
	v_and_b32_e32 v52, 0xffff0000, v52
	s_delay_alu instid0(VALU_DEP_3) | instskip(SKIP_3) | instid1(VALU_DEP_4)
	v_dual_fmac_f32 v20, v66, v92 :: v_dual_and_b32 v17, 0xffff0000, v17
	v_fmac_f32_e32 v22, v64, v92
	v_dual_fmac_f32 v21, v60, v92 :: v_dual_lshlrev_b32 v60, 16, v53
	v_fmac_f32_e32 v23, v62, v92
	v_fmac_f32_e32 v20, v26, v52
	s_delay_alu instid0(VALU_DEP_4) | instskip(NEXT) | instid1(VALU_DEP_4)
	v_fmac_f32_e32 v22, v24, v52
	v_fmac_f32_e32 v21, v15, v52
	v_and_b32_e32 v15, 0xffff0000, v53
	v_fmac_f32_e32 v23, v17, v52
	s_waitcnt vmcnt(2)
	v_dual_fmac_f32 v22, v65, v60 :: v_dual_lshlrev_b32 v17, 16, v54
	s_delay_alu instid0(VALU_DEP_1) | instskip(SKIP_2) | instid1(VALU_DEP_3)
	v_dual_fmac_f32 v23, v63, v60 :: v_dual_fmac_f32 v22, v25, v15
	v_lshlrev_b32_e32 v67, 16, v27
	v_fmac_f32_e32 v21, v61, v60
	v_dual_fmac_f32 v23, v18, v15 :: v_dual_fmac_f32 v22, v72, v17
	s_delay_alu instid0(VALU_DEP_3) | instskip(NEXT) | instid1(VALU_DEP_3)
	v_dual_fmac_f32 v20, v67, v60 :: v_dual_and_b32 v27, 0xffff0000, v27
	v_fmac_f32_e32 v21, v16, v15
	v_lshlrev_b32_e32 v16, 16, v55
	s_delay_alu instid0(VALU_DEP_3) | instskip(NEXT) | instid1(VALU_DEP_3)
	v_dual_fmac_f32 v20, v27, v15 :: v_dual_and_b32 v15, 0xffff0000, v54
	v_fmac_f32_e32 v21, v68, v17
	s_delay_alu instid0(VALU_DEP_2) | instskip(NEXT) | instid1(VALU_DEP_3)
	v_fmac_f32_e32 v20, v74, v17
	v_fmac_f32_e32 v22, v32, v15
	s_delay_alu instid0(VALU_DEP_3) | instskip(NEXT) | instid1(VALU_DEP_3)
	v_fmac_f32_e32 v21, v28, v15
	v_dual_fmac_f32 v20, v34, v15 :: v_dual_and_b32 v33, 0xffff0000, v33
	s_delay_alu instid0(VALU_DEP_2) | instskip(NEXT) | instid1(VALU_DEP_4)
	v_fmac_f32_e32 v21, v69, v16
	v_dual_fmac_f32 v23, v70, v17 :: v_dual_fmac_f32 v22, v73, v16
	s_delay_alu instid0(VALU_DEP_1) | instskip(SKIP_1) | instid1(VALU_DEP_2)
	v_dual_fmac_f32 v20, v75, v16 :: v_dual_fmac_f32 v23, v30, v15
	v_and_b32_e32 v15, 0xffff0000, v55
	v_fmac_f32_e32 v23, v71, v16
	s_waitcnt vmcnt(1)
	v_lshlrev_b32_e32 v16, 16, v56
	v_and_b32_e32 v35, 0xffff0000, v35
	v_fmac_f32_e32 v21, v29, v15
	v_fmac_f32_e32 v22, v33, v15
	;; [unrolled: 1-line block ×3, first 2 shown]
	s_delay_alu instid0(VALU_DEP_4) | instskip(NEXT) | instid1(VALU_DEP_4)
	v_dual_fmac_f32 v20, v35, v15 :: v_dual_and_b32 v15, 0xffff0000, v56
	v_fmac_f32_e32 v21, v76, v16
	s_delay_alu instid0(VALU_DEP_3) | instskip(SKIP_1) | instid1(VALU_DEP_4)
	v_fmac_f32_e32 v23, v78, v16
	v_fmac_f32_e32 v22, v80, v16
	v_dual_fmac_f32 v20, v82, v16 :: v_dual_and_b32 v41, 0xffff0000, v41
	s_delay_alu instid0(VALU_DEP_4) | instskip(NEXT) | instid1(VALU_DEP_4)
	v_dual_fmac_f32 v21, v36, v15 :: v_dual_lshlrev_b32 v16, 16, v57
	v_fmac_f32_e32 v23, v38, v15
	s_delay_alu instid0(VALU_DEP_3) | instskip(SKIP_1) | instid1(VALU_DEP_4)
	v_fmac_f32_e32 v20, v42, v15
	v_dual_fmac_f32 v22, v40, v15 :: v_dual_and_b32 v15, 0xffff0000, v57
	v_fmac_f32_e32 v21, v77, v16
	s_delay_alu instid0(VALU_DEP_3) | instskip(NEXT) | instid1(VALU_DEP_3)
	v_fmac_f32_e32 v20, v83, v16
	v_fmac_f32_e32 v22, v81, v16
	s_waitcnt vmcnt(0)
	v_dual_fmac_f32 v23, v79, v16 :: v_dual_lshlrev_b32 v16, 16, v58
	v_and_b32_e32 v43, 0xffff0000, v43
	v_fmac_f32_e32 v21, v37, v15
	v_fmac_f32_e32 v22, v41, v15
	s_delay_alu instid0(VALU_DEP_4) | instskip(NEXT) | instid1(VALU_DEP_4)
	v_fmac_f32_e32 v23, v39, v15
	v_dual_fmac_f32 v20, v43, v15 :: v_dual_and_b32 v15, 0xffff0000, v58
	s_delay_alu instid0(VALU_DEP_4) | instskip(NEXT) | instid1(VALU_DEP_3)
	v_fmac_f32_e32 v21, v84, v16
	v_fmac_f32_e32 v23, v86, v16
	;; [unrolled: 1-line block ×3, first 2 shown]
	s_delay_alu instid0(VALU_DEP_4) | instskip(SKIP_3) | instid1(VALU_DEP_4)
	v_dual_fmac_f32 v20, v90, v16 :: v_dual_and_b32 v49, 0xffff0000, v49
	v_lshlrev_b32_e32 v16, 16, v59
	v_fmac_f32_e32 v21, v44, v15
	v_fmac_f32_e32 v23, v46, v15
	;; [unrolled: 1-line block ×4, first 2 shown]
	v_and_b32_e32 v15, 0xffff0000, v59
	v_fmac_f32_e32 v21, v85, v16
	s_delay_alu instid0(VALU_DEP_4) | instskip(NEXT) | instid1(VALU_DEP_4)
	v_fmac_f32_e32 v20, v91, v16
	v_fmac_f32_e32 v22, v89, v16
	;; [unrolled: 1-line block ×3, first 2 shown]
	s_delay_alu instid0(VALU_DEP_4) | instskip(NEXT) | instid1(VALU_DEP_4)
	v_fmac_f32_e32 v21, v45, v15
	v_fmac_f32_e32 v20, v51, v15
	s_delay_alu instid0(VALU_DEP_4) | instskip(NEXT) | instid1(VALU_DEP_4)
	v_fmac_f32_e32 v22, v49, v15
	v_fmac_f32_e32 v23, v47, v15
	s_and_not1_b32 exec_lo, exec_lo, s10
	s_cbranch_execnz .LBB110_21
; %bb.22:
	s_or_b32 exec_lo, exec_lo, s10
.LBB110_23:
	s_delay_alu instid0(SALU_CYCLE_1)
	s_or_b32 exec_lo, exec_lo, s7
.LBB110_24:
	s_delay_alu instid0(SALU_CYCLE_1) | instskip(NEXT) | instid1(SALU_CYCLE_1)
	s_or_b32 exec_lo, exec_lo, s6
	s_and_not1_b32 vcc_lo, exec_lo, s3
	s_cbranch_vccz .LBB110_26
	s_branch .LBB110_37
.LBB110_25:
                                        ; implicit-def: $vgpr20
                                        ; implicit-def: $vgpr22
                                        ; implicit-def: $vgpr23
                                        ; implicit-def: $vgpr21
.LBB110_26:
	v_dual_mov_b32 v20, 0 :: v_dual_mov_b32 v23, 0
	v_dual_mov_b32 v22, 0 :: v_dual_mov_b32 v21, 0
	s_delay_alu instid0(VALU_DEP_4)
	s_and_saveexec_b32 s3, s2
	s_cbranch_execz .LBB110_36
; %bb.27:
	v_or_b32_e32 v9, 4, v19
	v_mov_b32_e32 v21, 0
	v_dual_mov_b32 v23, 0 :: v_dual_mov_b32 v22, 0
	v_mov_b32_e32 v20, 0
	s_delay_alu instid0(VALU_DEP_4) | instskip(NEXT) | instid1(VALU_DEP_1)
	v_sub_co_u32 v9, s2, v9, s18
	v_sub_co_ci_u32_e64 v10, null, 0, 0, s2
	v_sub_co_u32 v11, s2, s18, v19
	s_delay_alu instid0(VALU_DEP_3) | instskip(NEXT) | instid1(VALU_DEP_3)
	v_add_co_u32 v9, vcc_lo, v9, v7
	v_add_co_ci_u32_e32 v10, vcc_lo, v10, v8, vcc_lo
	v_not_b32_e32 v7, v7
	v_not_b32_e32 v8, v8
	v_sub_co_ci_u32_e64 v12, null, 0, 0, s2
	s_delay_alu instid0(VALU_DEP_4) | instskip(SKIP_4) | instid1(VALU_DEP_2)
	v_cmp_gt_i64_e32 vcc_lo, v[9:10], v[2:3]
	s_mov_b32 s2, exec_lo
	v_dual_cndmask_b32 v10, v3, v10 :: v_dual_cndmask_b32 v9, v2, v9
	v_add_co_u32 v7, vcc_lo, v11, v7
	v_add_co_ci_u32_e32 v8, vcc_lo, v12, v8, vcc_lo
	v_add_co_u32 v7, vcc_lo, v7, v9
	s_delay_alu instid0(VALU_DEP_2) | instskip(NEXT) | instid1(VALU_DEP_2)
	v_add_co_ci_u32_e32 v8, vcc_lo, v8, v10, vcc_lo
	v_lshrrev_b32_e32 v9, 2, v7
	s_delay_alu instid0(VALU_DEP_1) | instskip(NEXT) | instid1(VALU_DEP_1)
	v_add_nc_u32_e32 v9, 1, v9
	v_and_b32_e32 v9, 3, v9
	s_delay_alu instid0(VALU_DEP_1)
	v_cmpx_ne_u32_e32 0, v9
	s_cbranch_execz .LBB110_31
; %bb.28:
	v_lshlrev_b64 v[11:12], 2, v[0:1]
	v_dual_mov_b32 v10, 0 :: v_dual_lshlrev_b32 v9, 3, v9
	s_mov_b32 s6, 0
	s_delay_alu instid0(VALU_DEP_1) | instskip(NEXT) | instid1(VALU_DEP_3)
	v_mov_b32_e32 v20, v10
	v_add_co_u32 v11, vcc_lo, s8, v11
	s_delay_alu instid0(VALU_DEP_4)
	v_add_co_ci_u32_e32 v12, vcc_lo, s9, v12, vcc_lo
	v_mov_b32_e32 v22, v10
	v_mov_b32_e32 v23, v10
	;; [unrolled: 1-line block ×3, first 2 shown]
.LBB110_29:                             ; =>This Inner Loop Header: Depth=1
	global_load_b32 v17, v[11:12], off
	global_load_b128 v[13:16], v[5:6], off
	s_waitcnt vmcnt(1)
	v_subrev_nc_u32_e32 v17, s18, v17
	s_waitcnt vmcnt(0)
	v_lshlrev_b32_e32 v31, 16, v16
	v_lshlrev_b32_e32 v29, 16, v14
	s_delay_alu instid0(VALU_DEP_3) | instskip(NEXT) | instid1(VALU_DEP_1)
	v_lshlrev_b32_e32 v17, 2, v17
	v_ashrrev_i32_e32 v18, 31, v17
	s_delay_alu instid0(VALU_DEP_1) | instskip(SKIP_1) | instid1(VALU_DEP_1)
	v_lshlrev_b64 v[17:18], 1, v[17:18]
	s_waitcnt lgkmcnt(0)
	v_add_co_u32 v17, vcc_lo, s4, v17
	s_delay_alu instid0(VALU_DEP_2)
	v_add_co_ci_u32_e32 v18, vcc_lo, s5, v18, vcc_lo
	global_load_b64 v[17:18], v[17:18], off
	global_load_b128 v[24:27], v[5:6], off offset:16
	v_add_co_u32 v5, vcc_lo, 0x80, v5
	v_add_co_ci_u32_e32 v6, vcc_lo, 0, v6, vcc_lo
	v_add_co_u32 v0, vcc_lo, v0, 4
	v_add_co_ci_u32_e32 v1, vcc_lo, 0, v1, vcc_lo
	;; [unrolled: 2-line block ×3, first 2 shown]
	v_add_co_u32 v9, vcc_lo, v9, -8
	v_add_co_ci_u32_e32 v10, vcc_lo, -1, v10, vcc_lo
	s_delay_alu instid0(VALU_DEP_1)
	v_cmp_eq_u64_e32 vcc_lo, 0, v[9:10]
	s_or_b32 s6, vcc_lo, s6
	s_waitcnt vmcnt(0)
	v_lshlrev_b32_e32 v34, 16, v26
	v_lshlrev_b32_e32 v36, 16, v17
	v_lshlrev_b32_e32 v28, 16, v13
	v_and_b32_e32 v14, 0xffff0000, v14
	v_and_b32_e32 v13, 0xffff0000, v13
	;; [unrolled: 1-line block ×4, first 2 shown]
	s_delay_alu instid0(VALU_DEP_4) | instskip(NEXT) | instid1(VALU_DEP_4)
	v_fmac_f32_e32 v20, v14, v36
	v_dual_fmac_f32 v23, v13, v36 :: v_dual_lshlrev_b32 v30, 16, v15
	v_fmac_f32_e32 v21, v28, v36
	v_and_b32_e32 v16, 0xffff0000, v16
	v_and_b32_e32 v15, 0xffff0000, v15
	v_lshlrev_b32_e32 v13, 16, v18
	v_and_b32_e32 v14, 0xffff0000, v18
	s_delay_alu instid0(VALU_DEP_4) | instskip(NEXT) | instid1(VALU_DEP_4)
	v_fmac_f32_e32 v20, v16, v17
	v_dual_fmac_f32 v23, v15, v17 :: v_dual_lshlrev_b32 v32, 16, v24
	v_dual_fmac_f32 v21, v30, v17 :: v_dual_and_b32 v24, 0xffff0000, v24
	v_lshlrev_b32_e32 v35, 16, v27
	v_lshlrev_b32_e32 v33, 16, v25
	v_and_b32_e32 v27, 0xffff0000, v27
	v_and_b32_e32 v25, 0xffff0000, v25
	v_fmac_f32_e32 v23, v24, v13
	v_fmac_f32_e32 v21, v32, v13
	s_delay_alu instid0(VALU_DEP_2) | instskip(NEXT) | instid1(VALU_DEP_2)
	v_dual_fmac_f32 v20, v25, v13 :: v_dual_fmac_f32 v23, v26, v14
	v_dual_fmac_f32 v21, v34, v14 :: v_dual_fmac_f32 v22, v29, v36
	s_delay_alu instid0(VALU_DEP_2) | instskip(NEXT) | instid1(VALU_DEP_2)
	v_fmac_f32_e32 v20, v27, v14
	v_fmac_f32_e32 v22, v31, v17
	s_delay_alu instid0(VALU_DEP_1) | instskip(NEXT) | instid1(VALU_DEP_1)
	v_fmac_f32_e32 v22, v33, v13
	v_fmac_f32_e32 v22, v35, v14
	s_and_not1_b32 exec_lo, exec_lo, s6
	s_cbranch_execnz .LBB110_29
; %bb.30:
	s_or_b32 exec_lo, exec_lo, s6
.LBB110_31:
	s_delay_alu instid0(SALU_CYCLE_1) | instskip(NEXT) | instid1(SALU_CYCLE_1)
	s_or_b32 exec_lo, exec_lo, s2
	s_mov_b32 s2, exec_lo
	v_cmpx_lt_u64_e32 11, v[7:8]
	s_cbranch_execz .LBB110_35
; %bb.32:
	v_lshlrev_b64 v[7:8], 2, v[0:1]
	s_mov_b32 s6, 0
	s_delay_alu instid0(VALU_DEP_1) | instskip(NEXT) | instid1(VALU_DEP_2)
	v_add_co_u32 v7, vcc_lo, v7, s8
	v_add_co_ci_u32_e32 v8, vcc_lo, s9, v8, vcc_lo
	s_delay_alu instid0(VALU_DEP_2) | instskip(NEXT) | instid1(VALU_DEP_2)
	v_add_co_u32 v7, vcc_lo, v7, 32
	v_add_co_ci_u32_e32 v8, vcc_lo, 0, v8, vcc_lo
.LBB110_33:                             ; =>This Inner Loop Header: Depth=1
	s_clause 0x3
	global_load_b32 v17, v[7:8], off offset:-32
	global_load_b32 v18, v[7:8], off offset:-16
	global_load_b32 v44, v[7:8], off
	global_load_b32 v45, v[7:8], off offset:16
	s_clause 0x6
	global_load_b128 v[9:12], v[5:6], off
	global_load_b128 v[13:16], v[5:6], off offset:16
	global_load_b128 v[24:27], v[5:6], off offset:128
	;; [unrolled: 1-line block ×6, first 2 shown]
	s_waitcnt vmcnt(10)
	v_subrev_nc_u32_e32 v17, s18, v17
	s_waitcnt vmcnt(9)
	v_subrev_nc_u32_e32 v18, s18, v18
	;; [unrolled: 2-line block ×4, first 2 shown]
	s_waitcnt vmcnt(6)
	v_lshlrev_b32_e32 v54, 16, v9
	s_waitcnt vmcnt(5)
	v_lshlrev_b32_e32 v59, 16, v14
	v_lshlrev_b32_e32 v57, 16, v12
	v_lshlrev_b32_e32 v55, 16, v10
	v_lshlrev_b32_e32 v17, 2, v17
	s_waitcnt vmcnt(4)
	v_lshlrev_b32_e32 v65, 16, v27
	v_lshlrev_b32_e32 v63, 16, v25
	;; [unrolled: 1-line block ×3, first 2 shown]
	s_waitcnt vmcnt(0)
	v_lshlrev_b32_e32 v80, 16, v42
	v_lshlrev_b32_e32 v78, 16, v40
	v_and_b32_e32 v42, 0xffff0000, v42
	v_and_b32_e32 v40, 0xffff0000, v40
	v_lshlrev_b32_e32 v76, 16, v38
	v_lshlrev_b32_e32 v74, 16, v36
	v_and_b32_e32 v38, 0xffff0000, v38
	v_and_b32_e32 v36, 0xffff0000, v36
	;; [unrolled: 4-line block ×4, first 2 shown]
	v_lshlrev_b32_e32 v64, 16, v26
	v_and_b32_e32 v16, 0xffff0000, v16
	v_and_b32_e32 v26, 0xffff0000, v26
	v_lshlrev_b32_e32 v62, 16, v24
	v_and_b32_e32 v24, 0xffff0000, v24
	v_lshlrev_b32_e32 v60, 16, v15
	v_and_b32_e32 v15, 0xffff0000, v15
	v_lshlrev_b32_e32 v58, 16, v13
	v_and_b32_e32 v13, 0xffff0000, v13
	v_lshlrev_b32_e32 v56, 16, v11
	v_lshlrev_b32_e32 v44, 2, v18
	v_ashrrev_i32_e32 v18, 31, v17
	v_and_b32_e32 v12, 0xffff0000, v12
	v_and_b32_e32 v11, 0xffff0000, v11
	v_lshlrev_b32_e32 v46, 2, v46
	v_lshlrev_b32_e32 v48, 2, v45
	v_ashrrev_i32_e32 v45, 31, v44
	v_lshlrev_b64 v[17:18], 1, v[17:18]
	v_and_b32_e32 v10, 0xffff0000, v10
	v_ashrrev_i32_e32 v47, 31, v46
	v_ashrrev_i32_e32 v49, 31, v48
	v_lshlrev_b64 v[44:45], 1, v[44:45]
	v_and_b32_e32 v14, 0xffff0000, v14
	s_waitcnt lgkmcnt(0)
	v_add_co_u32 v17, vcc_lo, s4, v17
	v_lshlrev_b64 v[46:47], 1, v[46:47]
	v_add_co_ci_u32_e32 v18, vcc_lo, s5, v18, vcc_lo
	v_lshlrev_b64 v[48:49], 1, v[48:49]
	v_add_co_u32 v44, vcc_lo, s4, v44
	v_add_co_ci_u32_e32 v45, vcc_lo, s5, v45, vcc_lo
	v_add_co_u32 v46, vcc_lo, s4, v46
	v_add_co_ci_u32_e32 v47, vcc_lo, s5, v47, vcc_lo
	;; [unrolled: 2-line block ×3, first 2 shown]
	s_clause 0x3
	global_load_b64 v[17:18], v[17:18], off
	global_load_b64 v[50:51], v[44:45], off
	;; [unrolled: 1-line block ×4, first 2 shown]
	global_load_b128 v[44:47], v[5:6], off offset:400
	v_lshlrev_b32_e32 v69, 16, v31
	v_lshlrev_b32_e32 v67, 16, v29
	v_and_b32_e32 v27, 0xffff0000, v27
	v_lshlrev_b32_e32 v73, 16, v35
	v_lshlrev_b32_e32 v71, 16, v33
	v_and_b32_e32 v31, 0xffff0000, v31
	;; [unrolled: 3-line block ×4, first 2 shown]
	v_add_co_u32 v5, vcc_lo, 0x200, v5
	v_add_co_ci_u32_e32 v6, vcc_lo, 0, v6, vcc_lo
	v_add_co_u32 v0, vcc_lo, v0, 16
	v_add_co_ci_u32_e32 v1, vcc_lo, 0, v1, vcc_lo
	;; [unrolled: 2-line block ×3, first 2 shown]
	s_delay_alu instid0(VALU_DEP_3)
	v_cmp_ge_i64_e32 vcc_lo, v[0:1], v[2:3]
	s_or_b32 s6, vcc_lo, s6
	s_waitcnt vmcnt(4)
	v_lshlrev_b32_e32 v86, 16, v17
	v_and_b32_e32 v9, 0xffff0000, v9
	v_and_b32_e32 v17, 0xffff0000, v17
	s_waitcnt vmcnt(0)
	s_delay_alu instid0(VALU_DEP_3) | instskip(SKIP_3) | instid1(VALU_DEP_4)
	v_dual_fmac_f32 v22, v55, v86 :: v_dual_lshlrev_b32 v85, 16, v47
	v_fmac_f32_e32 v20, v10, v86
	v_fmac_f32_e32 v23, v9, v86
	v_lshlrev_b32_e32 v9, 16, v18
	v_dual_fmac_f32 v21, v54, v86 :: v_dual_fmac_f32 v22, v57, v17
	s_delay_alu instid0(VALU_DEP_4) | instskip(NEXT) | instid1(VALU_DEP_4)
	v_fmac_f32_e32 v20, v12, v17
	v_dual_fmac_f32 v23, v11, v17 :: v_dual_and_b32 v10, 0xffff0000, v18
	v_lshlrev_b32_e32 v83, 16, v45
	s_delay_alu instid0(VALU_DEP_3)
	v_dual_fmac_f32 v20, v14, v9 :: v_dual_and_b32 v43, 0xffff0000, v43
	v_fmac_f32_e32 v22, v59, v9
	v_lshlrev_b32_e32 v84, 16, v46
	v_lshlrev_b32_e32 v82, 16, v44
	v_and_b32_e32 v46, 0xffff0000, v46
	v_fmac_f32_e32 v20, v16, v10
	v_fmac_f32_e32 v22, v61, v10
	;; [unrolled: 1-line block ×3, first 2 shown]
	v_dual_fmac_f32 v21, v56, v17 :: v_dual_and_b32 v44, 0xffff0000, v44
	v_and_b32_e32 v47, 0xffff0000, v47
	s_delay_alu instid0(VALU_DEP_3) | instskip(NEXT) | instid1(VALU_DEP_3)
	v_fmac_f32_e32 v23, v15, v10
	v_fmac_f32_e32 v21, v58, v9
	v_lshlrev_b32_e32 v9, 16, v50
	s_delay_alu instid0(VALU_DEP_1) | instskip(NEXT) | instid1(VALU_DEP_3)
	v_fmac_f32_e32 v23, v24, v9
	v_fmac_f32_e32 v21, v60, v10
	v_and_b32_e32 v10, 0xffff0000, v50
	v_and_b32_e32 v25, 0xffff0000, v25
	s_delay_alu instid0(VALU_DEP_2) | instskip(NEXT) | instid1(VALU_DEP_4)
	v_dual_fmac_f32 v22, v63, v9 :: v_dual_fmac_f32 v23, v26, v10
	v_fmac_f32_e32 v21, v62, v9
	s_delay_alu instid0(VALU_DEP_3) | instskip(NEXT) | instid1(VALU_DEP_1)
	v_dual_fmac_f32 v20, v25, v9 :: v_dual_lshlrev_b32 v9, 16, v51
	v_dual_fmac_f32 v22, v65, v10 :: v_dual_fmac_f32 v23, v28, v9
	s_delay_alu instid0(VALU_DEP_1) | instskip(NEXT) | instid1(VALU_DEP_3)
	v_dual_fmac_f32 v21, v64, v10 :: v_dual_fmac_f32 v22, v67, v9
	v_fmac_f32_e32 v20, v27, v10
	v_and_b32_e32 v10, 0xffff0000, v51
	v_and_b32_e32 v29, 0xffff0000, v29
	s_delay_alu instid0(VALU_DEP_4) | instskip(NEXT) | instid1(VALU_DEP_2)
	v_fmac_f32_e32 v21, v66, v9
	v_dual_fmac_f32 v23, v30, v10 :: v_dual_fmac_f32 v20, v29, v9
	v_dual_fmac_f32 v22, v69, v10 :: v_dual_lshlrev_b32 v9, 16, v52
	s_delay_alu instid0(VALU_DEP_1) | instskip(NEXT) | instid1(VALU_DEP_2)
	v_fmac_f32_e32 v23, v32, v9
	v_dual_fmac_f32 v21, v68, v10 :: v_dual_fmac_f32 v22, v71, v9
	s_delay_alu instid0(VALU_DEP_4) | instskip(SKIP_2) | instid1(VALU_DEP_4)
	v_fmac_f32_e32 v20, v31, v10
	v_and_b32_e32 v10, 0xffff0000, v52
	v_and_b32_e32 v33, 0xffff0000, v33
	v_fmac_f32_e32 v21, v70, v9
	s_delay_alu instid0(VALU_DEP_2) | instskip(SKIP_1) | instid1(VALU_DEP_1)
	v_dual_fmac_f32 v23, v34, v10 :: v_dual_fmac_f32 v20, v33, v9
	v_dual_fmac_f32 v22, v73, v10 :: v_dual_lshlrev_b32 v9, 16, v53
	v_fmac_f32_e32 v23, v36, v9
	s_delay_alu instid0(VALU_DEP_2) | instskip(NEXT) | instid1(VALU_DEP_4)
	v_dual_fmac_f32 v21, v72, v10 :: v_dual_fmac_f32 v22, v75, v9
	v_fmac_f32_e32 v20, v35, v10
	v_and_b32_e32 v10, 0xffff0000, v53
	v_and_b32_e32 v37, 0xffff0000, v37
	s_delay_alu instid0(VALU_DEP_4) | instskip(NEXT) | instid1(VALU_DEP_2)
	v_fmac_f32_e32 v21, v74, v9
	v_dual_fmac_f32 v23, v38, v10 :: v_dual_fmac_f32 v20, v37, v9
	v_dual_fmac_f32 v22, v77, v10 :: v_dual_lshlrev_b32 v9, 16, v48
	s_delay_alu instid0(VALU_DEP_1) | instskip(NEXT) | instid1(VALU_DEP_2)
	v_fmac_f32_e32 v23, v40, v9
	v_dual_fmac_f32 v21, v76, v10 :: v_dual_fmac_f32 v22, v79, v9
	s_delay_alu instid0(VALU_DEP_4) | instskip(SKIP_2) | instid1(VALU_DEP_4)
	v_fmac_f32_e32 v20, v39, v10
	v_and_b32_e32 v10, 0xffff0000, v48
	v_and_b32_e32 v41, 0xffff0000, v41
	v_fmac_f32_e32 v21, v78, v9
	s_delay_alu instid0(VALU_DEP_2) | instskip(SKIP_1) | instid1(VALU_DEP_1)
	v_dual_fmac_f32 v23, v42, v10 :: v_dual_fmac_f32 v20, v41, v9
	v_dual_fmac_f32 v22, v81, v10 :: v_dual_lshlrev_b32 v9, 16, v49
	v_fmac_f32_e32 v23, v44, v9
	s_delay_alu instid0(VALU_DEP_2) | instskip(NEXT) | instid1(VALU_DEP_4)
	v_dual_fmac_f32 v21, v80, v10 :: v_dual_fmac_f32 v22, v83, v9
	v_fmac_f32_e32 v20, v43, v10
	v_and_b32_e32 v10, 0xffff0000, v49
	v_and_b32_e32 v45, 0xffff0000, v45
	s_delay_alu instid0(VALU_DEP_4) | instskip(NEXT) | instid1(VALU_DEP_2)
	v_fmac_f32_e32 v21, v82, v9
	v_dual_fmac_f32 v23, v46, v10 :: v_dual_fmac_f32 v20, v45, v9
	s_delay_alu instid0(VALU_DEP_2) | instskip(SKIP_1) | instid1(VALU_DEP_3)
	v_fmac_f32_e32 v21, v84, v10
	v_fmac_f32_e32 v22, v85, v10
	;; [unrolled: 1-line block ×3, first 2 shown]
	s_and_not1_b32 exec_lo, exec_lo, s6
	s_cbranch_execnz .LBB110_33
; %bb.34:
	s_or_b32 exec_lo, exec_lo, s6
.LBB110_35:
	s_delay_alu instid0(SALU_CYCLE_1)
	s_or_b32 exec_lo, exec_lo, s2
.LBB110_36:
	s_delay_alu instid0(SALU_CYCLE_1)
	s_or_b32 exec_lo, exec_lo, s3
.LBB110_37:
	v_mbcnt_lo_u32_b32 v0, -1, 0
	s_mov_b32 s2, -1
	s_delay_alu instid0(VALU_DEP_1) | instskip(NEXT) | instid1(VALU_DEP_1)
	v_xor_b32_e32 v1, 2, v0
	v_cmp_gt_i32_e32 vcc_lo, 32, v1
	v_cndmask_b32_e32 v1, v0, v1, vcc_lo
	s_delay_alu instid0(VALU_DEP_1)
	v_lshlrev_b32_e32 v1, 2, v1
	ds_bpermute_b32 v2, v1, v21
	ds_bpermute_b32 v3, v1, v23
	;; [unrolled: 1-line block ×4, first 2 shown]
	v_xor_b32_e32 v1, 1, v0
	s_delay_alu instid0(VALU_DEP_1) | instskip(SKIP_3) | instid1(VALU_DEP_2)
	v_cmp_gt_i32_e32 vcc_lo, 32, v1
	v_cndmask_b32_e32 v0, v0, v1, vcc_lo
	v_cmp_eq_u32_e32 vcc_lo, 3, v19
	s_waitcnt lgkmcnt(0)
	v_dual_add_f32 v1, v23, v3 :: v_dual_lshlrev_b32 v8, 2, v0
	v_add_f32_e32 v0, v21, v2
	v_dual_add_f32 v2, v22, v5 :: v_dual_add_f32 v3, v20, v6
	ds_bpermute_b32 v6, v8, v1
	ds_bpermute_b32 v5, v8, v0
	;; [unrolled: 1-line block ×4, first 2 shown]
	s_and_b32 exec_lo, exec_lo, vcc_lo
	s_cbranch_execz .LBB110_10
; %bb.38:
	s_load_b64 s[0:1], s[0:1], 0x50
	s_waitcnt lgkmcnt(0)
	v_dual_add_f32 v0, v0, v5 :: v_dual_add_f32 v1, v1, v6
	v_dual_add_f32 v2, v2, v7 :: v_dual_add_f32 v3, v3, v8
	v_cmp_eq_f32_e64 s3, s12, 0
	s_delay_alu instid0(VALU_DEP_3) | instskip(NEXT) | instid1(VALU_DEP_3)
	v_dual_mul_f32 v0, s16, v0 :: v_dual_mul_f32 v1, s16, v1
	v_dual_mul_f32 v2, s16, v2 :: v_dual_mul_f32 v3, s16, v3
	v_lshlrev_b32_e32 v4, 2, v4
	s_delay_alu instid0(VALU_DEP_4)
	s_and_b32 vcc_lo, exec_lo, s3
	s_cbranch_vccz .LBB110_40
; %bb.39:
	s_delay_alu instid0(VALU_DEP_1) | instskip(SKIP_1) | instid1(VALU_DEP_1)
	v_ashrrev_i32_e32 v5, 31, v4
	s_mov_b32 s2, 0
	v_lshlrev_b64 v[5:6], 2, v[4:5]
	s_delay_alu instid0(VALU_DEP_1) | instskip(NEXT) | instid1(VALU_DEP_2)
	v_add_co_u32 v5, vcc_lo, s0, v5
	v_add_co_ci_u32_e32 v6, vcc_lo, s1, v6, vcc_lo
	global_store_b128 v[5:6], v[0:3], off
.LBB110_40:
	s_and_not1_b32 vcc_lo, exec_lo, s2
	s_cbranch_vccnz .LBB110_10
; %bb.41:
	v_ashrrev_i32_e32 v5, 31, v4
	s_delay_alu instid0(VALU_DEP_1) | instskip(NEXT) | instid1(VALU_DEP_1)
	v_lshlrev_b64 v[4:5], 2, v[4:5]
	v_add_co_u32 v8, vcc_lo, s0, v4
	s_delay_alu instid0(VALU_DEP_2)
	v_add_co_ci_u32_e32 v9, vcc_lo, s1, v5, vcc_lo
	global_load_b128 v[4:7], v[8:9], off
	s_waitcnt vmcnt(0)
	v_dual_fmac_f32 v0, s12, v4 :: v_dual_fmac_f32 v1, s12, v5
	v_dual_fmac_f32 v2, s12, v6 :: v_dual_fmac_f32 v3, s12, v7
	global_store_b128 v[8:9], v[0:3], off
	s_nop 0
	s_sendmsg sendmsg(MSG_DEALLOC_VGPRS)
	s_endpgm
	.section	.rodata,"a",@progbits
	.p2align	6, 0x0
	.amdhsa_kernel _ZN9rocsparseL18bsrxmvn_4x4_kernelILj128ELj4Efli18rocsparse_bfloat16S1_fEEvT3_20rocsparse_direction_NS_24const_host_device_scalarIT1_EES2_PKS2_PKT2_SB_S8_PKT4_PKT5_S6_PT6_21rocsparse_index_base_b
		.amdhsa_group_segment_fixed_size 0
		.amdhsa_private_segment_fixed_size 0
		.amdhsa_kernarg_size 96
		.amdhsa_user_sgpr_count 15
		.amdhsa_user_sgpr_dispatch_ptr 0
		.amdhsa_user_sgpr_queue_ptr 0
		.amdhsa_user_sgpr_kernarg_segment_ptr 1
		.amdhsa_user_sgpr_dispatch_id 0
		.amdhsa_user_sgpr_private_segment_size 0
		.amdhsa_wavefront_size32 1
		.amdhsa_uses_dynamic_stack 0
		.amdhsa_enable_private_segment 0
		.amdhsa_system_sgpr_workgroup_id_x 1
		.amdhsa_system_sgpr_workgroup_id_y 0
		.amdhsa_system_sgpr_workgroup_id_z 0
		.amdhsa_system_sgpr_workgroup_info 0
		.amdhsa_system_vgpr_workitem_id 0
		.amdhsa_next_free_vgpr 93
		.amdhsa_next_free_sgpr 20
		.amdhsa_reserve_vcc 1
		.amdhsa_float_round_mode_32 0
		.amdhsa_float_round_mode_16_64 0
		.amdhsa_float_denorm_mode_32 3
		.amdhsa_float_denorm_mode_16_64 3
		.amdhsa_dx10_clamp 1
		.amdhsa_ieee_mode 1
		.amdhsa_fp16_overflow 0
		.amdhsa_workgroup_processor_mode 1
		.amdhsa_memory_ordered 1
		.amdhsa_forward_progress 0
		.amdhsa_shared_vgpr_count 0
		.amdhsa_exception_fp_ieee_invalid_op 0
		.amdhsa_exception_fp_denorm_src 0
		.amdhsa_exception_fp_ieee_div_zero 0
		.amdhsa_exception_fp_ieee_overflow 0
		.amdhsa_exception_fp_ieee_underflow 0
		.amdhsa_exception_fp_ieee_inexact 0
		.amdhsa_exception_int_div_zero 0
	.end_amdhsa_kernel
	.section	.text._ZN9rocsparseL18bsrxmvn_4x4_kernelILj128ELj4Efli18rocsparse_bfloat16S1_fEEvT3_20rocsparse_direction_NS_24const_host_device_scalarIT1_EES2_PKS2_PKT2_SB_S8_PKT4_PKT5_S6_PT6_21rocsparse_index_base_b,"axG",@progbits,_ZN9rocsparseL18bsrxmvn_4x4_kernelILj128ELj4Efli18rocsparse_bfloat16S1_fEEvT3_20rocsparse_direction_NS_24const_host_device_scalarIT1_EES2_PKS2_PKT2_SB_S8_PKT4_PKT5_S6_PT6_21rocsparse_index_base_b,comdat
.Lfunc_end110:
	.size	_ZN9rocsparseL18bsrxmvn_4x4_kernelILj128ELj4Efli18rocsparse_bfloat16S1_fEEvT3_20rocsparse_direction_NS_24const_host_device_scalarIT1_EES2_PKS2_PKT2_SB_S8_PKT4_PKT5_S6_PT6_21rocsparse_index_base_b, .Lfunc_end110-_ZN9rocsparseL18bsrxmvn_4x4_kernelILj128ELj4Efli18rocsparse_bfloat16S1_fEEvT3_20rocsparse_direction_NS_24const_host_device_scalarIT1_EES2_PKS2_PKT2_SB_S8_PKT4_PKT5_S6_PT6_21rocsparse_index_base_b
                                        ; -- End function
	.section	.AMDGPU.csdata,"",@progbits
; Kernel info:
; codeLenInByte = 4720
; NumSgprs: 22
; NumVgprs: 93
; ScratchSize: 0
; MemoryBound: 0
; FloatMode: 240
; IeeeMode: 1
; LDSByteSize: 0 bytes/workgroup (compile time only)
; SGPRBlocks: 2
; VGPRBlocks: 11
; NumSGPRsForWavesPerEU: 22
; NumVGPRsForWavesPerEU: 93
; Occupancy: 16
; WaveLimiterHint : 1
; COMPUTE_PGM_RSRC2:SCRATCH_EN: 0
; COMPUTE_PGM_RSRC2:USER_SGPR: 15
; COMPUTE_PGM_RSRC2:TRAP_HANDLER: 0
; COMPUTE_PGM_RSRC2:TGID_X_EN: 1
; COMPUTE_PGM_RSRC2:TGID_Y_EN: 0
; COMPUTE_PGM_RSRC2:TGID_Z_EN: 0
; COMPUTE_PGM_RSRC2:TIDIG_COMP_CNT: 0
	.section	.text._ZN9rocsparseL18bsrxmvn_4x4_kernelILj128ELj8Efli18rocsparse_bfloat16S1_fEEvT3_20rocsparse_direction_NS_24const_host_device_scalarIT1_EES2_PKS2_PKT2_SB_S8_PKT4_PKT5_S6_PT6_21rocsparse_index_base_b,"axG",@progbits,_ZN9rocsparseL18bsrxmvn_4x4_kernelILj128ELj8Efli18rocsparse_bfloat16S1_fEEvT3_20rocsparse_direction_NS_24const_host_device_scalarIT1_EES2_PKS2_PKT2_SB_S8_PKT4_PKT5_S6_PT6_21rocsparse_index_base_b,comdat
	.globl	_ZN9rocsparseL18bsrxmvn_4x4_kernelILj128ELj8Efli18rocsparse_bfloat16S1_fEEvT3_20rocsparse_direction_NS_24const_host_device_scalarIT1_EES2_PKS2_PKT2_SB_S8_PKT4_PKT5_S6_PT6_21rocsparse_index_base_b ; -- Begin function _ZN9rocsparseL18bsrxmvn_4x4_kernelILj128ELj8Efli18rocsparse_bfloat16S1_fEEvT3_20rocsparse_direction_NS_24const_host_device_scalarIT1_EES2_PKS2_PKT2_SB_S8_PKT4_PKT5_S6_PT6_21rocsparse_index_base_b
	.p2align	8
	.type	_ZN9rocsparseL18bsrxmvn_4x4_kernelILj128ELj8Efli18rocsparse_bfloat16S1_fEEvT3_20rocsparse_direction_NS_24const_host_device_scalarIT1_EES2_PKS2_PKT2_SB_S8_PKT4_PKT5_S6_PT6_21rocsparse_index_base_b,@function
_ZN9rocsparseL18bsrxmvn_4x4_kernelILj128ELj8Efli18rocsparse_bfloat16S1_fEEvT3_20rocsparse_direction_NS_24const_host_device_scalarIT1_EES2_PKS2_PKT2_SB_S8_PKT4_PKT5_S6_PT6_21rocsparse_index_base_b: ; @_ZN9rocsparseL18bsrxmvn_4x4_kernelILj128ELj8Efli18rocsparse_bfloat16S1_fEEvT3_20rocsparse_direction_NS_24const_host_device_scalarIT1_EES2_PKS2_PKT2_SB_S8_PKT4_PKT5_S6_PT6_21rocsparse_index_base_b
; %bb.0:
	s_clause 0x2
	s_load_b64 s[18:19], s[0:1], 0x58
	s_load_b64 s[16:17], s[0:1], 0x8
	;; [unrolled: 1-line block ×3, first 2 shown]
	s_waitcnt lgkmcnt(0)
	s_bitcmp1_b32 s19, 0
	s_cselect_b32 s2, -1, 0
	s_delay_alu instid0(SALU_CYCLE_1)
	s_and_b32 vcc_lo, exec_lo, s2
	s_xor_b32 s2, s2, -1
	s_cbranch_vccnz .LBB111_2
; %bb.1:
	s_load_b32 s16, s[16:17], 0x0
.LBB111_2:
	s_and_not1_b32 vcc_lo, exec_lo, s2
	s_cbranch_vccnz .LBB111_4
; %bb.3:
	s_load_b32 s12, s[12:13], 0x0
.LBB111_4:
	s_waitcnt lgkmcnt(0)
	v_cmp_neq_f32_e64 s2, s16, 0
	v_cmp_neq_f32_e64 s3, s12, 1.0
	s_mov_b32 s6, 0
	s_delay_alu instid0(VALU_DEP_1) | instskip(NEXT) | instid1(SALU_CYCLE_1)
	s_or_b32 s2, s2, s3
	s_and_not1_b32 vcc_lo, exec_lo, s2
	s_cbranch_vccnz .LBB111_10
; %bb.5:
	s_clause 0x1
	s_load_b64 s[4:5], s[0:1], 0x18
	s_load_b64 s[2:3], s[0:1], 0x0
	v_lshrrev_b32_e32 v1, 3, v0
	s_delay_alu instid0(VALU_DEP_1)
	v_lshl_or_b32 v4, s15, 4, v1
	s_waitcnt lgkmcnt(0)
	s_cmp_lg_u64 s[4:5], 0
	s_cbranch_scc0 .LBB111_11
; %bb.6:
	s_load_b32 s6, s[0:1], 0x10
	s_mov_b32 s7, 0
                                        ; implicit-def: $vgpr1
	s_waitcnt lgkmcnt(0)
	v_cmp_gt_i32_e32 vcc_lo, s6, v4
	s_mov_b32 s6, 0
	s_and_saveexec_b32 s8, vcc_lo
	s_delay_alu instid0(SALU_CYCLE_1)
	s_xor_b32 s8, exec_lo, s8
	s_cbranch_execz .LBB111_8
; %bb.7:
	v_ashrrev_i32_e32 v5, 31, v4
	s_mov_b32 s6, exec_lo
	s_delay_alu instid0(VALU_DEP_1) | instskip(NEXT) | instid1(VALU_DEP_1)
	v_lshlrev_b64 v[1:2], 2, v[4:5]
	v_add_co_u32 v1, vcc_lo, s4, v1
	s_delay_alu instid0(VALU_DEP_2)
	v_add_co_ci_u32_e32 v2, vcc_lo, s5, v2, vcc_lo
	global_load_b32 v1, v[1:2], off
	s_waitcnt vmcnt(0)
	v_subrev_nc_u32_e32 v1, s18, v1
.LBB111_8:
	s_or_b32 exec_lo, exec_lo, s8
	s_delay_alu instid0(SALU_CYCLE_1)
	s_and_b32 vcc_lo, exec_lo, s7
	s_cbranch_vccz .LBB111_12
.LBB111_9:
	v_cmp_gt_i32_e32 vcc_lo, s2, v4
	s_and_not1_b32 s2, s6, exec_lo
	s_and_b32 s4, vcc_lo, exec_lo
	s_delay_alu instid0(SALU_CYCLE_1) | instskip(NEXT) | instid1(SALU_CYCLE_1)
	s_or_b32 s6, s2, s4
	s_and_saveexec_b32 s2, s6
	s_cbranch_execnz .LBB111_13
.LBB111_10:
	s_nop 0
	s_sendmsg sendmsg(MSG_DEALLOC_VGPRS)
	s_endpgm
.LBB111_11:
                                        ; implicit-def: $vgpr1
	s_cbranch_execnz .LBB111_9
.LBB111_12:
	s_delay_alu instid0(VALU_DEP_1)
	v_mov_b32_e32 v4, v1
	s_and_saveexec_b32 s2, s6
	s_cbranch_execz .LBB111_10
.LBB111_13:
	s_load_b256 s[4:11], s[0:1], 0x20
	s_delay_alu instid0(VALU_DEP_1) | instskip(SKIP_1) | instid1(VALU_DEP_2)
	v_ashrrev_i32_e32 v5, 31, v4
	v_dual_mov_b32 v20, 0 :: v_dual_and_b32 v19, 7, v0
	v_lshlrev_b64 v[1:2], 3, v[4:5]
	s_waitcnt lgkmcnt(0)
	s_delay_alu instid0(VALU_DEP_1) | instskip(NEXT) | instid1(VALU_DEP_2)
	v_add_co_u32 v5, vcc_lo, s4, v1
	v_add_co_ci_u32_e32 v6, vcc_lo, s5, v2, vcc_lo
	v_add_co_u32 v1, vcc_lo, s6, v1
	v_add_co_ci_u32_e32 v2, vcc_lo, s7, v2, vcc_lo
	s_delay_alu instid0(VALU_DEP_4)
	v_add_co_u32 v3, vcc_lo, v5, 8
	global_load_b64 v[7:8], v[5:6], off
	v_add_co_ci_u32_e32 v9, vcc_lo, 0, v6, vcc_lo
	s_cmp_eq_u64 s[6:7], 0
	s_load_b64 s[4:5], s[0:1], 0x40
	s_cselect_b32 vcc_lo, -1, 0
	s_cmp_eq_u32 s3, 1
	v_dual_cndmask_b32 v2, v2, v9 :: v_dual_cndmask_b32 v1, v1, v3
	s_mov_b32 s3, 0
	global_load_b64 v[2:3], v[1:2], off
	s_waitcnt vmcnt(1)
	v_sub_co_u32 v0, vcc_lo, v7, s18
	v_subrev_co_ci_u32_e32 v1, vcc_lo, 0, v8, vcc_lo
	s_delay_alu instid0(VALU_DEP_2) | instskip(NEXT) | instid1(VALU_DEP_2)
	v_add_co_u32 v0, vcc_lo, v0, v19
	v_add_co_ci_u32_e32 v1, vcc_lo, 0, v1, vcc_lo
	s_delay_alu instid0(VALU_DEP_1) | instskip(SKIP_3) | instid1(VALU_DEP_3)
	v_lshlrev_b64 v[5:6], 5, v[0:1]
	s_waitcnt vmcnt(0)
	v_sub_co_u32 v2, vcc_lo, v2, s18
	v_subrev_co_ci_u32_e32 v3, vcc_lo, 0, v3, vcc_lo
	v_add_co_u32 v5, vcc_lo, s10, v5
	s_delay_alu instid0(VALU_DEP_2)
	v_cmp_lt_i64_e64 s2, v[0:1], v[2:3]
	v_add_co_ci_u32_e32 v6, vcc_lo, s11, v6, vcc_lo
	s_cbranch_scc1 .LBB111_25
; %bb.14:
	v_dual_mov_b32 v22, 0 :: v_dual_mov_b32 v23, 0
	v_mov_b32_e32 v21, 0
	s_delay_alu instid0(VALU_DEP_4)
	s_and_saveexec_b32 s6, s2
	s_cbranch_execz .LBB111_24
; %bb.15:
	v_or_b32_e32 v9, 8, v19
	v_not_b32_e32 v12, v7
	v_not_b32_e32 v11, v8
	v_mov_b32_e32 v23, 0
	v_dual_mov_b32 v21, 0 :: v_dual_mov_b32 v20, 0
	v_sub_co_u32 v9, s7, v9, s18
	s_delay_alu instid0(VALU_DEP_1) | instskip(SKIP_1) | instid1(VALU_DEP_3)
	v_sub_co_ci_u32_e64 v10, null, 0, 0, s7
	v_sub_co_u32 v13, s7, s18, v19
	v_add_co_u32 v9, vcc_lo, v9, v7
	s_delay_alu instid0(VALU_DEP_3) | instskip(SKIP_2) | instid1(VALU_DEP_2)
	v_add_co_ci_u32_e32 v10, vcc_lo, v10, v8, vcc_lo
	v_sub_co_ci_u32_e64 v14, null, 0, 0, s7
	s_mov_b32 s7, exec_lo
	v_cmp_gt_i64_e32 vcc_lo, v[9:10], v[2:3]
	v_mov_b32_e32 v22, 0
	v_dual_cndmask_b32 v10, v3, v10 :: v_dual_cndmask_b32 v9, v2, v9
	v_add_co_u32 v12, vcc_lo, v13, v12
	v_add_co_ci_u32_e32 v11, vcc_lo, v14, v11, vcc_lo
	s_delay_alu instid0(VALU_DEP_2) | instskip(NEXT) | instid1(VALU_DEP_2)
	v_add_co_u32 v13, vcc_lo, v12, v9
	v_add_co_ci_u32_e32 v14, vcc_lo, v11, v10, vcc_lo
	v_mov_b32_e32 v12, v6
	s_delay_alu instid0(VALU_DEP_3) | instskip(SKIP_1) | instid1(VALU_DEP_2)
	v_lshrrev_b32_e32 v9, 3, v13
	v_mov_b32_e32 v11, v5
	v_add_nc_u32_e32 v9, 1, v9
	s_delay_alu instid0(VALU_DEP_1) | instskip(SKIP_1) | instid1(VALU_DEP_2)
	v_dual_mov_b32 v10, v1 :: v_dual_and_b32 v15, 3, v9
	v_mov_b32_e32 v9, v0
	v_cmpx_ne_u32_e32 0, v15
	s_cbranch_execz .LBB111_19
; %bb.16:
	v_lshlrev_b64 v[9:10], 2, v[0:1]
	v_dual_mov_b32 v16, 0 :: v_dual_lshlrev_b32 v15, 3, v15
	v_dual_mov_b32 v12, v6 :: v_dual_mov_b32 v11, v5
	s_mov_b32 s10, 0
	s_delay_alu instid0(VALU_DEP_3) | instskip(NEXT) | instid1(VALU_DEP_4)
	v_add_co_u32 v17, vcc_lo, s8, v9
	v_add_co_ci_u32_e32 v18, vcc_lo, s9, v10, vcc_lo
	v_dual_mov_b32 v10, v1 :: v_dual_mov_b32 v9, v0
	v_mov_b32_e32 v20, v16
	v_mov_b32_e32 v22, v16
	v_mov_b32_e32 v23, v16
	v_mov_b32_e32 v21, v16
.LBB111_17:                             ; =>This Inner Loop Header: Depth=1
	global_load_b32 v28, v[17:18], off
	global_load_b128 v[24:27], v[11:12], off
	s_waitcnt vmcnt(1)
	v_subrev_nc_u32_e32 v28, s18, v28
	s_waitcnt vmcnt(0)
	v_lshlrev_b32_e32 v36, 16, v26
	v_lshlrev_b32_e32 v34, 16, v24
	s_delay_alu instid0(VALU_DEP_3) | instskip(NEXT) | instid1(VALU_DEP_1)
	v_lshlrev_b32_e32 v28, 2, v28
	v_ashrrev_i32_e32 v29, 31, v28
	s_delay_alu instid0(VALU_DEP_1) | instskip(SKIP_1) | instid1(VALU_DEP_1)
	v_lshlrev_b64 v[28:29], 1, v[28:29]
	s_waitcnt lgkmcnt(0)
	v_add_co_u32 v32, vcc_lo, s4, v28
	s_delay_alu instid0(VALU_DEP_2)
	v_add_co_ci_u32_e32 v33, vcc_lo, s5, v29, vcc_lo
	global_load_b128 v[28:31], v[11:12], off offset:16
	global_load_b64 v[32:33], v[32:33], off
	v_add_co_u32 v11, vcc_lo, 0x100, v11
	v_add_co_ci_u32_e32 v12, vcc_lo, 0, v12, vcc_lo
	v_add_co_u32 v9, vcc_lo, v9, 8
	v_add_co_ci_u32_e32 v10, vcc_lo, 0, v10, vcc_lo
	v_add_co_u32 v17, vcc_lo, v17, 32
	v_add_co_ci_u32_e32 v18, vcc_lo, 0, v18, vcc_lo
	v_add_co_u32 v15, vcc_lo, v15, -8
	v_add_co_ci_u32_e32 v16, vcc_lo, -1, v16, vcc_lo
	s_delay_alu instid0(VALU_DEP_1) | instskip(SKIP_3) | instid1(VALU_DEP_1)
	v_cmp_eq_u64_e32 vcc_lo, 0, v[15:16]
	s_or_b32 s10, vcc_lo, s10
	s_waitcnt vmcnt(0)
	v_lshlrev_b32_e32 v42, 16, v32
	v_dual_fmac_f32 v23, v36, v42 :: v_dual_and_b32 v32, 0xffff0000, v32
	v_dual_fmac_f32 v21, v34, v42 :: v_dual_lshlrev_b32 v34, 16, v33
	v_lshlrev_b32_e32 v38, 16, v28
	v_lshlrev_b32_e32 v35, 16, v25
	;; [unrolled: 1-line block ×3, first 2 shown]
	v_and_b32_e32 v25, 0xffff0000, v25
	v_and_b32_e32 v28, 0xffff0000, v28
	v_fmac_f32_e32 v22, v38, v42
	v_and_b32_e32 v24, 0xffff0000, v24
	v_dual_fmac_f32 v20, v40, v42 :: v_dual_lshlrev_b32 v37, 16, v27
	s_delay_alu instid0(VALU_DEP_3) | instskip(NEXT) | instid1(VALU_DEP_3)
	v_fmac_f32_e32 v22, v28, v32
	v_dual_fmac_f32 v21, v24, v32 :: v_dual_and_b32 v24, 0xffff0000, v33
	v_lshlrev_b32_e32 v41, 16, v31
	v_and_b32_e32 v31, 0xffff0000, v31
	s_delay_alu instid0(VALU_DEP_3) | instskip(NEXT) | instid1(VALU_DEP_1)
	v_fmac_f32_e32 v21, v35, v34
	v_dual_fmac_f32 v21, v25, v24 :: v_dual_and_b32 v26, 0xffff0000, v26
	s_delay_alu instid0(VALU_DEP_1) | instskip(NEXT) | instid1(VALU_DEP_1)
	v_fmac_f32_e32 v23, v26, v32
	v_fmac_f32_e32 v23, v37, v34
	v_and_b32_e32 v30, 0xffff0000, v30
	s_delay_alu instid0(VALU_DEP_1) | instskip(SKIP_1) | instid1(VALU_DEP_2)
	v_dual_fmac_f32 v20, v30, v32 :: v_dual_and_b32 v27, 0xffff0000, v27
	v_lshlrev_b32_e32 v39, 16, v29
	v_dual_fmac_f32 v23, v27, v24 :: v_dual_fmac_f32 v20, v41, v34
	s_delay_alu instid0(VALU_DEP_2) | instskip(NEXT) | instid1(VALU_DEP_2)
	v_dual_fmac_f32 v22, v39, v34 :: v_dual_and_b32 v29, 0xffff0000, v29
	v_fmac_f32_e32 v20, v31, v24
	s_delay_alu instid0(VALU_DEP_2)
	v_fmac_f32_e32 v22, v29, v24
	s_and_not1_b32 exec_lo, exec_lo, s10
	s_cbranch_execnz .LBB111_17
; %bb.18:
	s_or_b32 exec_lo, exec_lo, s10
.LBB111_19:
	s_delay_alu instid0(SALU_CYCLE_1) | instskip(NEXT) | instid1(SALU_CYCLE_1)
	s_or_b32 exec_lo, exec_lo, s7
	s_mov_b32 s7, exec_lo
	v_cmpx_lt_u64_e32 23, v[13:14]
	s_cbranch_execz .LBB111_23
; %bb.20:
	v_lshlrev_b64 v[13:14], 2, v[9:10]
	s_mov_b32 s10, 0
	s_delay_alu instid0(VALU_DEP_1) | instskip(NEXT) | instid1(VALU_DEP_2)
	v_add_co_u32 v13, vcc_lo, v13, s8
	v_add_co_ci_u32_e32 v14, vcc_lo, s9, v14, vcc_lo
	s_delay_alu instid0(VALU_DEP_2) | instskip(NEXT) | instid1(VALU_DEP_2)
	v_add_co_u32 v13, vcc_lo, v13, 64
	v_add_co_ci_u32_e32 v14, vcc_lo, 0, v14, vcc_lo
.LBB111_21:                             ; =>This Inner Loop Header: Depth=1
	s_clause 0x3
	global_load_b32 v52, v[13:14], off offset:-64
	global_load_b32 v53, v[13:14], off offset:-32
	global_load_b32 v54, v[13:14], off
	global_load_b32 v55, v[13:14], off offset:32
	s_clause 0x7
	global_load_b128 v[15:18], v[11:12], off
	global_load_b128 v[24:27], v[11:12], off offset:16
	global_load_b128 v[28:31], v[11:12], off offset:256
	;; [unrolled: 1-line block ×7, first 2 shown]
	s_waitcnt vmcnt(11)
	v_subrev_nc_u32_e32 v52, s18, v52
	s_waitcnt vmcnt(10)
	v_subrev_nc_u32_e32 v53, s18, v53
	;; [unrolled: 2-line block ×4, first 2 shown]
	s_waitcnt vmcnt(7)
	v_lshlrev_b32_e32 v60, 16, v15
	v_lshlrev_b32_e32 v62, 16, v17
	s_waitcnt vmcnt(5)
	v_lshlrev_b32_e32 v69, 16, v29
	v_lshlrev_b32_e32 v70, 16, v30
	v_lshlrev_b32_e32 v64, 16, v24
	s_waitcnt vmcnt(3)
	v_lshlrev_b32_e32 v77, 16, v37
	v_and_b32_e32 v37, 0xffff0000, v37
	v_lshlrev_b32_e32 v76, 16, v36
	v_lshlrev_b32_e32 v74, 16, v34
	;; [unrolled: 1-line block ×3, first 2 shown]
	v_and_b32_e32 v30, 0xffff0000, v30
	v_lshlrev_b32_e32 v78, 16, v38
	v_and_b32_e32 v34, 0xffff0000, v34
	v_lshlrev_b32_e32 v73, 16, v33
	v_and_b32_e32 v31, 0xffff0000, v31
	s_waitcnt vmcnt(1)
	v_lshlrev_b32_e32 v85, 16, v45
	v_and_b32_e32 v45, 0xffff0000, v45
	v_lshlrev_b32_e32 v84, 16, v44
	v_lshlrev_b32_e32 v86, 16, v46
	s_waitcnt vmcnt(0)
	v_lshlrev_b32_e32 v88, 16, v48
	v_lshlrev_b32_e32 v83, 16, v43
	v_and_b32_e32 v48, 0xffff0000, v48
	v_lshlrev_b32_e32 v89, 16, v49
	v_lshlrev_b32_e32 v87, 16, v47
	v_and_b32_e32 v46, 0xffff0000, v46
	v_lshlrev_b32_e32 v91, 16, v51
	v_and_b32_e32 v47, 0xffff0000, v47
	v_and_b32_e32 v44, 0xffff0000, v44
	v_lshlrev_b32_e32 v80, 16, v40
	v_and_b32_e32 v40, 0xffff0000, v40
	v_lshlrev_b32_e32 v81, 16, v41
	v_lshlrev_b32_e32 v79, 16, v39
	v_and_b32_e32 v38, 0xffff0000, v38
	v_and_b32_e32 v39, 0xffff0000, v39
	;; [unrolled: 1-line block ×3, first 2 shown]
	v_lshlrev_b32_e32 v72, 16, v32
	v_and_b32_e32 v32, 0xffff0000, v32
	v_and_b32_e32 v29, 0xffff0000, v29
	v_lshlrev_b32_e32 v68, 16, v28
	v_and_b32_e32 v28, 0xffff0000, v28
	v_and_b32_e32 v24, 0xffff0000, v24
	v_lshlrev_b32_e32 v63, 16, v18
	v_lshlrev_b32_e32 v66, 16, v26
	v_and_b32_e32 v26, 0xffff0000, v26
	v_lshlrev_b32_e32 v65, 16, v25
	v_and_b32_e32 v25, 0xffff0000, v25
	;; [unrolled: 2-line block ×3, first 2 shown]
	v_lshlrev_b32_e32 v52, 2, v52
	v_lshlrev_b32_e32 v54, 2, v53
	;; [unrolled: 1-line block ×3, first 2 shown]
	v_and_b32_e32 v18, 0xffff0000, v18
	v_lshlrev_b32_e32 v56, 2, v56
	v_ashrrev_i32_e32 v53, 31, v52
	v_ashrrev_i32_e32 v55, 31, v54
	;; [unrolled: 1-line block ×3, first 2 shown]
	v_lshlrev_b32_e32 v75, 16, v35
	v_ashrrev_i32_e32 v57, 31, v56
	v_lshlrev_b64 v[52:53], 1, v[52:53]
	v_lshlrev_b64 v[54:55], 1, v[54:55]
	;; [unrolled: 1-line block ×3, first 2 shown]
	v_lshlrev_b32_e32 v82, 16, v42
	v_lshlrev_b64 v[56:57], 1, v[56:57]
	v_and_b32_e32 v42, 0xffff0000, v42
	s_waitcnt lgkmcnt(0)
	v_add_co_u32 v52, vcc_lo, s4, v52
	v_add_co_ci_u32_e32 v53, vcc_lo, s5, v53, vcc_lo
	v_add_co_u32 v54, vcc_lo, s4, v54
	v_add_co_ci_u32_e32 v55, vcc_lo, s5, v55, vcc_lo
	global_load_b64 v[52:53], v[52:53], off
	v_add_co_u32 v56, vcc_lo, s4, v56
	global_load_b64 v[54:55], v[54:55], off
	v_add_co_ci_u32_e32 v57, vcc_lo, s5, v57, vcc_lo
	v_add_co_u32 v58, vcc_lo, s4, v58
	v_add_co_ci_u32_e32 v59, vcc_lo, s5, v59, vcc_lo
	global_load_b64 v[56:57], v[56:57], off
	v_lshlrev_b32_e32 v90, 16, v50
	v_and_b32_e32 v50, 0xffff0000, v50
	global_load_b64 v[58:59], v[58:59], off
	v_add_co_u32 v11, vcc_lo, 0x400, v11
	v_add_co_ci_u32_e32 v12, vcc_lo, 0, v12, vcc_lo
	v_add_co_u32 v9, vcc_lo, v9, 32
	v_add_co_ci_u32_e32 v10, vcc_lo, 0, v10, vcc_lo
	v_add_co_u32 v13, vcc_lo, 0x80, v13
	v_and_b32_e32 v51, 0xffff0000, v51
	v_add_co_ci_u32_e32 v14, vcc_lo, 0, v14, vcc_lo
	s_delay_alu instid0(VALU_DEP_4)
	v_cmp_ge_i64_e32 vcc_lo, v[9:10], v[2:3]
	s_or_b32 s10, vcc_lo, s10
	s_waitcnt vmcnt(3)
	v_lshlrev_b32_e32 v92, 16, v52
	v_and_b32_e32 v15, 0xffff0000, v15
	v_and_b32_e32 v52, 0xffff0000, v52
	s_delay_alu instid0(VALU_DEP_3) | instskip(SKIP_3) | instid1(VALU_DEP_4)
	v_dual_fmac_f32 v20, v66, v92 :: v_dual_and_b32 v17, 0xffff0000, v17
	v_fmac_f32_e32 v22, v64, v92
	v_dual_fmac_f32 v21, v60, v92 :: v_dual_lshlrev_b32 v60, 16, v53
	v_fmac_f32_e32 v23, v62, v92
	v_fmac_f32_e32 v20, v26, v52
	s_delay_alu instid0(VALU_DEP_4) | instskip(NEXT) | instid1(VALU_DEP_4)
	v_fmac_f32_e32 v22, v24, v52
	v_fmac_f32_e32 v21, v15, v52
	v_and_b32_e32 v15, 0xffff0000, v53
	v_fmac_f32_e32 v23, v17, v52
	s_waitcnt vmcnt(2)
	v_dual_fmac_f32 v22, v65, v60 :: v_dual_lshlrev_b32 v17, 16, v54
	s_delay_alu instid0(VALU_DEP_1) | instskip(SKIP_2) | instid1(VALU_DEP_3)
	v_dual_fmac_f32 v23, v63, v60 :: v_dual_fmac_f32 v22, v25, v15
	v_lshlrev_b32_e32 v67, 16, v27
	v_fmac_f32_e32 v21, v61, v60
	v_dual_fmac_f32 v23, v18, v15 :: v_dual_fmac_f32 v22, v72, v17
	s_delay_alu instid0(VALU_DEP_3) | instskip(NEXT) | instid1(VALU_DEP_3)
	v_dual_fmac_f32 v20, v67, v60 :: v_dual_and_b32 v27, 0xffff0000, v27
	v_fmac_f32_e32 v21, v16, v15
	v_lshlrev_b32_e32 v16, 16, v55
	s_delay_alu instid0(VALU_DEP_3) | instskip(NEXT) | instid1(VALU_DEP_3)
	v_dual_fmac_f32 v20, v27, v15 :: v_dual_and_b32 v15, 0xffff0000, v54
	v_fmac_f32_e32 v21, v68, v17
	s_delay_alu instid0(VALU_DEP_2) | instskip(NEXT) | instid1(VALU_DEP_3)
	v_fmac_f32_e32 v20, v74, v17
	v_fmac_f32_e32 v22, v32, v15
	s_delay_alu instid0(VALU_DEP_3) | instskip(NEXT) | instid1(VALU_DEP_3)
	v_fmac_f32_e32 v21, v28, v15
	v_dual_fmac_f32 v20, v34, v15 :: v_dual_and_b32 v33, 0xffff0000, v33
	s_delay_alu instid0(VALU_DEP_2) | instskip(NEXT) | instid1(VALU_DEP_4)
	v_fmac_f32_e32 v21, v69, v16
	v_dual_fmac_f32 v23, v70, v17 :: v_dual_fmac_f32 v22, v73, v16
	s_delay_alu instid0(VALU_DEP_1) | instskip(SKIP_1) | instid1(VALU_DEP_2)
	v_dual_fmac_f32 v20, v75, v16 :: v_dual_fmac_f32 v23, v30, v15
	v_and_b32_e32 v15, 0xffff0000, v55
	v_fmac_f32_e32 v23, v71, v16
	s_waitcnt vmcnt(1)
	v_lshlrev_b32_e32 v16, 16, v56
	v_and_b32_e32 v35, 0xffff0000, v35
	v_fmac_f32_e32 v21, v29, v15
	v_fmac_f32_e32 v22, v33, v15
	;; [unrolled: 1-line block ×3, first 2 shown]
	s_delay_alu instid0(VALU_DEP_4) | instskip(NEXT) | instid1(VALU_DEP_4)
	v_dual_fmac_f32 v20, v35, v15 :: v_dual_and_b32 v15, 0xffff0000, v56
	v_fmac_f32_e32 v21, v76, v16
	s_delay_alu instid0(VALU_DEP_3) | instskip(SKIP_1) | instid1(VALU_DEP_4)
	v_fmac_f32_e32 v23, v78, v16
	v_fmac_f32_e32 v22, v80, v16
	v_dual_fmac_f32 v20, v82, v16 :: v_dual_and_b32 v41, 0xffff0000, v41
	s_delay_alu instid0(VALU_DEP_4) | instskip(NEXT) | instid1(VALU_DEP_4)
	v_dual_fmac_f32 v21, v36, v15 :: v_dual_lshlrev_b32 v16, 16, v57
	v_fmac_f32_e32 v23, v38, v15
	s_delay_alu instid0(VALU_DEP_3) | instskip(SKIP_1) | instid1(VALU_DEP_4)
	v_fmac_f32_e32 v20, v42, v15
	v_dual_fmac_f32 v22, v40, v15 :: v_dual_and_b32 v15, 0xffff0000, v57
	v_fmac_f32_e32 v21, v77, v16
	s_delay_alu instid0(VALU_DEP_3) | instskip(NEXT) | instid1(VALU_DEP_3)
	v_fmac_f32_e32 v20, v83, v16
	v_fmac_f32_e32 v22, v81, v16
	s_waitcnt vmcnt(0)
	v_dual_fmac_f32 v23, v79, v16 :: v_dual_lshlrev_b32 v16, 16, v58
	v_and_b32_e32 v43, 0xffff0000, v43
	v_fmac_f32_e32 v21, v37, v15
	v_fmac_f32_e32 v22, v41, v15
	s_delay_alu instid0(VALU_DEP_4) | instskip(NEXT) | instid1(VALU_DEP_4)
	v_fmac_f32_e32 v23, v39, v15
	v_dual_fmac_f32 v20, v43, v15 :: v_dual_and_b32 v15, 0xffff0000, v58
	s_delay_alu instid0(VALU_DEP_4) | instskip(NEXT) | instid1(VALU_DEP_3)
	v_fmac_f32_e32 v21, v84, v16
	v_fmac_f32_e32 v23, v86, v16
	;; [unrolled: 1-line block ×3, first 2 shown]
	s_delay_alu instid0(VALU_DEP_4) | instskip(SKIP_3) | instid1(VALU_DEP_4)
	v_dual_fmac_f32 v20, v90, v16 :: v_dual_and_b32 v49, 0xffff0000, v49
	v_lshlrev_b32_e32 v16, 16, v59
	v_fmac_f32_e32 v21, v44, v15
	v_fmac_f32_e32 v23, v46, v15
	;; [unrolled: 1-line block ×4, first 2 shown]
	v_and_b32_e32 v15, 0xffff0000, v59
	v_fmac_f32_e32 v21, v85, v16
	s_delay_alu instid0(VALU_DEP_4) | instskip(NEXT) | instid1(VALU_DEP_4)
	v_fmac_f32_e32 v20, v91, v16
	v_fmac_f32_e32 v22, v89, v16
	;; [unrolled: 1-line block ×3, first 2 shown]
	s_delay_alu instid0(VALU_DEP_4) | instskip(NEXT) | instid1(VALU_DEP_4)
	v_fmac_f32_e32 v21, v45, v15
	v_fmac_f32_e32 v20, v51, v15
	s_delay_alu instid0(VALU_DEP_4) | instskip(NEXT) | instid1(VALU_DEP_4)
	v_fmac_f32_e32 v22, v49, v15
	v_fmac_f32_e32 v23, v47, v15
	s_and_not1_b32 exec_lo, exec_lo, s10
	s_cbranch_execnz .LBB111_21
; %bb.22:
	s_or_b32 exec_lo, exec_lo, s10
.LBB111_23:
	s_delay_alu instid0(SALU_CYCLE_1)
	s_or_b32 exec_lo, exec_lo, s7
.LBB111_24:
	s_delay_alu instid0(SALU_CYCLE_1) | instskip(NEXT) | instid1(SALU_CYCLE_1)
	s_or_b32 exec_lo, exec_lo, s6
	s_and_not1_b32 vcc_lo, exec_lo, s3
	s_cbranch_vccz .LBB111_26
	s_branch .LBB111_37
.LBB111_25:
                                        ; implicit-def: $vgpr20
                                        ; implicit-def: $vgpr22
                                        ; implicit-def: $vgpr23
                                        ; implicit-def: $vgpr21
.LBB111_26:
	v_dual_mov_b32 v20, 0 :: v_dual_mov_b32 v23, 0
	v_dual_mov_b32 v22, 0 :: v_dual_mov_b32 v21, 0
	s_delay_alu instid0(VALU_DEP_4)
	s_and_saveexec_b32 s3, s2
	s_cbranch_execz .LBB111_36
; %bb.27:
	v_or_b32_e32 v9, 8, v19
	v_mov_b32_e32 v21, 0
	v_dual_mov_b32 v23, 0 :: v_dual_mov_b32 v22, 0
	v_mov_b32_e32 v20, 0
	s_delay_alu instid0(VALU_DEP_4) | instskip(NEXT) | instid1(VALU_DEP_1)
	v_sub_co_u32 v9, s2, v9, s18
	v_sub_co_ci_u32_e64 v10, null, 0, 0, s2
	v_sub_co_u32 v11, s2, s18, v19
	s_delay_alu instid0(VALU_DEP_3) | instskip(NEXT) | instid1(VALU_DEP_3)
	v_add_co_u32 v9, vcc_lo, v9, v7
	v_add_co_ci_u32_e32 v10, vcc_lo, v10, v8, vcc_lo
	v_not_b32_e32 v7, v7
	v_not_b32_e32 v8, v8
	v_sub_co_ci_u32_e64 v12, null, 0, 0, s2
	s_delay_alu instid0(VALU_DEP_4) | instskip(SKIP_4) | instid1(VALU_DEP_2)
	v_cmp_gt_i64_e32 vcc_lo, v[9:10], v[2:3]
	s_mov_b32 s2, exec_lo
	v_dual_cndmask_b32 v10, v3, v10 :: v_dual_cndmask_b32 v9, v2, v9
	v_add_co_u32 v7, vcc_lo, v11, v7
	v_add_co_ci_u32_e32 v8, vcc_lo, v12, v8, vcc_lo
	v_add_co_u32 v7, vcc_lo, v7, v9
	s_delay_alu instid0(VALU_DEP_2) | instskip(NEXT) | instid1(VALU_DEP_2)
	v_add_co_ci_u32_e32 v8, vcc_lo, v8, v10, vcc_lo
	v_lshrrev_b32_e32 v9, 3, v7
	s_delay_alu instid0(VALU_DEP_1) | instskip(NEXT) | instid1(VALU_DEP_1)
	v_add_nc_u32_e32 v9, 1, v9
	v_and_b32_e32 v9, 3, v9
	s_delay_alu instid0(VALU_DEP_1)
	v_cmpx_ne_u32_e32 0, v9
	s_cbranch_execz .LBB111_31
; %bb.28:
	v_lshlrev_b64 v[11:12], 2, v[0:1]
	v_dual_mov_b32 v10, 0 :: v_dual_lshlrev_b32 v9, 3, v9
	s_mov_b32 s6, 0
	s_delay_alu instid0(VALU_DEP_1) | instskip(NEXT) | instid1(VALU_DEP_3)
	v_mov_b32_e32 v20, v10
	v_add_co_u32 v11, vcc_lo, s8, v11
	s_delay_alu instid0(VALU_DEP_4)
	v_add_co_ci_u32_e32 v12, vcc_lo, s9, v12, vcc_lo
	v_mov_b32_e32 v22, v10
	v_mov_b32_e32 v23, v10
	;; [unrolled: 1-line block ×3, first 2 shown]
.LBB111_29:                             ; =>This Inner Loop Header: Depth=1
	global_load_b32 v17, v[11:12], off
	global_load_b128 v[13:16], v[5:6], off
	s_waitcnt vmcnt(1)
	v_subrev_nc_u32_e32 v17, s18, v17
	s_waitcnt vmcnt(0)
	v_lshlrev_b32_e32 v31, 16, v16
	v_lshlrev_b32_e32 v29, 16, v14
	s_delay_alu instid0(VALU_DEP_3) | instskip(NEXT) | instid1(VALU_DEP_1)
	v_lshlrev_b32_e32 v17, 2, v17
	v_ashrrev_i32_e32 v18, 31, v17
	s_delay_alu instid0(VALU_DEP_1) | instskip(SKIP_1) | instid1(VALU_DEP_1)
	v_lshlrev_b64 v[17:18], 1, v[17:18]
	s_waitcnt lgkmcnt(0)
	v_add_co_u32 v17, vcc_lo, s4, v17
	s_delay_alu instid0(VALU_DEP_2)
	v_add_co_ci_u32_e32 v18, vcc_lo, s5, v18, vcc_lo
	global_load_b64 v[17:18], v[17:18], off
	global_load_b128 v[24:27], v[5:6], off offset:16
	v_add_co_u32 v5, vcc_lo, 0x100, v5
	v_add_co_ci_u32_e32 v6, vcc_lo, 0, v6, vcc_lo
	v_add_co_u32 v0, vcc_lo, v0, 8
	v_add_co_ci_u32_e32 v1, vcc_lo, 0, v1, vcc_lo
	v_add_co_u32 v11, vcc_lo, v11, 32
	v_add_co_ci_u32_e32 v12, vcc_lo, 0, v12, vcc_lo
	v_add_co_u32 v9, vcc_lo, v9, -8
	v_add_co_ci_u32_e32 v10, vcc_lo, -1, v10, vcc_lo
	s_delay_alu instid0(VALU_DEP_1)
	v_cmp_eq_u64_e32 vcc_lo, 0, v[9:10]
	s_or_b32 s6, vcc_lo, s6
	s_waitcnt vmcnt(0)
	v_lshlrev_b32_e32 v34, 16, v26
	v_lshlrev_b32_e32 v36, 16, v17
	;; [unrolled: 1-line block ×3, first 2 shown]
	v_and_b32_e32 v14, 0xffff0000, v14
	v_and_b32_e32 v13, 0xffff0000, v13
	;; [unrolled: 1-line block ×4, first 2 shown]
	s_delay_alu instid0(VALU_DEP_4) | instskip(NEXT) | instid1(VALU_DEP_4)
	v_fmac_f32_e32 v20, v14, v36
	v_dual_fmac_f32 v23, v13, v36 :: v_dual_lshlrev_b32 v30, 16, v15
	v_fmac_f32_e32 v21, v28, v36
	v_and_b32_e32 v16, 0xffff0000, v16
	v_and_b32_e32 v15, 0xffff0000, v15
	v_lshlrev_b32_e32 v13, 16, v18
	v_and_b32_e32 v14, 0xffff0000, v18
	s_delay_alu instid0(VALU_DEP_4) | instskip(NEXT) | instid1(VALU_DEP_4)
	v_fmac_f32_e32 v20, v16, v17
	v_dual_fmac_f32 v23, v15, v17 :: v_dual_lshlrev_b32 v32, 16, v24
	v_dual_fmac_f32 v21, v30, v17 :: v_dual_and_b32 v24, 0xffff0000, v24
	v_lshlrev_b32_e32 v35, 16, v27
	v_lshlrev_b32_e32 v33, 16, v25
	v_and_b32_e32 v27, 0xffff0000, v27
	v_and_b32_e32 v25, 0xffff0000, v25
	v_fmac_f32_e32 v23, v24, v13
	v_fmac_f32_e32 v21, v32, v13
	s_delay_alu instid0(VALU_DEP_2) | instskip(NEXT) | instid1(VALU_DEP_2)
	v_dual_fmac_f32 v20, v25, v13 :: v_dual_fmac_f32 v23, v26, v14
	v_dual_fmac_f32 v21, v34, v14 :: v_dual_fmac_f32 v22, v29, v36
	s_delay_alu instid0(VALU_DEP_2) | instskip(NEXT) | instid1(VALU_DEP_2)
	v_fmac_f32_e32 v20, v27, v14
	v_fmac_f32_e32 v22, v31, v17
	s_delay_alu instid0(VALU_DEP_1) | instskip(NEXT) | instid1(VALU_DEP_1)
	v_fmac_f32_e32 v22, v33, v13
	v_fmac_f32_e32 v22, v35, v14
	s_and_not1_b32 exec_lo, exec_lo, s6
	s_cbranch_execnz .LBB111_29
; %bb.30:
	s_or_b32 exec_lo, exec_lo, s6
.LBB111_31:
	s_delay_alu instid0(SALU_CYCLE_1) | instskip(NEXT) | instid1(SALU_CYCLE_1)
	s_or_b32 exec_lo, exec_lo, s2
	s_mov_b32 s2, exec_lo
	v_cmpx_lt_u64_e32 23, v[7:8]
	s_cbranch_execz .LBB111_35
; %bb.32:
	v_lshlrev_b64 v[7:8], 2, v[0:1]
	s_mov_b32 s6, 0
	s_delay_alu instid0(VALU_DEP_1) | instskip(NEXT) | instid1(VALU_DEP_2)
	v_add_co_u32 v7, vcc_lo, v7, s8
	v_add_co_ci_u32_e32 v8, vcc_lo, s9, v8, vcc_lo
	s_delay_alu instid0(VALU_DEP_2) | instskip(NEXT) | instid1(VALU_DEP_2)
	v_add_co_u32 v7, vcc_lo, v7, 64
	v_add_co_ci_u32_e32 v8, vcc_lo, 0, v8, vcc_lo
.LBB111_33:                             ; =>This Inner Loop Header: Depth=1
	s_clause 0x3
	global_load_b32 v17, v[7:8], off offset:-64
	global_load_b32 v18, v[7:8], off offset:-32
	global_load_b32 v44, v[7:8], off
	global_load_b32 v45, v[7:8], off offset:32
	s_clause 0x6
	global_load_b128 v[9:12], v[5:6], off
	global_load_b128 v[13:16], v[5:6], off offset:16
	global_load_b128 v[24:27], v[5:6], off offset:256
	;; [unrolled: 1-line block ×6, first 2 shown]
	s_waitcnt vmcnt(10)
	v_subrev_nc_u32_e32 v17, s18, v17
	s_waitcnt vmcnt(9)
	v_subrev_nc_u32_e32 v18, s18, v18
	;; [unrolled: 2-line block ×4, first 2 shown]
	s_waitcnt vmcnt(6)
	v_lshlrev_b32_e32 v54, 16, v9
	s_waitcnt vmcnt(5)
	v_lshlrev_b32_e32 v59, 16, v14
	v_lshlrev_b32_e32 v57, 16, v12
	;; [unrolled: 1-line block ×4, first 2 shown]
	s_waitcnt vmcnt(4)
	v_lshlrev_b32_e32 v65, 16, v27
	v_lshlrev_b32_e32 v63, 16, v25
	;; [unrolled: 1-line block ×3, first 2 shown]
	s_waitcnt vmcnt(0)
	v_lshlrev_b32_e32 v80, 16, v42
	v_lshlrev_b32_e32 v78, 16, v40
	v_and_b32_e32 v42, 0xffff0000, v42
	v_and_b32_e32 v40, 0xffff0000, v40
	v_lshlrev_b32_e32 v76, 16, v38
	v_lshlrev_b32_e32 v74, 16, v36
	v_and_b32_e32 v38, 0xffff0000, v38
	v_and_b32_e32 v36, 0xffff0000, v36
	;; [unrolled: 4-line block ×4, first 2 shown]
	v_lshlrev_b32_e32 v64, 16, v26
	v_and_b32_e32 v16, 0xffff0000, v16
	v_and_b32_e32 v26, 0xffff0000, v26
	v_lshlrev_b32_e32 v62, 16, v24
	v_and_b32_e32 v24, 0xffff0000, v24
	v_lshlrev_b32_e32 v60, 16, v15
	;; [unrolled: 2-line block ×4, first 2 shown]
	v_lshlrev_b32_e32 v44, 2, v18
	v_ashrrev_i32_e32 v18, 31, v17
	v_and_b32_e32 v12, 0xffff0000, v12
	v_and_b32_e32 v11, 0xffff0000, v11
	v_lshlrev_b32_e32 v46, 2, v46
	v_lshlrev_b32_e32 v48, 2, v45
	v_ashrrev_i32_e32 v45, 31, v44
	v_lshlrev_b64 v[17:18], 1, v[17:18]
	v_and_b32_e32 v10, 0xffff0000, v10
	v_ashrrev_i32_e32 v47, 31, v46
	v_ashrrev_i32_e32 v49, 31, v48
	v_lshlrev_b64 v[44:45], 1, v[44:45]
	v_and_b32_e32 v14, 0xffff0000, v14
	s_waitcnt lgkmcnt(0)
	v_add_co_u32 v17, vcc_lo, s4, v17
	v_lshlrev_b64 v[46:47], 1, v[46:47]
	v_add_co_ci_u32_e32 v18, vcc_lo, s5, v18, vcc_lo
	v_lshlrev_b64 v[48:49], 1, v[48:49]
	v_add_co_u32 v44, vcc_lo, s4, v44
	v_add_co_ci_u32_e32 v45, vcc_lo, s5, v45, vcc_lo
	v_add_co_u32 v46, vcc_lo, s4, v46
	v_add_co_ci_u32_e32 v47, vcc_lo, s5, v47, vcc_lo
	;; [unrolled: 2-line block ×3, first 2 shown]
	s_clause 0x3
	global_load_b64 v[17:18], v[17:18], off
	global_load_b64 v[50:51], v[44:45], off
	;; [unrolled: 1-line block ×4, first 2 shown]
	global_load_b128 v[44:47], v[5:6], off offset:784
	v_lshlrev_b32_e32 v69, 16, v31
	v_lshlrev_b32_e32 v67, 16, v29
	v_and_b32_e32 v27, 0xffff0000, v27
	v_lshlrev_b32_e32 v73, 16, v35
	v_lshlrev_b32_e32 v71, 16, v33
	v_and_b32_e32 v31, 0xffff0000, v31
	;; [unrolled: 3-line block ×4, first 2 shown]
	v_add_co_u32 v5, vcc_lo, 0x400, v5
	v_add_co_ci_u32_e32 v6, vcc_lo, 0, v6, vcc_lo
	v_add_co_u32 v0, vcc_lo, v0, 32
	v_add_co_ci_u32_e32 v1, vcc_lo, 0, v1, vcc_lo
	;; [unrolled: 2-line block ×3, first 2 shown]
	s_delay_alu instid0(VALU_DEP_3)
	v_cmp_ge_i64_e32 vcc_lo, v[0:1], v[2:3]
	s_or_b32 s6, vcc_lo, s6
	s_waitcnt vmcnt(4)
	v_lshlrev_b32_e32 v86, 16, v17
	v_and_b32_e32 v9, 0xffff0000, v9
	v_and_b32_e32 v17, 0xffff0000, v17
	s_waitcnt vmcnt(0)
	s_delay_alu instid0(VALU_DEP_3) | instskip(SKIP_3) | instid1(VALU_DEP_4)
	v_dual_fmac_f32 v22, v55, v86 :: v_dual_lshlrev_b32 v85, 16, v47
	v_fmac_f32_e32 v20, v10, v86
	v_fmac_f32_e32 v23, v9, v86
	v_lshlrev_b32_e32 v9, 16, v18
	v_dual_fmac_f32 v21, v54, v86 :: v_dual_fmac_f32 v22, v57, v17
	s_delay_alu instid0(VALU_DEP_4) | instskip(NEXT) | instid1(VALU_DEP_4)
	v_fmac_f32_e32 v20, v12, v17
	v_dual_fmac_f32 v23, v11, v17 :: v_dual_and_b32 v10, 0xffff0000, v18
	v_lshlrev_b32_e32 v83, 16, v45
	s_delay_alu instid0(VALU_DEP_3)
	v_dual_fmac_f32 v20, v14, v9 :: v_dual_and_b32 v43, 0xffff0000, v43
	v_fmac_f32_e32 v22, v59, v9
	v_lshlrev_b32_e32 v84, 16, v46
	v_lshlrev_b32_e32 v82, 16, v44
	v_and_b32_e32 v46, 0xffff0000, v46
	v_fmac_f32_e32 v20, v16, v10
	v_fmac_f32_e32 v22, v61, v10
	;; [unrolled: 1-line block ×3, first 2 shown]
	v_dual_fmac_f32 v21, v56, v17 :: v_dual_and_b32 v44, 0xffff0000, v44
	v_and_b32_e32 v47, 0xffff0000, v47
	s_delay_alu instid0(VALU_DEP_3) | instskip(NEXT) | instid1(VALU_DEP_3)
	v_fmac_f32_e32 v23, v15, v10
	v_fmac_f32_e32 v21, v58, v9
	v_lshlrev_b32_e32 v9, 16, v50
	s_delay_alu instid0(VALU_DEP_1) | instskip(NEXT) | instid1(VALU_DEP_3)
	v_fmac_f32_e32 v23, v24, v9
	v_fmac_f32_e32 v21, v60, v10
	v_and_b32_e32 v10, 0xffff0000, v50
	v_and_b32_e32 v25, 0xffff0000, v25
	s_delay_alu instid0(VALU_DEP_2) | instskip(NEXT) | instid1(VALU_DEP_4)
	v_dual_fmac_f32 v22, v63, v9 :: v_dual_fmac_f32 v23, v26, v10
	v_fmac_f32_e32 v21, v62, v9
	s_delay_alu instid0(VALU_DEP_3) | instskip(NEXT) | instid1(VALU_DEP_1)
	v_dual_fmac_f32 v20, v25, v9 :: v_dual_lshlrev_b32 v9, 16, v51
	v_dual_fmac_f32 v22, v65, v10 :: v_dual_fmac_f32 v23, v28, v9
	s_delay_alu instid0(VALU_DEP_1) | instskip(NEXT) | instid1(VALU_DEP_3)
	v_dual_fmac_f32 v21, v64, v10 :: v_dual_fmac_f32 v22, v67, v9
	v_fmac_f32_e32 v20, v27, v10
	v_and_b32_e32 v10, 0xffff0000, v51
	v_and_b32_e32 v29, 0xffff0000, v29
	s_delay_alu instid0(VALU_DEP_4) | instskip(NEXT) | instid1(VALU_DEP_2)
	v_fmac_f32_e32 v21, v66, v9
	v_dual_fmac_f32 v23, v30, v10 :: v_dual_fmac_f32 v20, v29, v9
	v_dual_fmac_f32 v22, v69, v10 :: v_dual_lshlrev_b32 v9, 16, v52
	s_delay_alu instid0(VALU_DEP_1) | instskip(NEXT) | instid1(VALU_DEP_2)
	v_fmac_f32_e32 v23, v32, v9
	v_dual_fmac_f32 v21, v68, v10 :: v_dual_fmac_f32 v22, v71, v9
	s_delay_alu instid0(VALU_DEP_4) | instskip(SKIP_2) | instid1(VALU_DEP_4)
	v_fmac_f32_e32 v20, v31, v10
	v_and_b32_e32 v10, 0xffff0000, v52
	v_and_b32_e32 v33, 0xffff0000, v33
	v_fmac_f32_e32 v21, v70, v9
	s_delay_alu instid0(VALU_DEP_2) | instskip(SKIP_1) | instid1(VALU_DEP_1)
	v_dual_fmac_f32 v23, v34, v10 :: v_dual_fmac_f32 v20, v33, v9
	v_dual_fmac_f32 v22, v73, v10 :: v_dual_lshlrev_b32 v9, 16, v53
	v_fmac_f32_e32 v23, v36, v9
	s_delay_alu instid0(VALU_DEP_2) | instskip(NEXT) | instid1(VALU_DEP_4)
	v_dual_fmac_f32 v21, v72, v10 :: v_dual_fmac_f32 v22, v75, v9
	v_fmac_f32_e32 v20, v35, v10
	v_and_b32_e32 v10, 0xffff0000, v53
	v_and_b32_e32 v37, 0xffff0000, v37
	s_delay_alu instid0(VALU_DEP_4) | instskip(NEXT) | instid1(VALU_DEP_2)
	v_fmac_f32_e32 v21, v74, v9
	v_dual_fmac_f32 v23, v38, v10 :: v_dual_fmac_f32 v20, v37, v9
	v_dual_fmac_f32 v22, v77, v10 :: v_dual_lshlrev_b32 v9, 16, v48
	s_delay_alu instid0(VALU_DEP_1) | instskip(NEXT) | instid1(VALU_DEP_2)
	v_fmac_f32_e32 v23, v40, v9
	v_dual_fmac_f32 v21, v76, v10 :: v_dual_fmac_f32 v22, v79, v9
	s_delay_alu instid0(VALU_DEP_4) | instskip(SKIP_2) | instid1(VALU_DEP_4)
	v_fmac_f32_e32 v20, v39, v10
	v_and_b32_e32 v10, 0xffff0000, v48
	v_and_b32_e32 v41, 0xffff0000, v41
	v_fmac_f32_e32 v21, v78, v9
	s_delay_alu instid0(VALU_DEP_2) | instskip(SKIP_1) | instid1(VALU_DEP_1)
	v_dual_fmac_f32 v23, v42, v10 :: v_dual_fmac_f32 v20, v41, v9
	v_dual_fmac_f32 v22, v81, v10 :: v_dual_lshlrev_b32 v9, 16, v49
	v_fmac_f32_e32 v23, v44, v9
	s_delay_alu instid0(VALU_DEP_2) | instskip(NEXT) | instid1(VALU_DEP_4)
	v_dual_fmac_f32 v21, v80, v10 :: v_dual_fmac_f32 v22, v83, v9
	v_fmac_f32_e32 v20, v43, v10
	v_and_b32_e32 v10, 0xffff0000, v49
	v_and_b32_e32 v45, 0xffff0000, v45
	s_delay_alu instid0(VALU_DEP_4) | instskip(NEXT) | instid1(VALU_DEP_2)
	v_fmac_f32_e32 v21, v82, v9
	v_dual_fmac_f32 v23, v46, v10 :: v_dual_fmac_f32 v20, v45, v9
	s_delay_alu instid0(VALU_DEP_2) | instskip(SKIP_1) | instid1(VALU_DEP_3)
	v_fmac_f32_e32 v21, v84, v10
	v_fmac_f32_e32 v22, v85, v10
	;; [unrolled: 1-line block ×3, first 2 shown]
	s_and_not1_b32 exec_lo, exec_lo, s6
	s_cbranch_execnz .LBB111_33
; %bb.34:
	s_or_b32 exec_lo, exec_lo, s6
.LBB111_35:
	s_delay_alu instid0(SALU_CYCLE_1)
	s_or_b32 exec_lo, exec_lo, s2
.LBB111_36:
	s_delay_alu instid0(SALU_CYCLE_1)
	s_or_b32 exec_lo, exec_lo, s3
.LBB111_37:
	v_mbcnt_lo_u32_b32 v0, -1, 0
	s_mov_b32 s2, -1
	s_delay_alu instid0(VALU_DEP_1) | instskip(SKIP_2) | instid1(VALU_DEP_3)
	v_xor_b32_e32 v1, 4, v0
	v_xor_b32_e32 v6, 2, v0
	;; [unrolled: 1-line block ×3, first 2 shown]
	v_cmp_gt_i32_e32 vcc_lo, 32, v1
	v_cndmask_b32_e32 v1, v0, v1, vcc_lo
	s_delay_alu instid0(VALU_DEP_4) | instskip(SKIP_2) | instid1(VALU_DEP_2)
	v_cmp_gt_i32_e32 vcc_lo, 32, v6
	v_cndmask_b32_e32 v6, v0, v6, vcc_lo
	v_cmp_gt_i32_e32 vcc_lo, 32, v10
	v_lshlrev_b32_e32 v6, 2, v6
	v_dual_cndmask_b32 v0, v0, v10 :: v_dual_lshlrev_b32 v1, 2, v1
	v_cmp_eq_u32_e32 vcc_lo, 7, v19
	ds_bpermute_b32 v2, v1, v21
	v_lshlrev_b32_e32 v10, 2, v0
	s_waitcnt lgkmcnt(0)
	v_add_f32_e32 v2, v21, v2
	ds_bpermute_b32 v3, v1, v23
	ds_bpermute_b32 v5, v1, v22
	;; [unrolled: 1-line block ×3, first 2 shown]
	s_waitcnt lgkmcnt(2)
	v_add_f32_e32 v3, v23, v3
	s_waitcnt lgkmcnt(1)
	v_add_f32_e32 v5, v22, v5
	;; [unrolled: 2-line block ×3, first 2 shown]
	ds_bpermute_b32 v1, v6, v2
	ds_bpermute_b32 v8, v6, v3
	;; [unrolled: 1-line block ×4, first 2 shown]
	s_waitcnt lgkmcnt(2)
	v_dual_add_f32 v0, v2, v1 :: v_dual_add_f32 v1, v3, v8
	s_waitcnt lgkmcnt(0)
	v_dual_add_f32 v2, v5, v9 :: v_dual_add_f32 v3, v7, v6
	ds_bpermute_b32 v5, v10, v0
	ds_bpermute_b32 v6, v10, v1
	;; [unrolled: 1-line block ×4, first 2 shown]
	s_and_b32 exec_lo, exec_lo, vcc_lo
	s_cbranch_execz .LBB111_10
; %bb.38:
	s_load_b64 s[0:1], s[0:1], 0x50
	s_waitcnt lgkmcnt(0)
	v_dual_add_f32 v0, v0, v5 :: v_dual_add_f32 v1, v1, v6
	v_dual_add_f32 v2, v2, v7 :: v_dual_add_f32 v3, v3, v8
	v_cmp_eq_f32_e64 s3, s12, 0
	s_delay_alu instid0(VALU_DEP_3) | instskip(NEXT) | instid1(VALU_DEP_3)
	v_dual_mul_f32 v0, s16, v0 :: v_dual_mul_f32 v1, s16, v1
	v_dual_mul_f32 v2, s16, v2 :: v_dual_mul_f32 v3, s16, v3
	v_lshlrev_b32_e32 v4, 2, v4
	s_delay_alu instid0(VALU_DEP_4)
	s_and_b32 vcc_lo, exec_lo, s3
	s_cbranch_vccz .LBB111_40
; %bb.39:
	s_delay_alu instid0(VALU_DEP_1) | instskip(SKIP_1) | instid1(VALU_DEP_1)
	v_ashrrev_i32_e32 v5, 31, v4
	s_mov_b32 s2, 0
	v_lshlrev_b64 v[5:6], 2, v[4:5]
	s_delay_alu instid0(VALU_DEP_1) | instskip(NEXT) | instid1(VALU_DEP_2)
	v_add_co_u32 v5, vcc_lo, s0, v5
	v_add_co_ci_u32_e32 v6, vcc_lo, s1, v6, vcc_lo
	global_store_b128 v[5:6], v[0:3], off
.LBB111_40:
	s_and_not1_b32 vcc_lo, exec_lo, s2
	s_cbranch_vccnz .LBB111_10
; %bb.41:
	v_ashrrev_i32_e32 v5, 31, v4
	s_delay_alu instid0(VALU_DEP_1) | instskip(NEXT) | instid1(VALU_DEP_1)
	v_lshlrev_b64 v[4:5], 2, v[4:5]
	v_add_co_u32 v8, vcc_lo, s0, v4
	s_delay_alu instid0(VALU_DEP_2)
	v_add_co_ci_u32_e32 v9, vcc_lo, s1, v5, vcc_lo
	global_load_b128 v[4:7], v[8:9], off
	s_waitcnt vmcnt(0)
	v_dual_fmac_f32 v0, s12, v4 :: v_dual_fmac_f32 v1, s12, v5
	v_dual_fmac_f32 v2, s12, v6 :: v_dual_fmac_f32 v3, s12, v7
	global_store_b128 v[8:9], v[0:3], off
	s_nop 0
	s_sendmsg sendmsg(MSG_DEALLOC_VGPRS)
	s_endpgm
	.section	.rodata,"a",@progbits
	.p2align	6, 0x0
	.amdhsa_kernel _ZN9rocsparseL18bsrxmvn_4x4_kernelILj128ELj8Efli18rocsparse_bfloat16S1_fEEvT3_20rocsparse_direction_NS_24const_host_device_scalarIT1_EES2_PKS2_PKT2_SB_S8_PKT4_PKT5_S6_PT6_21rocsparse_index_base_b
		.amdhsa_group_segment_fixed_size 0
		.amdhsa_private_segment_fixed_size 0
		.amdhsa_kernarg_size 96
		.amdhsa_user_sgpr_count 15
		.amdhsa_user_sgpr_dispatch_ptr 0
		.amdhsa_user_sgpr_queue_ptr 0
		.amdhsa_user_sgpr_kernarg_segment_ptr 1
		.amdhsa_user_sgpr_dispatch_id 0
		.amdhsa_user_sgpr_private_segment_size 0
		.amdhsa_wavefront_size32 1
		.amdhsa_uses_dynamic_stack 0
		.amdhsa_enable_private_segment 0
		.amdhsa_system_sgpr_workgroup_id_x 1
		.amdhsa_system_sgpr_workgroup_id_y 0
		.amdhsa_system_sgpr_workgroup_id_z 0
		.amdhsa_system_sgpr_workgroup_info 0
		.amdhsa_system_vgpr_workitem_id 0
		.amdhsa_next_free_vgpr 93
		.amdhsa_next_free_sgpr 20
		.amdhsa_reserve_vcc 1
		.amdhsa_float_round_mode_32 0
		.amdhsa_float_round_mode_16_64 0
		.amdhsa_float_denorm_mode_32 3
		.amdhsa_float_denorm_mode_16_64 3
		.amdhsa_dx10_clamp 1
		.amdhsa_ieee_mode 1
		.amdhsa_fp16_overflow 0
		.amdhsa_workgroup_processor_mode 1
		.amdhsa_memory_ordered 1
		.amdhsa_forward_progress 0
		.amdhsa_shared_vgpr_count 0
		.amdhsa_exception_fp_ieee_invalid_op 0
		.amdhsa_exception_fp_denorm_src 0
		.amdhsa_exception_fp_ieee_div_zero 0
		.amdhsa_exception_fp_ieee_overflow 0
		.amdhsa_exception_fp_ieee_underflow 0
		.amdhsa_exception_fp_ieee_inexact 0
		.amdhsa_exception_int_div_zero 0
	.end_amdhsa_kernel
	.section	.text._ZN9rocsparseL18bsrxmvn_4x4_kernelILj128ELj8Efli18rocsparse_bfloat16S1_fEEvT3_20rocsparse_direction_NS_24const_host_device_scalarIT1_EES2_PKS2_PKT2_SB_S8_PKT4_PKT5_S6_PT6_21rocsparse_index_base_b,"axG",@progbits,_ZN9rocsparseL18bsrxmvn_4x4_kernelILj128ELj8Efli18rocsparse_bfloat16S1_fEEvT3_20rocsparse_direction_NS_24const_host_device_scalarIT1_EES2_PKS2_PKT2_SB_S8_PKT4_PKT5_S6_PT6_21rocsparse_index_base_b,comdat
.Lfunc_end111:
	.size	_ZN9rocsparseL18bsrxmvn_4x4_kernelILj128ELj8Efli18rocsparse_bfloat16S1_fEEvT3_20rocsparse_direction_NS_24const_host_device_scalarIT1_EES2_PKS2_PKT2_SB_S8_PKT4_PKT5_S6_PT6_21rocsparse_index_base_b, .Lfunc_end111-_ZN9rocsparseL18bsrxmvn_4x4_kernelILj128ELj8Efli18rocsparse_bfloat16S1_fEEvT3_20rocsparse_direction_NS_24const_host_device_scalarIT1_EES2_PKS2_PKT2_SB_S8_PKT4_PKT5_S6_PT6_21rocsparse_index_base_b
                                        ; -- End function
	.section	.AMDGPU.csdata,"",@progbits
; Kernel info:
; codeLenInByte = 4808
; NumSgprs: 22
; NumVgprs: 93
; ScratchSize: 0
; MemoryBound: 0
; FloatMode: 240
; IeeeMode: 1
; LDSByteSize: 0 bytes/workgroup (compile time only)
; SGPRBlocks: 2
; VGPRBlocks: 11
; NumSGPRsForWavesPerEU: 22
; NumVGPRsForWavesPerEU: 93
; Occupancy: 16
; WaveLimiterHint : 1
; COMPUTE_PGM_RSRC2:SCRATCH_EN: 0
; COMPUTE_PGM_RSRC2:USER_SGPR: 15
; COMPUTE_PGM_RSRC2:TRAP_HANDLER: 0
; COMPUTE_PGM_RSRC2:TGID_X_EN: 1
; COMPUTE_PGM_RSRC2:TGID_Y_EN: 0
; COMPUTE_PGM_RSRC2:TGID_Z_EN: 0
; COMPUTE_PGM_RSRC2:TIDIG_COMP_CNT: 0
	.section	.text._ZN9rocsparseL18bsrxmvn_4x4_kernelILj128ELj16Efli18rocsparse_bfloat16S1_fEEvT3_20rocsparse_direction_NS_24const_host_device_scalarIT1_EES2_PKS2_PKT2_SB_S8_PKT4_PKT5_S6_PT6_21rocsparse_index_base_b,"axG",@progbits,_ZN9rocsparseL18bsrxmvn_4x4_kernelILj128ELj16Efli18rocsparse_bfloat16S1_fEEvT3_20rocsparse_direction_NS_24const_host_device_scalarIT1_EES2_PKS2_PKT2_SB_S8_PKT4_PKT5_S6_PT6_21rocsparse_index_base_b,comdat
	.globl	_ZN9rocsparseL18bsrxmvn_4x4_kernelILj128ELj16Efli18rocsparse_bfloat16S1_fEEvT3_20rocsparse_direction_NS_24const_host_device_scalarIT1_EES2_PKS2_PKT2_SB_S8_PKT4_PKT5_S6_PT6_21rocsparse_index_base_b ; -- Begin function _ZN9rocsparseL18bsrxmvn_4x4_kernelILj128ELj16Efli18rocsparse_bfloat16S1_fEEvT3_20rocsparse_direction_NS_24const_host_device_scalarIT1_EES2_PKS2_PKT2_SB_S8_PKT4_PKT5_S6_PT6_21rocsparse_index_base_b
	.p2align	8
	.type	_ZN9rocsparseL18bsrxmvn_4x4_kernelILj128ELj16Efli18rocsparse_bfloat16S1_fEEvT3_20rocsparse_direction_NS_24const_host_device_scalarIT1_EES2_PKS2_PKT2_SB_S8_PKT4_PKT5_S6_PT6_21rocsparse_index_base_b,@function
_ZN9rocsparseL18bsrxmvn_4x4_kernelILj128ELj16Efli18rocsparse_bfloat16S1_fEEvT3_20rocsparse_direction_NS_24const_host_device_scalarIT1_EES2_PKS2_PKT2_SB_S8_PKT4_PKT5_S6_PT6_21rocsparse_index_base_b: ; @_ZN9rocsparseL18bsrxmvn_4x4_kernelILj128ELj16Efli18rocsparse_bfloat16S1_fEEvT3_20rocsparse_direction_NS_24const_host_device_scalarIT1_EES2_PKS2_PKT2_SB_S8_PKT4_PKT5_S6_PT6_21rocsparse_index_base_b
; %bb.0:
	s_clause 0x2
	s_load_b64 s[18:19], s[0:1], 0x58
	s_load_b64 s[16:17], s[0:1], 0x8
	;; [unrolled: 1-line block ×3, first 2 shown]
	s_waitcnt lgkmcnt(0)
	s_bitcmp1_b32 s19, 0
	s_cselect_b32 s2, -1, 0
	s_delay_alu instid0(SALU_CYCLE_1)
	s_and_b32 vcc_lo, exec_lo, s2
	s_xor_b32 s2, s2, -1
	s_cbranch_vccnz .LBB112_2
; %bb.1:
	s_load_b32 s16, s[16:17], 0x0
.LBB112_2:
	s_and_not1_b32 vcc_lo, exec_lo, s2
	s_cbranch_vccnz .LBB112_4
; %bb.3:
	s_load_b32 s12, s[12:13], 0x0
.LBB112_4:
	s_waitcnt lgkmcnt(0)
	v_cmp_neq_f32_e64 s2, s16, 0
	v_cmp_neq_f32_e64 s3, s12, 1.0
	s_mov_b32 s6, 0
	s_delay_alu instid0(VALU_DEP_1) | instskip(NEXT) | instid1(SALU_CYCLE_1)
	s_or_b32 s2, s2, s3
	s_and_not1_b32 vcc_lo, exec_lo, s2
	s_cbranch_vccnz .LBB112_10
; %bb.5:
	s_clause 0x1
	s_load_b64 s[4:5], s[0:1], 0x18
	s_load_b64 s[2:3], s[0:1], 0x0
	v_lshrrev_b32_e32 v1, 4, v0
	s_delay_alu instid0(VALU_DEP_1)
	v_lshl_or_b32 v4, s15, 3, v1
	s_waitcnt lgkmcnt(0)
	s_cmp_lg_u64 s[4:5], 0
	s_cbranch_scc0 .LBB112_11
; %bb.6:
	s_load_b32 s6, s[0:1], 0x10
	s_mov_b32 s7, 0
                                        ; implicit-def: $vgpr1
	s_waitcnt lgkmcnt(0)
	v_cmp_gt_i32_e32 vcc_lo, s6, v4
	s_mov_b32 s6, 0
	s_and_saveexec_b32 s8, vcc_lo
	s_delay_alu instid0(SALU_CYCLE_1)
	s_xor_b32 s8, exec_lo, s8
	s_cbranch_execz .LBB112_8
; %bb.7:
	v_ashrrev_i32_e32 v5, 31, v4
	s_mov_b32 s6, exec_lo
	s_delay_alu instid0(VALU_DEP_1) | instskip(NEXT) | instid1(VALU_DEP_1)
	v_lshlrev_b64 v[1:2], 2, v[4:5]
	v_add_co_u32 v1, vcc_lo, s4, v1
	s_delay_alu instid0(VALU_DEP_2)
	v_add_co_ci_u32_e32 v2, vcc_lo, s5, v2, vcc_lo
	global_load_b32 v1, v[1:2], off
	s_waitcnt vmcnt(0)
	v_subrev_nc_u32_e32 v1, s18, v1
.LBB112_8:
	s_or_b32 exec_lo, exec_lo, s8
	s_delay_alu instid0(SALU_CYCLE_1)
	s_and_b32 vcc_lo, exec_lo, s7
	s_cbranch_vccz .LBB112_12
.LBB112_9:
	v_cmp_gt_i32_e32 vcc_lo, s2, v4
	s_and_not1_b32 s2, s6, exec_lo
	s_and_b32 s4, vcc_lo, exec_lo
	s_delay_alu instid0(SALU_CYCLE_1) | instskip(NEXT) | instid1(SALU_CYCLE_1)
	s_or_b32 s6, s2, s4
	s_and_saveexec_b32 s2, s6
	s_cbranch_execnz .LBB112_13
.LBB112_10:
	s_nop 0
	s_sendmsg sendmsg(MSG_DEALLOC_VGPRS)
	s_endpgm
.LBB112_11:
                                        ; implicit-def: $vgpr1
	s_cbranch_execnz .LBB112_9
.LBB112_12:
	s_delay_alu instid0(VALU_DEP_1)
	v_mov_b32_e32 v4, v1
	s_and_saveexec_b32 s2, s6
	s_cbranch_execz .LBB112_10
.LBB112_13:
	s_load_b256 s[4:11], s[0:1], 0x20
	s_delay_alu instid0(VALU_DEP_1) | instskip(SKIP_1) | instid1(VALU_DEP_2)
	v_ashrrev_i32_e32 v5, 31, v4
	v_dual_mov_b32 v20, 0 :: v_dual_and_b32 v19, 15, v0
	v_lshlrev_b64 v[1:2], 3, v[4:5]
	s_waitcnt lgkmcnt(0)
	s_delay_alu instid0(VALU_DEP_1) | instskip(NEXT) | instid1(VALU_DEP_2)
	v_add_co_u32 v5, vcc_lo, s4, v1
	v_add_co_ci_u32_e32 v6, vcc_lo, s5, v2, vcc_lo
	v_add_co_u32 v1, vcc_lo, s6, v1
	v_add_co_ci_u32_e32 v2, vcc_lo, s7, v2, vcc_lo
	s_delay_alu instid0(VALU_DEP_4)
	v_add_co_u32 v3, vcc_lo, v5, 8
	global_load_b64 v[7:8], v[5:6], off
	v_add_co_ci_u32_e32 v9, vcc_lo, 0, v6, vcc_lo
	s_cmp_eq_u64 s[6:7], 0
	s_load_b64 s[4:5], s[0:1], 0x40
	s_cselect_b32 vcc_lo, -1, 0
	s_cmp_eq_u32 s3, 1
	v_dual_cndmask_b32 v2, v2, v9 :: v_dual_cndmask_b32 v1, v1, v3
	s_mov_b32 s3, 0
	global_load_b64 v[2:3], v[1:2], off
	s_waitcnt vmcnt(1)
	v_sub_co_u32 v0, vcc_lo, v7, s18
	v_subrev_co_ci_u32_e32 v1, vcc_lo, 0, v8, vcc_lo
	s_delay_alu instid0(VALU_DEP_2) | instskip(NEXT) | instid1(VALU_DEP_2)
	v_add_co_u32 v0, vcc_lo, v0, v19
	v_add_co_ci_u32_e32 v1, vcc_lo, 0, v1, vcc_lo
	s_delay_alu instid0(VALU_DEP_1) | instskip(SKIP_3) | instid1(VALU_DEP_3)
	v_lshlrev_b64 v[5:6], 5, v[0:1]
	s_waitcnt vmcnt(0)
	v_sub_co_u32 v2, vcc_lo, v2, s18
	v_subrev_co_ci_u32_e32 v3, vcc_lo, 0, v3, vcc_lo
	v_add_co_u32 v5, vcc_lo, s10, v5
	s_delay_alu instid0(VALU_DEP_2)
	v_cmp_lt_i64_e64 s2, v[0:1], v[2:3]
	v_add_co_ci_u32_e32 v6, vcc_lo, s11, v6, vcc_lo
	s_cbranch_scc1 .LBB112_25
; %bb.14:
	v_dual_mov_b32 v22, 0 :: v_dual_mov_b32 v23, 0
	v_mov_b32_e32 v21, 0
	s_delay_alu instid0(VALU_DEP_4)
	s_and_saveexec_b32 s6, s2
	s_cbranch_execz .LBB112_24
; %bb.15:
	v_or_b32_e32 v9, 16, v19
	v_not_b32_e32 v12, v7
	v_not_b32_e32 v11, v8
	v_mov_b32_e32 v23, 0
	v_dual_mov_b32 v21, 0 :: v_dual_mov_b32 v20, 0
	v_sub_co_u32 v9, s7, v9, s18
	s_delay_alu instid0(VALU_DEP_1) | instskip(SKIP_1) | instid1(VALU_DEP_3)
	v_sub_co_ci_u32_e64 v10, null, 0, 0, s7
	v_sub_co_u32 v13, s7, s18, v19
	v_add_co_u32 v9, vcc_lo, v9, v7
	s_delay_alu instid0(VALU_DEP_3) | instskip(SKIP_2) | instid1(VALU_DEP_2)
	v_add_co_ci_u32_e32 v10, vcc_lo, v10, v8, vcc_lo
	v_sub_co_ci_u32_e64 v14, null, 0, 0, s7
	s_mov_b32 s7, exec_lo
	v_cmp_gt_i64_e32 vcc_lo, v[9:10], v[2:3]
	v_mov_b32_e32 v22, 0
	v_dual_cndmask_b32 v10, v3, v10 :: v_dual_cndmask_b32 v9, v2, v9
	v_add_co_u32 v12, vcc_lo, v13, v12
	v_add_co_ci_u32_e32 v11, vcc_lo, v14, v11, vcc_lo
	s_delay_alu instid0(VALU_DEP_2) | instskip(NEXT) | instid1(VALU_DEP_2)
	v_add_co_u32 v13, vcc_lo, v12, v9
	v_add_co_ci_u32_e32 v14, vcc_lo, v11, v10, vcc_lo
	v_mov_b32_e32 v12, v6
	s_delay_alu instid0(VALU_DEP_3) | instskip(SKIP_1) | instid1(VALU_DEP_2)
	v_lshrrev_b32_e32 v9, 4, v13
	v_mov_b32_e32 v11, v5
	v_add_nc_u32_e32 v9, 1, v9
	s_delay_alu instid0(VALU_DEP_1) | instskip(SKIP_1) | instid1(VALU_DEP_2)
	v_dual_mov_b32 v10, v1 :: v_dual_and_b32 v15, 3, v9
	v_mov_b32_e32 v9, v0
	v_cmpx_ne_u32_e32 0, v15
	s_cbranch_execz .LBB112_19
; %bb.16:
	v_lshlrev_b64 v[9:10], 2, v[0:1]
	v_dual_mov_b32 v16, 0 :: v_dual_lshlrev_b32 v15, 3, v15
	v_dual_mov_b32 v12, v6 :: v_dual_mov_b32 v11, v5
	s_mov_b32 s10, 0
	s_delay_alu instid0(VALU_DEP_3) | instskip(NEXT) | instid1(VALU_DEP_4)
	v_add_co_u32 v17, vcc_lo, s8, v9
	v_add_co_ci_u32_e32 v18, vcc_lo, s9, v10, vcc_lo
	v_dual_mov_b32 v10, v1 :: v_dual_mov_b32 v9, v0
	v_mov_b32_e32 v20, v16
	v_mov_b32_e32 v22, v16
	;; [unrolled: 1-line block ×4, first 2 shown]
.LBB112_17:                             ; =>This Inner Loop Header: Depth=1
	global_load_b32 v28, v[17:18], off
	global_load_b128 v[24:27], v[11:12], off
	s_waitcnt vmcnt(1)
	v_subrev_nc_u32_e32 v28, s18, v28
	s_waitcnt vmcnt(0)
	v_lshlrev_b32_e32 v36, 16, v26
	v_lshlrev_b32_e32 v34, 16, v24
	s_delay_alu instid0(VALU_DEP_3) | instskip(NEXT) | instid1(VALU_DEP_1)
	v_lshlrev_b32_e32 v28, 2, v28
	v_ashrrev_i32_e32 v29, 31, v28
	s_delay_alu instid0(VALU_DEP_1) | instskip(SKIP_1) | instid1(VALU_DEP_1)
	v_lshlrev_b64 v[28:29], 1, v[28:29]
	s_waitcnt lgkmcnt(0)
	v_add_co_u32 v32, vcc_lo, s4, v28
	s_delay_alu instid0(VALU_DEP_2)
	v_add_co_ci_u32_e32 v33, vcc_lo, s5, v29, vcc_lo
	global_load_b128 v[28:31], v[11:12], off offset:16
	global_load_b64 v[32:33], v[32:33], off
	v_add_co_u32 v11, vcc_lo, 0x200, v11
	v_add_co_ci_u32_e32 v12, vcc_lo, 0, v12, vcc_lo
	v_add_co_u32 v9, vcc_lo, v9, 16
	v_add_co_ci_u32_e32 v10, vcc_lo, 0, v10, vcc_lo
	;; [unrolled: 2-line block ×3, first 2 shown]
	v_add_co_u32 v15, vcc_lo, v15, -8
	v_add_co_ci_u32_e32 v16, vcc_lo, -1, v16, vcc_lo
	s_delay_alu instid0(VALU_DEP_1) | instskip(SKIP_3) | instid1(VALU_DEP_1)
	v_cmp_eq_u64_e32 vcc_lo, 0, v[15:16]
	s_or_b32 s10, vcc_lo, s10
	s_waitcnt vmcnt(0)
	v_lshlrev_b32_e32 v42, 16, v32
	v_dual_fmac_f32 v23, v36, v42 :: v_dual_and_b32 v32, 0xffff0000, v32
	v_dual_fmac_f32 v21, v34, v42 :: v_dual_lshlrev_b32 v34, 16, v33
	v_lshlrev_b32_e32 v38, 16, v28
	v_lshlrev_b32_e32 v35, 16, v25
	;; [unrolled: 1-line block ×3, first 2 shown]
	v_and_b32_e32 v25, 0xffff0000, v25
	v_and_b32_e32 v28, 0xffff0000, v28
	v_fmac_f32_e32 v22, v38, v42
	v_and_b32_e32 v24, 0xffff0000, v24
	v_dual_fmac_f32 v20, v40, v42 :: v_dual_lshlrev_b32 v37, 16, v27
	s_delay_alu instid0(VALU_DEP_3) | instskip(NEXT) | instid1(VALU_DEP_3)
	v_fmac_f32_e32 v22, v28, v32
	v_dual_fmac_f32 v21, v24, v32 :: v_dual_and_b32 v24, 0xffff0000, v33
	v_lshlrev_b32_e32 v41, 16, v31
	v_and_b32_e32 v31, 0xffff0000, v31
	s_delay_alu instid0(VALU_DEP_3) | instskip(NEXT) | instid1(VALU_DEP_1)
	v_fmac_f32_e32 v21, v35, v34
	v_dual_fmac_f32 v21, v25, v24 :: v_dual_and_b32 v26, 0xffff0000, v26
	s_delay_alu instid0(VALU_DEP_1) | instskip(NEXT) | instid1(VALU_DEP_1)
	v_fmac_f32_e32 v23, v26, v32
	v_fmac_f32_e32 v23, v37, v34
	v_and_b32_e32 v30, 0xffff0000, v30
	s_delay_alu instid0(VALU_DEP_1) | instskip(SKIP_1) | instid1(VALU_DEP_2)
	v_dual_fmac_f32 v20, v30, v32 :: v_dual_and_b32 v27, 0xffff0000, v27
	v_lshlrev_b32_e32 v39, 16, v29
	v_dual_fmac_f32 v23, v27, v24 :: v_dual_fmac_f32 v20, v41, v34
	s_delay_alu instid0(VALU_DEP_2) | instskip(NEXT) | instid1(VALU_DEP_2)
	v_dual_fmac_f32 v22, v39, v34 :: v_dual_and_b32 v29, 0xffff0000, v29
	v_fmac_f32_e32 v20, v31, v24
	s_delay_alu instid0(VALU_DEP_2)
	v_fmac_f32_e32 v22, v29, v24
	s_and_not1_b32 exec_lo, exec_lo, s10
	s_cbranch_execnz .LBB112_17
; %bb.18:
	s_or_b32 exec_lo, exec_lo, s10
.LBB112_19:
	s_delay_alu instid0(SALU_CYCLE_1) | instskip(NEXT) | instid1(SALU_CYCLE_1)
	s_or_b32 exec_lo, exec_lo, s7
	s_mov_b32 s7, exec_lo
	v_cmpx_lt_u64_e32 47, v[13:14]
	s_cbranch_execz .LBB112_23
; %bb.20:
	v_lshlrev_b64 v[13:14], 2, v[9:10]
	s_mov_b32 s10, 0
	s_delay_alu instid0(VALU_DEP_1) | instskip(NEXT) | instid1(VALU_DEP_2)
	v_add_co_u32 v13, vcc_lo, v13, s8
	v_add_co_ci_u32_e32 v14, vcc_lo, s9, v14, vcc_lo
	s_delay_alu instid0(VALU_DEP_2) | instskip(NEXT) | instid1(VALU_DEP_2)
	v_add_co_u32 v13, vcc_lo, 0x80, v13
	v_add_co_ci_u32_e32 v14, vcc_lo, 0, v14, vcc_lo
.LBB112_21:                             ; =>This Inner Loop Header: Depth=1
	s_clause 0x3
	global_load_b32 v52, v[13:14], off offset:-128
	global_load_b32 v53, v[13:14], off offset:-64
	global_load_b32 v54, v[13:14], off
	global_load_b32 v55, v[13:14], off offset:64
	s_clause 0x7
	global_load_b128 v[15:18], v[11:12], off
	global_load_b128 v[24:27], v[11:12], off offset:16
	global_load_b128 v[28:31], v[11:12], off offset:512
	;; [unrolled: 1-line block ×7, first 2 shown]
	s_waitcnt vmcnt(11)
	v_subrev_nc_u32_e32 v52, s18, v52
	s_waitcnt vmcnt(10)
	v_subrev_nc_u32_e32 v53, s18, v53
	;; [unrolled: 2-line block ×4, first 2 shown]
	s_waitcnt vmcnt(7)
	v_lshlrev_b32_e32 v60, 16, v15
	v_lshlrev_b32_e32 v62, 16, v17
	s_waitcnt vmcnt(5)
	v_lshlrev_b32_e32 v69, 16, v29
	v_lshlrev_b32_e32 v70, 16, v30
	;; [unrolled: 1-line block ×3, first 2 shown]
	s_waitcnt vmcnt(3)
	v_lshlrev_b32_e32 v77, 16, v37
	v_and_b32_e32 v37, 0xffff0000, v37
	v_lshlrev_b32_e32 v76, 16, v36
	v_lshlrev_b32_e32 v74, 16, v34
	;; [unrolled: 1-line block ×3, first 2 shown]
	v_and_b32_e32 v30, 0xffff0000, v30
	v_lshlrev_b32_e32 v78, 16, v38
	v_and_b32_e32 v34, 0xffff0000, v34
	v_lshlrev_b32_e32 v73, 16, v33
	v_and_b32_e32 v31, 0xffff0000, v31
	s_waitcnt vmcnt(1)
	v_lshlrev_b32_e32 v85, 16, v45
	v_and_b32_e32 v45, 0xffff0000, v45
	v_lshlrev_b32_e32 v84, 16, v44
	v_lshlrev_b32_e32 v86, 16, v46
	s_waitcnt vmcnt(0)
	v_lshlrev_b32_e32 v88, 16, v48
	v_lshlrev_b32_e32 v83, 16, v43
	v_and_b32_e32 v48, 0xffff0000, v48
	v_lshlrev_b32_e32 v89, 16, v49
	v_lshlrev_b32_e32 v87, 16, v47
	v_and_b32_e32 v46, 0xffff0000, v46
	v_lshlrev_b32_e32 v91, 16, v51
	v_and_b32_e32 v47, 0xffff0000, v47
	v_and_b32_e32 v44, 0xffff0000, v44
	v_lshlrev_b32_e32 v80, 16, v40
	v_and_b32_e32 v40, 0xffff0000, v40
	v_lshlrev_b32_e32 v81, 16, v41
	v_lshlrev_b32_e32 v79, 16, v39
	v_and_b32_e32 v38, 0xffff0000, v38
	v_and_b32_e32 v39, 0xffff0000, v39
	;; [unrolled: 1-line block ×3, first 2 shown]
	v_lshlrev_b32_e32 v72, 16, v32
	v_and_b32_e32 v32, 0xffff0000, v32
	v_and_b32_e32 v29, 0xffff0000, v29
	v_lshlrev_b32_e32 v68, 16, v28
	v_and_b32_e32 v28, 0xffff0000, v28
	v_and_b32_e32 v24, 0xffff0000, v24
	v_lshlrev_b32_e32 v63, 16, v18
	v_lshlrev_b32_e32 v66, 16, v26
	v_and_b32_e32 v26, 0xffff0000, v26
	v_lshlrev_b32_e32 v65, 16, v25
	v_and_b32_e32 v25, 0xffff0000, v25
	v_lshlrev_b32_e32 v61, 16, v16
	v_and_b32_e32 v16, 0xffff0000, v16
	v_lshlrev_b32_e32 v52, 2, v52
	v_lshlrev_b32_e32 v54, 2, v53
	;; [unrolled: 1-line block ×3, first 2 shown]
	v_and_b32_e32 v18, 0xffff0000, v18
	v_lshlrev_b32_e32 v56, 2, v56
	v_ashrrev_i32_e32 v53, 31, v52
	v_ashrrev_i32_e32 v55, 31, v54
	;; [unrolled: 1-line block ×3, first 2 shown]
	v_lshlrev_b32_e32 v75, 16, v35
	v_ashrrev_i32_e32 v57, 31, v56
	v_lshlrev_b64 v[52:53], 1, v[52:53]
	v_lshlrev_b64 v[54:55], 1, v[54:55]
	;; [unrolled: 1-line block ×3, first 2 shown]
	v_lshlrev_b32_e32 v82, 16, v42
	v_lshlrev_b64 v[56:57], 1, v[56:57]
	v_and_b32_e32 v42, 0xffff0000, v42
	s_waitcnt lgkmcnt(0)
	v_add_co_u32 v52, vcc_lo, s4, v52
	v_add_co_ci_u32_e32 v53, vcc_lo, s5, v53, vcc_lo
	v_add_co_u32 v54, vcc_lo, s4, v54
	v_add_co_ci_u32_e32 v55, vcc_lo, s5, v55, vcc_lo
	global_load_b64 v[52:53], v[52:53], off
	v_add_co_u32 v56, vcc_lo, s4, v56
	global_load_b64 v[54:55], v[54:55], off
	v_add_co_ci_u32_e32 v57, vcc_lo, s5, v57, vcc_lo
	v_add_co_u32 v58, vcc_lo, s4, v58
	v_add_co_ci_u32_e32 v59, vcc_lo, s5, v59, vcc_lo
	global_load_b64 v[56:57], v[56:57], off
	v_lshlrev_b32_e32 v90, 16, v50
	v_and_b32_e32 v50, 0xffff0000, v50
	global_load_b64 v[58:59], v[58:59], off
	v_add_co_u32 v11, vcc_lo, 0x800, v11
	v_add_co_ci_u32_e32 v12, vcc_lo, 0, v12, vcc_lo
	v_add_co_u32 v9, vcc_lo, v9, 64
	v_add_co_ci_u32_e32 v10, vcc_lo, 0, v10, vcc_lo
	v_add_co_u32 v13, vcc_lo, 0x100, v13
	v_and_b32_e32 v51, 0xffff0000, v51
	v_add_co_ci_u32_e32 v14, vcc_lo, 0, v14, vcc_lo
	s_delay_alu instid0(VALU_DEP_4)
	v_cmp_ge_i64_e32 vcc_lo, v[9:10], v[2:3]
	s_or_b32 s10, vcc_lo, s10
	s_waitcnt vmcnt(3)
	v_lshlrev_b32_e32 v92, 16, v52
	v_and_b32_e32 v15, 0xffff0000, v15
	v_and_b32_e32 v52, 0xffff0000, v52
	s_delay_alu instid0(VALU_DEP_3) | instskip(SKIP_3) | instid1(VALU_DEP_4)
	v_dual_fmac_f32 v20, v66, v92 :: v_dual_and_b32 v17, 0xffff0000, v17
	v_fmac_f32_e32 v22, v64, v92
	v_dual_fmac_f32 v21, v60, v92 :: v_dual_lshlrev_b32 v60, 16, v53
	v_fmac_f32_e32 v23, v62, v92
	v_fmac_f32_e32 v20, v26, v52
	s_delay_alu instid0(VALU_DEP_4) | instskip(NEXT) | instid1(VALU_DEP_4)
	v_fmac_f32_e32 v22, v24, v52
	v_fmac_f32_e32 v21, v15, v52
	v_and_b32_e32 v15, 0xffff0000, v53
	v_fmac_f32_e32 v23, v17, v52
	s_waitcnt vmcnt(2)
	v_dual_fmac_f32 v22, v65, v60 :: v_dual_lshlrev_b32 v17, 16, v54
	s_delay_alu instid0(VALU_DEP_1) | instskip(SKIP_2) | instid1(VALU_DEP_3)
	v_dual_fmac_f32 v23, v63, v60 :: v_dual_fmac_f32 v22, v25, v15
	v_lshlrev_b32_e32 v67, 16, v27
	v_fmac_f32_e32 v21, v61, v60
	v_dual_fmac_f32 v23, v18, v15 :: v_dual_fmac_f32 v22, v72, v17
	s_delay_alu instid0(VALU_DEP_3) | instskip(NEXT) | instid1(VALU_DEP_3)
	v_dual_fmac_f32 v20, v67, v60 :: v_dual_and_b32 v27, 0xffff0000, v27
	v_fmac_f32_e32 v21, v16, v15
	v_lshlrev_b32_e32 v16, 16, v55
	s_delay_alu instid0(VALU_DEP_3) | instskip(NEXT) | instid1(VALU_DEP_3)
	v_dual_fmac_f32 v20, v27, v15 :: v_dual_and_b32 v15, 0xffff0000, v54
	v_fmac_f32_e32 v21, v68, v17
	s_delay_alu instid0(VALU_DEP_2) | instskip(NEXT) | instid1(VALU_DEP_3)
	v_fmac_f32_e32 v20, v74, v17
	v_fmac_f32_e32 v22, v32, v15
	s_delay_alu instid0(VALU_DEP_3) | instskip(NEXT) | instid1(VALU_DEP_3)
	v_fmac_f32_e32 v21, v28, v15
	v_dual_fmac_f32 v20, v34, v15 :: v_dual_and_b32 v33, 0xffff0000, v33
	s_delay_alu instid0(VALU_DEP_2) | instskip(NEXT) | instid1(VALU_DEP_4)
	v_fmac_f32_e32 v21, v69, v16
	v_dual_fmac_f32 v23, v70, v17 :: v_dual_fmac_f32 v22, v73, v16
	s_delay_alu instid0(VALU_DEP_1) | instskip(SKIP_1) | instid1(VALU_DEP_2)
	v_dual_fmac_f32 v20, v75, v16 :: v_dual_fmac_f32 v23, v30, v15
	v_and_b32_e32 v15, 0xffff0000, v55
	v_fmac_f32_e32 v23, v71, v16
	s_waitcnt vmcnt(1)
	v_lshlrev_b32_e32 v16, 16, v56
	v_and_b32_e32 v35, 0xffff0000, v35
	v_fmac_f32_e32 v21, v29, v15
	v_fmac_f32_e32 v22, v33, v15
	;; [unrolled: 1-line block ×3, first 2 shown]
	s_delay_alu instid0(VALU_DEP_4) | instskip(NEXT) | instid1(VALU_DEP_4)
	v_dual_fmac_f32 v20, v35, v15 :: v_dual_and_b32 v15, 0xffff0000, v56
	v_fmac_f32_e32 v21, v76, v16
	s_delay_alu instid0(VALU_DEP_3) | instskip(SKIP_1) | instid1(VALU_DEP_4)
	v_fmac_f32_e32 v23, v78, v16
	v_fmac_f32_e32 v22, v80, v16
	v_dual_fmac_f32 v20, v82, v16 :: v_dual_and_b32 v41, 0xffff0000, v41
	s_delay_alu instid0(VALU_DEP_4) | instskip(NEXT) | instid1(VALU_DEP_4)
	v_dual_fmac_f32 v21, v36, v15 :: v_dual_lshlrev_b32 v16, 16, v57
	v_fmac_f32_e32 v23, v38, v15
	s_delay_alu instid0(VALU_DEP_3) | instskip(SKIP_1) | instid1(VALU_DEP_4)
	v_fmac_f32_e32 v20, v42, v15
	v_dual_fmac_f32 v22, v40, v15 :: v_dual_and_b32 v15, 0xffff0000, v57
	v_fmac_f32_e32 v21, v77, v16
	s_delay_alu instid0(VALU_DEP_3) | instskip(NEXT) | instid1(VALU_DEP_3)
	v_fmac_f32_e32 v20, v83, v16
	v_fmac_f32_e32 v22, v81, v16
	s_waitcnt vmcnt(0)
	v_dual_fmac_f32 v23, v79, v16 :: v_dual_lshlrev_b32 v16, 16, v58
	v_and_b32_e32 v43, 0xffff0000, v43
	v_fmac_f32_e32 v21, v37, v15
	v_fmac_f32_e32 v22, v41, v15
	s_delay_alu instid0(VALU_DEP_4) | instskip(NEXT) | instid1(VALU_DEP_4)
	v_fmac_f32_e32 v23, v39, v15
	v_dual_fmac_f32 v20, v43, v15 :: v_dual_and_b32 v15, 0xffff0000, v58
	s_delay_alu instid0(VALU_DEP_4) | instskip(NEXT) | instid1(VALU_DEP_3)
	v_fmac_f32_e32 v21, v84, v16
	v_fmac_f32_e32 v23, v86, v16
	;; [unrolled: 1-line block ×3, first 2 shown]
	s_delay_alu instid0(VALU_DEP_4) | instskip(SKIP_3) | instid1(VALU_DEP_4)
	v_dual_fmac_f32 v20, v90, v16 :: v_dual_and_b32 v49, 0xffff0000, v49
	v_lshlrev_b32_e32 v16, 16, v59
	v_fmac_f32_e32 v21, v44, v15
	v_fmac_f32_e32 v23, v46, v15
	;; [unrolled: 1-line block ×4, first 2 shown]
	v_and_b32_e32 v15, 0xffff0000, v59
	v_fmac_f32_e32 v21, v85, v16
	s_delay_alu instid0(VALU_DEP_4) | instskip(NEXT) | instid1(VALU_DEP_4)
	v_fmac_f32_e32 v20, v91, v16
	v_fmac_f32_e32 v22, v89, v16
	;; [unrolled: 1-line block ×3, first 2 shown]
	s_delay_alu instid0(VALU_DEP_4) | instskip(NEXT) | instid1(VALU_DEP_4)
	v_fmac_f32_e32 v21, v45, v15
	v_fmac_f32_e32 v20, v51, v15
	s_delay_alu instid0(VALU_DEP_4) | instskip(NEXT) | instid1(VALU_DEP_4)
	v_fmac_f32_e32 v22, v49, v15
	v_fmac_f32_e32 v23, v47, v15
	s_and_not1_b32 exec_lo, exec_lo, s10
	s_cbranch_execnz .LBB112_21
; %bb.22:
	s_or_b32 exec_lo, exec_lo, s10
.LBB112_23:
	s_delay_alu instid0(SALU_CYCLE_1)
	s_or_b32 exec_lo, exec_lo, s7
.LBB112_24:
	s_delay_alu instid0(SALU_CYCLE_1) | instskip(NEXT) | instid1(SALU_CYCLE_1)
	s_or_b32 exec_lo, exec_lo, s6
	s_and_not1_b32 vcc_lo, exec_lo, s3
	s_cbranch_vccz .LBB112_26
	s_branch .LBB112_37
.LBB112_25:
                                        ; implicit-def: $vgpr20
                                        ; implicit-def: $vgpr22
                                        ; implicit-def: $vgpr23
                                        ; implicit-def: $vgpr21
.LBB112_26:
	v_dual_mov_b32 v20, 0 :: v_dual_mov_b32 v23, 0
	v_dual_mov_b32 v22, 0 :: v_dual_mov_b32 v21, 0
	s_delay_alu instid0(VALU_DEP_4)
	s_and_saveexec_b32 s3, s2
	s_cbranch_execz .LBB112_36
; %bb.27:
	v_or_b32_e32 v9, 16, v19
	v_mov_b32_e32 v21, 0
	v_dual_mov_b32 v23, 0 :: v_dual_mov_b32 v22, 0
	v_mov_b32_e32 v20, 0
	s_delay_alu instid0(VALU_DEP_4) | instskip(NEXT) | instid1(VALU_DEP_1)
	v_sub_co_u32 v9, s2, v9, s18
	v_sub_co_ci_u32_e64 v10, null, 0, 0, s2
	v_sub_co_u32 v11, s2, s18, v19
	s_delay_alu instid0(VALU_DEP_3) | instskip(NEXT) | instid1(VALU_DEP_3)
	v_add_co_u32 v9, vcc_lo, v9, v7
	v_add_co_ci_u32_e32 v10, vcc_lo, v10, v8, vcc_lo
	v_not_b32_e32 v7, v7
	v_not_b32_e32 v8, v8
	v_sub_co_ci_u32_e64 v12, null, 0, 0, s2
	s_delay_alu instid0(VALU_DEP_4) | instskip(SKIP_4) | instid1(VALU_DEP_2)
	v_cmp_gt_i64_e32 vcc_lo, v[9:10], v[2:3]
	s_mov_b32 s2, exec_lo
	v_dual_cndmask_b32 v10, v3, v10 :: v_dual_cndmask_b32 v9, v2, v9
	v_add_co_u32 v7, vcc_lo, v11, v7
	v_add_co_ci_u32_e32 v8, vcc_lo, v12, v8, vcc_lo
	v_add_co_u32 v7, vcc_lo, v7, v9
	s_delay_alu instid0(VALU_DEP_2) | instskip(NEXT) | instid1(VALU_DEP_2)
	v_add_co_ci_u32_e32 v8, vcc_lo, v8, v10, vcc_lo
	v_lshrrev_b32_e32 v9, 4, v7
	s_delay_alu instid0(VALU_DEP_1) | instskip(NEXT) | instid1(VALU_DEP_1)
	v_add_nc_u32_e32 v9, 1, v9
	v_and_b32_e32 v9, 3, v9
	s_delay_alu instid0(VALU_DEP_1)
	v_cmpx_ne_u32_e32 0, v9
	s_cbranch_execz .LBB112_31
; %bb.28:
	v_lshlrev_b64 v[11:12], 2, v[0:1]
	v_dual_mov_b32 v10, 0 :: v_dual_lshlrev_b32 v9, 3, v9
	s_mov_b32 s6, 0
	s_delay_alu instid0(VALU_DEP_1) | instskip(NEXT) | instid1(VALU_DEP_3)
	v_mov_b32_e32 v20, v10
	v_add_co_u32 v11, vcc_lo, s8, v11
	s_delay_alu instid0(VALU_DEP_4)
	v_add_co_ci_u32_e32 v12, vcc_lo, s9, v12, vcc_lo
	v_mov_b32_e32 v22, v10
	v_mov_b32_e32 v23, v10
	;; [unrolled: 1-line block ×3, first 2 shown]
.LBB112_29:                             ; =>This Inner Loop Header: Depth=1
	global_load_b32 v17, v[11:12], off
	global_load_b128 v[13:16], v[5:6], off
	s_waitcnt vmcnt(1)
	v_subrev_nc_u32_e32 v17, s18, v17
	s_waitcnt vmcnt(0)
	v_lshlrev_b32_e32 v31, 16, v16
	v_lshlrev_b32_e32 v29, 16, v14
	s_delay_alu instid0(VALU_DEP_3) | instskip(NEXT) | instid1(VALU_DEP_1)
	v_lshlrev_b32_e32 v17, 2, v17
	v_ashrrev_i32_e32 v18, 31, v17
	s_delay_alu instid0(VALU_DEP_1) | instskip(SKIP_1) | instid1(VALU_DEP_1)
	v_lshlrev_b64 v[17:18], 1, v[17:18]
	s_waitcnt lgkmcnt(0)
	v_add_co_u32 v17, vcc_lo, s4, v17
	s_delay_alu instid0(VALU_DEP_2)
	v_add_co_ci_u32_e32 v18, vcc_lo, s5, v18, vcc_lo
	global_load_b64 v[17:18], v[17:18], off
	global_load_b128 v[24:27], v[5:6], off offset:16
	v_add_co_u32 v5, vcc_lo, 0x200, v5
	v_add_co_ci_u32_e32 v6, vcc_lo, 0, v6, vcc_lo
	v_add_co_u32 v0, vcc_lo, v0, 16
	v_add_co_ci_u32_e32 v1, vcc_lo, 0, v1, vcc_lo
	;; [unrolled: 2-line block ×3, first 2 shown]
	v_add_co_u32 v9, vcc_lo, v9, -8
	v_add_co_ci_u32_e32 v10, vcc_lo, -1, v10, vcc_lo
	s_delay_alu instid0(VALU_DEP_1)
	v_cmp_eq_u64_e32 vcc_lo, 0, v[9:10]
	s_or_b32 s6, vcc_lo, s6
	s_waitcnt vmcnt(0)
	v_lshlrev_b32_e32 v34, 16, v26
	v_lshlrev_b32_e32 v36, 16, v17
	;; [unrolled: 1-line block ×3, first 2 shown]
	v_and_b32_e32 v14, 0xffff0000, v14
	v_and_b32_e32 v13, 0xffff0000, v13
	v_and_b32_e32 v17, 0xffff0000, v17
	v_and_b32_e32 v26, 0xffff0000, v26
	s_delay_alu instid0(VALU_DEP_4) | instskip(NEXT) | instid1(VALU_DEP_4)
	v_fmac_f32_e32 v20, v14, v36
	v_dual_fmac_f32 v23, v13, v36 :: v_dual_lshlrev_b32 v30, 16, v15
	v_fmac_f32_e32 v21, v28, v36
	v_and_b32_e32 v16, 0xffff0000, v16
	v_and_b32_e32 v15, 0xffff0000, v15
	v_lshlrev_b32_e32 v13, 16, v18
	v_and_b32_e32 v14, 0xffff0000, v18
	s_delay_alu instid0(VALU_DEP_4) | instskip(NEXT) | instid1(VALU_DEP_4)
	v_fmac_f32_e32 v20, v16, v17
	v_dual_fmac_f32 v23, v15, v17 :: v_dual_lshlrev_b32 v32, 16, v24
	v_dual_fmac_f32 v21, v30, v17 :: v_dual_and_b32 v24, 0xffff0000, v24
	v_lshlrev_b32_e32 v35, 16, v27
	v_lshlrev_b32_e32 v33, 16, v25
	v_and_b32_e32 v27, 0xffff0000, v27
	v_and_b32_e32 v25, 0xffff0000, v25
	v_fmac_f32_e32 v23, v24, v13
	v_fmac_f32_e32 v21, v32, v13
	s_delay_alu instid0(VALU_DEP_2) | instskip(NEXT) | instid1(VALU_DEP_2)
	v_dual_fmac_f32 v20, v25, v13 :: v_dual_fmac_f32 v23, v26, v14
	v_dual_fmac_f32 v21, v34, v14 :: v_dual_fmac_f32 v22, v29, v36
	s_delay_alu instid0(VALU_DEP_2) | instskip(NEXT) | instid1(VALU_DEP_2)
	v_fmac_f32_e32 v20, v27, v14
	v_fmac_f32_e32 v22, v31, v17
	s_delay_alu instid0(VALU_DEP_1) | instskip(NEXT) | instid1(VALU_DEP_1)
	v_fmac_f32_e32 v22, v33, v13
	v_fmac_f32_e32 v22, v35, v14
	s_and_not1_b32 exec_lo, exec_lo, s6
	s_cbranch_execnz .LBB112_29
; %bb.30:
	s_or_b32 exec_lo, exec_lo, s6
.LBB112_31:
	s_delay_alu instid0(SALU_CYCLE_1) | instskip(NEXT) | instid1(SALU_CYCLE_1)
	s_or_b32 exec_lo, exec_lo, s2
	s_mov_b32 s2, exec_lo
	v_cmpx_lt_u64_e32 47, v[7:8]
	s_cbranch_execz .LBB112_35
; %bb.32:
	v_lshlrev_b64 v[7:8], 2, v[0:1]
	s_mov_b32 s6, 0
	s_delay_alu instid0(VALU_DEP_1) | instskip(NEXT) | instid1(VALU_DEP_2)
	v_add_co_u32 v7, vcc_lo, v7, s8
	v_add_co_ci_u32_e32 v8, vcc_lo, s9, v8, vcc_lo
	s_delay_alu instid0(VALU_DEP_2) | instskip(NEXT) | instid1(VALU_DEP_2)
	v_add_co_u32 v7, vcc_lo, 0x80, v7
	v_add_co_ci_u32_e32 v8, vcc_lo, 0, v8, vcc_lo
.LBB112_33:                             ; =>This Inner Loop Header: Depth=1
	s_clause 0x3
	global_load_b32 v17, v[7:8], off offset:-128
	global_load_b32 v18, v[7:8], off offset:-64
	global_load_b32 v44, v[7:8], off
	global_load_b32 v45, v[7:8], off offset:64
	s_clause 0x6
	global_load_b128 v[9:12], v[5:6], off
	global_load_b128 v[13:16], v[5:6], off offset:16
	global_load_b128 v[24:27], v[5:6], off offset:512
	;; [unrolled: 1-line block ×6, first 2 shown]
	s_waitcnt vmcnt(10)
	v_subrev_nc_u32_e32 v17, s18, v17
	s_waitcnt vmcnt(9)
	v_subrev_nc_u32_e32 v18, s18, v18
	;; [unrolled: 2-line block ×4, first 2 shown]
	s_waitcnt vmcnt(6)
	v_lshlrev_b32_e32 v54, 16, v9
	s_waitcnt vmcnt(5)
	v_lshlrev_b32_e32 v59, 16, v14
	v_lshlrev_b32_e32 v57, 16, v12
	v_lshlrev_b32_e32 v55, 16, v10
	v_lshlrev_b32_e32 v17, 2, v17
	s_waitcnt vmcnt(4)
	v_lshlrev_b32_e32 v65, 16, v27
	v_lshlrev_b32_e32 v63, 16, v25
	;; [unrolled: 1-line block ×3, first 2 shown]
	s_waitcnt vmcnt(0)
	v_lshlrev_b32_e32 v80, 16, v42
	v_lshlrev_b32_e32 v78, 16, v40
	v_and_b32_e32 v42, 0xffff0000, v42
	v_and_b32_e32 v40, 0xffff0000, v40
	v_lshlrev_b32_e32 v76, 16, v38
	v_lshlrev_b32_e32 v74, 16, v36
	v_and_b32_e32 v38, 0xffff0000, v38
	v_and_b32_e32 v36, 0xffff0000, v36
	;; [unrolled: 4-line block ×4, first 2 shown]
	v_lshlrev_b32_e32 v64, 16, v26
	v_and_b32_e32 v16, 0xffff0000, v16
	v_and_b32_e32 v26, 0xffff0000, v26
	v_lshlrev_b32_e32 v62, 16, v24
	v_and_b32_e32 v24, 0xffff0000, v24
	v_lshlrev_b32_e32 v60, 16, v15
	;; [unrolled: 2-line block ×4, first 2 shown]
	v_lshlrev_b32_e32 v44, 2, v18
	v_ashrrev_i32_e32 v18, 31, v17
	v_and_b32_e32 v12, 0xffff0000, v12
	v_and_b32_e32 v11, 0xffff0000, v11
	v_lshlrev_b32_e32 v46, 2, v46
	v_lshlrev_b32_e32 v48, 2, v45
	v_ashrrev_i32_e32 v45, 31, v44
	v_lshlrev_b64 v[17:18], 1, v[17:18]
	v_and_b32_e32 v10, 0xffff0000, v10
	v_ashrrev_i32_e32 v47, 31, v46
	v_ashrrev_i32_e32 v49, 31, v48
	v_lshlrev_b64 v[44:45], 1, v[44:45]
	v_and_b32_e32 v14, 0xffff0000, v14
	s_waitcnt lgkmcnt(0)
	v_add_co_u32 v17, vcc_lo, s4, v17
	v_lshlrev_b64 v[46:47], 1, v[46:47]
	v_add_co_ci_u32_e32 v18, vcc_lo, s5, v18, vcc_lo
	v_lshlrev_b64 v[48:49], 1, v[48:49]
	v_add_co_u32 v44, vcc_lo, s4, v44
	v_add_co_ci_u32_e32 v45, vcc_lo, s5, v45, vcc_lo
	v_add_co_u32 v46, vcc_lo, s4, v46
	v_add_co_ci_u32_e32 v47, vcc_lo, s5, v47, vcc_lo
	;; [unrolled: 2-line block ×3, first 2 shown]
	s_clause 0x3
	global_load_b64 v[17:18], v[17:18], off
	global_load_b64 v[50:51], v[44:45], off
	;; [unrolled: 1-line block ×4, first 2 shown]
	global_load_b128 v[44:47], v[5:6], off offset:1552
	v_lshlrev_b32_e32 v69, 16, v31
	v_lshlrev_b32_e32 v67, 16, v29
	v_and_b32_e32 v27, 0xffff0000, v27
	v_lshlrev_b32_e32 v73, 16, v35
	v_lshlrev_b32_e32 v71, 16, v33
	v_and_b32_e32 v31, 0xffff0000, v31
	;; [unrolled: 3-line block ×4, first 2 shown]
	v_add_co_u32 v5, vcc_lo, 0x800, v5
	v_add_co_ci_u32_e32 v6, vcc_lo, 0, v6, vcc_lo
	v_add_co_u32 v0, vcc_lo, v0, 64
	v_add_co_ci_u32_e32 v1, vcc_lo, 0, v1, vcc_lo
	;; [unrolled: 2-line block ×3, first 2 shown]
	s_delay_alu instid0(VALU_DEP_3)
	v_cmp_ge_i64_e32 vcc_lo, v[0:1], v[2:3]
	s_or_b32 s6, vcc_lo, s6
	s_waitcnt vmcnt(4)
	v_lshlrev_b32_e32 v86, 16, v17
	v_and_b32_e32 v9, 0xffff0000, v9
	v_and_b32_e32 v17, 0xffff0000, v17
	s_waitcnt vmcnt(0)
	s_delay_alu instid0(VALU_DEP_3) | instskip(SKIP_3) | instid1(VALU_DEP_4)
	v_dual_fmac_f32 v22, v55, v86 :: v_dual_lshlrev_b32 v85, 16, v47
	v_fmac_f32_e32 v20, v10, v86
	v_fmac_f32_e32 v23, v9, v86
	v_lshlrev_b32_e32 v9, 16, v18
	v_dual_fmac_f32 v21, v54, v86 :: v_dual_fmac_f32 v22, v57, v17
	s_delay_alu instid0(VALU_DEP_4) | instskip(NEXT) | instid1(VALU_DEP_4)
	v_fmac_f32_e32 v20, v12, v17
	v_dual_fmac_f32 v23, v11, v17 :: v_dual_and_b32 v10, 0xffff0000, v18
	v_lshlrev_b32_e32 v83, 16, v45
	s_delay_alu instid0(VALU_DEP_3)
	v_dual_fmac_f32 v20, v14, v9 :: v_dual_and_b32 v43, 0xffff0000, v43
	v_fmac_f32_e32 v22, v59, v9
	v_lshlrev_b32_e32 v84, 16, v46
	v_lshlrev_b32_e32 v82, 16, v44
	v_and_b32_e32 v46, 0xffff0000, v46
	v_fmac_f32_e32 v20, v16, v10
	v_fmac_f32_e32 v22, v61, v10
	;; [unrolled: 1-line block ×3, first 2 shown]
	v_dual_fmac_f32 v21, v56, v17 :: v_dual_and_b32 v44, 0xffff0000, v44
	v_and_b32_e32 v47, 0xffff0000, v47
	s_delay_alu instid0(VALU_DEP_3) | instskip(NEXT) | instid1(VALU_DEP_3)
	v_fmac_f32_e32 v23, v15, v10
	v_fmac_f32_e32 v21, v58, v9
	v_lshlrev_b32_e32 v9, 16, v50
	s_delay_alu instid0(VALU_DEP_1) | instskip(NEXT) | instid1(VALU_DEP_3)
	v_fmac_f32_e32 v23, v24, v9
	v_fmac_f32_e32 v21, v60, v10
	v_and_b32_e32 v10, 0xffff0000, v50
	v_and_b32_e32 v25, 0xffff0000, v25
	s_delay_alu instid0(VALU_DEP_2) | instskip(NEXT) | instid1(VALU_DEP_4)
	v_dual_fmac_f32 v22, v63, v9 :: v_dual_fmac_f32 v23, v26, v10
	v_fmac_f32_e32 v21, v62, v9
	s_delay_alu instid0(VALU_DEP_3) | instskip(NEXT) | instid1(VALU_DEP_1)
	v_dual_fmac_f32 v20, v25, v9 :: v_dual_lshlrev_b32 v9, 16, v51
	v_dual_fmac_f32 v22, v65, v10 :: v_dual_fmac_f32 v23, v28, v9
	s_delay_alu instid0(VALU_DEP_1) | instskip(NEXT) | instid1(VALU_DEP_3)
	v_dual_fmac_f32 v21, v64, v10 :: v_dual_fmac_f32 v22, v67, v9
	v_fmac_f32_e32 v20, v27, v10
	v_and_b32_e32 v10, 0xffff0000, v51
	v_and_b32_e32 v29, 0xffff0000, v29
	s_delay_alu instid0(VALU_DEP_4) | instskip(NEXT) | instid1(VALU_DEP_2)
	v_fmac_f32_e32 v21, v66, v9
	v_dual_fmac_f32 v23, v30, v10 :: v_dual_fmac_f32 v20, v29, v9
	v_dual_fmac_f32 v22, v69, v10 :: v_dual_lshlrev_b32 v9, 16, v52
	s_delay_alu instid0(VALU_DEP_1) | instskip(NEXT) | instid1(VALU_DEP_2)
	v_fmac_f32_e32 v23, v32, v9
	v_dual_fmac_f32 v21, v68, v10 :: v_dual_fmac_f32 v22, v71, v9
	s_delay_alu instid0(VALU_DEP_4) | instskip(SKIP_2) | instid1(VALU_DEP_4)
	v_fmac_f32_e32 v20, v31, v10
	v_and_b32_e32 v10, 0xffff0000, v52
	v_and_b32_e32 v33, 0xffff0000, v33
	v_fmac_f32_e32 v21, v70, v9
	s_delay_alu instid0(VALU_DEP_2) | instskip(SKIP_1) | instid1(VALU_DEP_1)
	v_dual_fmac_f32 v23, v34, v10 :: v_dual_fmac_f32 v20, v33, v9
	v_dual_fmac_f32 v22, v73, v10 :: v_dual_lshlrev_b32 v9, 16, v53
	v_fmac_f32_e32 v23, v36, v9
	s_delay_alu instid0(VALU_DEP_2) | instskip(NEXT) | instid1(VALU_DEP_4)
	v_dual_fmac_f32 v21, v72, v10 :: v_dual_fmac_f32 v22, v75, v9
	v_fmac_f32_e32 v20, v35, v10
	v_and_b32_e32 v10, 0xffff0000, v53
	v_and_b32_e32 v37, 0xffff0000, v37
	s_delay_alu instid0(VALU_DEP_4) | instskip(NEXT) | instid1(VALU_DEP_2)
	v_fmac_f32_e32 v21, v74, v9
	v_dual_fmac_f32 v23, v38, v10 :: v_dual_fmac_f32 v20, v37, v9
	v_dual_fmac_f32 v22, v77, v10 :: v_dual_lshlrev_b32 v9, 16, v48
	s_delay_alu instid0(VALU_DEP_1) | instskip(NEXT) | instid1(VALU_DEP_2)
	v_fmac_f32_e32 v23, v40, v9
	v_dual_fmac_f32 v21, v76, v10 :: v_dual_fmac_f32 v22, v79, v9
	s_delay_alu instid0(VALU_DEP_4) | instskip(SKIP_2) | instid1(VALU_DEP_4)
	v_fmac_f32_e32 v20, v39, v10
	v_and_b32_e32 v10, 0xffff0000, v48
	v_and_b32_e32 v41, 0xffff0000, v41
	v_fmac_f32_e32 v21, v78, v9
	s_delay_alu instid0(VALU_DEP_2) | instskip(SKIP_1) | instid1(VALU_DEP_1)
	v_dual_fmac_f32 v23, v42, v10 :: v_dual_fmac_f32 v20, v41, v9
	v_dual_fmac_f32 v22, v81, v10 :: v_dual_lshlrev_b32 v9, 16, v49
	v_fmac_f32_e32 v23, v44, v9
	s_delay_alu instid0(VALU_DEP_2) | instskip(NEXT) | instid1(VALU_DEP_4)
	v_dual_fmac_f32 v21, v80, v10 :: v_dual_fmac_f32 v22, v83, v9
	v_fmac_f32_e32 v20, v43, v10
	v_and_b32_e32 v10, 0xffff0000, v49
	v_and_b32_e32 v45, 0xffff0000, v45
	s_delay_alu instid0(VALU_DEP_4) | instskip(NEXT) | instid1(VALU_DEP_2)
	v_fmac_f32_e32 v21, v82, v9
	v_dual_fmac_f32 v23, v46, v10 :: v_dual_fmac_f32 v20, v45, v9
	s_delay_alu instid0(VALU_DEP_2) | instskip(SKIP_1) | instid1(VALU_DEP_3)
	v_fmac_f32_e32 v21, v84, v10
	v_fmac_f32_e32 v22, v85, v10
	;; [unrolled: 1-line block ×3, first 2 shown]
	s_and_not1_b32 exec_lo, exec_lo, s6
	s_cbranch_execnz .LBB112_33
; %bb.34:
	s_or_b32 exec_lo, exec_lo, s6
.LBB112_35:
	s_delay_alu instid0(SALU_CYCLE_1)
	s_or_b32 exec_lo, exec_lo, s2
.LBB112_36:
	s_delay_alu instid0(SALU_CYCLE_1)
	s_or_b32 exec_lo, exec_lo, s3
.LBB112_37:
	v_mbcnt_lo_u32_b32 v0, -1, 0
	s_mov_b32 s2, -1
	s_delay_alu instid0(VALU_DEP_1) | instskip(SKIP_2) | instid1(VALU_DEP_3)
	v_xor_b32_e32 v1, 8, v0
	v_xor_b32_e32 v6, 4, v0
	;; [unrolled: 1-line block ×3, first 2 shown]
	v_cmp_gt_i32_e32 vcc_lo, 32, v1
	v_cndmask_b32_e32 v1, v0, v1, vcc_lo
	s_delay_alu instid0(VALU_DEP_4) | instskip(SKIP_2) | instid1(VALU_DEP_2)
	v_cmp_gt_i32_e32 vcc_lo, 32, v6
	v_cndmask_b32_e32 v6, v0, v6, vcc_lo
	v_cmp_gt_i32_e32 vcc_lo, 32, v10
	v_lshlrev_b32_e32 v6, 2, v6
	v_dual_cndmask_b32 v10, v0, v10 :: v_dual_lshlrev_b32 v1, 2, v1
	ds_bpermute_b32 v2, v1, v21
	v_lshlrev_b32_e32 v10, 2, v10
	s_waitcnt lgkmcnt(0)
	v_add_f32_e32 v2, v21, v2
	ds_bpermute_b32 v3, v1, v23
	ds_bpermute_b32 v5, v1, v22
	ds_bpermute_b32 v1, v1, v20
	ds_bpermute_b32 v7, v6, v2
	s_waitcnt lgkmcnt(3)
	v_add_f32_e32 v3, v23, v3
	s_waitcnt lgkmcnt(2)
	v_add_f32_e32 v5, v22, v5
	;; [unrolled: 2-line block ×3, first 2 shown]
	ds_bpermute_b32 v8, v6, v3
	ds_bpermute_b32 v9, v6, v5
	;; [unrolled: 1-line block ×3, first 2 shown]
	s_waitcnt lgkmcnt(2)
	v_dual_add_f32 v2, v2, v7 :: v_dual_add_f32 v3, v3, v8
	s_waitcnt lgkmcnt(1)
	v_add_f32_e32 v5, v5, v9
	ds_bpermute_b32 v7, v10, v3
	s_waitcnt lgkmcnt(1)
	v_add_f32_e32 v6, v1, v6
	ds_bpermute_b32 v1, v10, v2
	ds_bpermute_b32 v8, v10, v5
	;; [unrolled: 1-line block ×3, first 2 shown]
	v_xor_b32_e32 v10, 1, v0
	s_delay_alu instid0(VALU_DEP_1) | instskip(SKIP_2) | instid1(VALU_DEP_2)
	v_cmp_gt_i32_e32 vcc_lo, 32, v10
	v_cndmask_b32_e32 v0, v0, v10, vcc_lo
	v_cmp_eq_u32_e32 vcc_lo, 15, v19
	v_lshlrev_b32_e32 v10, 2, v0
	s_waitcnt lgkmcnt(2)
	v_dual_add_f32 v0, v2, v1 :: v_dual_add_f32 v1, v3, v7
	s_waitcnt lgkmcnt(0)
	v_dual_add_f32 v2, v5, v8 :: v_dual_add_f32 v3, v6, v9
	ds_bpermute_b32 v5, v10, v0
	ds_bpermute_b32 v6, v10, v1
	;; [unrolled: 1-line block ×4, first 2 shown]
	s_and_b32 exec_lo, exec_lo, vcc_lo
	s_cbranch_execz .LBB112_10
; %bb.38:
	s_load_b64 s[0:1], s[0:1], 0x50
	s_waitcnt lgkmcnt(0)
	v_dual_add_f32 v0, v0, v5 :: v_dual_add_f32 v1, v1, v6
	v_dual_add_f32 v2, v2, v7 :: v_dual_add_f32 v3, v3, v8
	v_cmp_eq_f32_e64 s3, s12, 0
	s_delay_alu instid0(VALU_DEP_3) | instskip(NEXT) | instid1(VALU_DEP_3)
	v_dual_mul_f32 v0, s16, v0 :: v_dual_mul_f32 v1, s16, v1
	v_dual_mul_f32 v2, s16, v2 :: v_dual_mul_f32 v3, s16, v3
	v_lshlrev_b32_e32 v4, 2, v4
	s_delay_alu instid0(VALU_DEP_4)
	s_and_b32 vcc_lo, exec_lo, s3
	s_cbranch_vccz .LBB112_40
; %bb.39:
	s_delay_alu instid0(VALU_DEP_1) | instskip(SKIP_1) | instid1(VALU_DEP_1)
	v_ashrrev_i32_e32 v5, 31, v4
	s_mov_b32 s2, 0
	v_lshlrev_b64 v[5:6], 2, v[4:5]
	s_delay_alu instid0(VALU_DEP_1) | instskip(NEXT) | instid1(VALU_DEP_2)
	v_add_co_u32 v5, vcc_lo, s0, v5
	v_add_co_ci_u32_e32 v6, vcc_lo, s1, v6, vcc_lo
	global_store_b128 v[5:6], v[0:3], off
.LBB112_40:
	s_and_not1_b32 vcc_lo, exec_lo, s2
	s_cbranch_vccnz .LBB112_10
; %bb.41:
	v_ashrrev_i32_e32 v5, 31, v4
	s_delay_alu instid0(VALU_DEP_1) | instskip(NEXT) | instid1(VALU_DEP_1)
	v_lshlrev_b64 v[4:5], 2, v[4:5]
	v_add_co_u32 v8, vcc_lo, s0, v4
	s_delay_alu instid0(VALU_DEP_2)
	v_add_co_ci_u32_e32 v9, vcc_lo, s1, v5, vcc_lo
	global_load_b128 v[4:7], v[8:9], off
	s_waitcnt vmcnt(0)
	v_dual_fmac_f32 v0, s12, v4 :: v_dual_fmac_f32 v1, s12, v5
	v_dual_fmac_f32 v2, s12, v6 :: v_dual_fmac_f32 v3, s12, v7
	global_store_b128 v[8:9], v[0:3], off
	s_nop 0
	s_sendmsg sendmsg(MSG_DEALLOC_VGPRS)
	s_endpgm
	.section	.rodata,"a",@progbits
	.p2align	6, 0x0
	.amdhsa_kernel _ZN9rocsparseL18bsrxmvn_4x4_kernelILj128ELj16Efli18rocsparse_bfloat16S1_fEEvT3_20rocsparse_direction_NS_24const_host_device_scalarIT1_EES2_PKS2_PKT2_SB_S8_PKT4_PKT5_S6_PT6_21rocsparse_index_base_b
		.amdhsa_group_segment_fixed_size 0
		.amdhsa_private_segment_fixed_size 0
		.amdhsa_kernarg_size 96
		.amdhsa_user_sgpr_count 15
		.amdhsa_user_sgpr_dispatch_ptr 0
		.amdhsa_user_sgpr_queue_ptr 0
		.amdhsa_user_sgpr_kernarg_segment_ptr 1
		.amdhsa_user_sgpr_dispatch_id 0
		.amdhsa_user_sgpr_private_segment_size 0
		.amdhsa_wavefront_size32 1
		.amdhsa_uses_dynamic_stack 0
		.amdhsa_enable_private_segment 0
		.amdhsa_system_sgpr_workgroup_id_x 1
		.amdhsa_system_sgpr_workgroup_id_y 0
		.amdhsa_system_sgpr_workgroup_id_z 0
		.amdhsa_system_sgpr_workgroup_info 0
		.amdhsa_system_vgpr_workitem_id 0
		.amdhsa_next_free_vgpr 93
		.amdhsa_next_free_sgpr 20
		.amdhsa_reserve_vcc 1
		.amdhsa_float_round_mode_32 0
		.amdhsa_float_round_mode_16_64 0
		.amdhsa_float_denorm_mode_32 3
		.amdhsa_float_denorm_mode_16_64 3
		.amdhsa_dx10_clamp 1
		.amdhsa_ieee_mode 1
		.amdhsa_fp16_overflow 0
		.amdhsa_workgroup_processor_mode 1
		.amdhsa_memory_ordered 1
		.amdhsa_forward_progress 0
		.amdhsa_shared_vgpr_count 0
		.amdhsa_exception_fp_ieee_invalid_op 0
		.amdhsa_exception_fp_denorm_src 0
		.amdhsa_exception_fp_ieee_div_zero 0
		.amdhsa_exception_fp_ieee_overflow 0
		.amdhsa_exception_fp_ieee_underflow 0
		.amdhsa_exception_fp_ieee_inexact 0
		.amdhsa_exception_int_div_zero 0
	.end_amdhsa_kernel
	.section	.text._ZN9rocsparseL18bsrxmvn_4x4_kernelILj128ELj16Efli18rocsparse_bfloat16S1_fEEvT3_20rocsparse_direction_NS_24const_host_device_scalarIT1_EES2_PKS2_PKT2_SB_S8_PKT4_PKT5_S6_PT6_21rocsparse_index_base_b,"axG",@progbits,_ZN9rocsparseL18bsrxmvn_4x4_kernelILj128ELj16Efli18rocsparse_bfloat16S1_fEEvT3_20rocsparse_direction_NS_24const_host_device_scalarIT1_EES2_PKS2_PKT2_SB_S8_PKT4_PKT5_S6_PT6_21rocsparse_index_base_b,comdat
.Lfunc_end112:
	.size	_ZN9rocsparseL18bsrxmvn_4x4_kernelILj128ELj16Efli18rocsparse_bfloat16S1_fEEvT3_20rocsparse_direction_NS_24const_host_device_scalarIT1_EES2_PKS2_PKT2_SB_S8_PKT4_PKT5_S6_PT6_21rocsparse_index_base_b, .Lfunc_end112-_ZN9rocsparseL18bsrxmvn_4x4_kernelILj128ELj16Efli18rocsparse_bfloat16S1_fEEvT3_20rocsparse_direction_NS_24const_host_device_scalarIT1_EES2_PKS2_PKT2_SB_S8_PKT4_PKT5_S6_PT6_21rocsparse_index_base_b
                                        ; -- End function
	.section	.AMDGPU.csdata,"",@progbits
; Kernel info:
; codeLenInByte = 4896
; NumSgprs: 22
; NumVgprs: 93
; ScratchSize: 0
; MemoryBound: 0
; FloatMode: 240
; IeeeMode: 1
; LDSByteSize: 0 bytes/workgroup (compile time only)
; SGPRBlocks: 2
; VGPRBlocks: 11
; NumSGPRsForWavesPerEU: 22
; NumVGPRsForWavesPerEU: 93
; Occupancy: 16
; WaveLimiterHint : 1
; COMPUTE_PGM_RSRC2:SCRATCH_EN: 0
; COMPUTE_PGM_RSRC2:USER_SGPR: 15
; COMPUTE_PGM_RSRC2:TRAP_HANDLER: 0
; COMPUTE_PGM_RSRC2:TGID_X_EN: 1
; COMPUTE_PGM_RSRC2:TGID_Y_EN: 0
; COMPUTE_PGM_RSRC2:TGID_Z_EN: 0
; COMPUTE_PGM_RSRC2:TIDIG_COMP_CNT: 0
	.section	.text._ZN9rocsparseL18bsrxmvn_4x4_kernelILj128ELj32Efli18rocsparse_bfloat16S1_fEEvT3_20rocsparse_direction_NS_24const_host_device_scalarIT1_EES2_PKS2_PKT2_SB_S8_PKT4_PKT5_S6_PT6_21rocsparse_index_base_b,"axG",@progbits,_ZN9rocsparseL18bsrxmvn_4x4_kernelILj128ELj32Efli18rocsparse_bfloat16S1_fEEvT3_20rocsparse_direction_NS_24const_host_device_scalarIT1_EES2_PKS2_PKT2_SB_S8_PKT4_PKT5_S6_PT6_21rocsparse_index_base_b,comdat
	.globl	_ZN9rocsparseL18bsrxmvn_4x4_kernelILj128ELj32Efli18rocsparse_bfloat16S1_fEEvT3_20rocsparse_direction_NS_24const_host_device_scalarIT1_EES2_PKS2_PKT2_SB_S8_PKT4_PKT5_S6_PT6_21rocsparse_index_base_b ; -- Begin function _ZN9rocsparseL18bsrxmvn_4x4_kernelILj128ELj32Efli18rocsparse_bfloat16S1_fEEvT3_20rocsparse_direction_NS_24const_host_device_scalarIT1_EES2_PKS2_PKT2_SB_S8_PKT4_PKT5_S6_PT6_21rocsparse_index_base_b
	.p2align	8
	.type	_ZN9rocsparseL18bsrxmvn_4x4_kernelILj128ELj32Efli18rocsparse_bfloat16S1_fEEvT3_20rocsparse_direction_NS_24const_host_device_scalarIT1_EES2_PKS2_PKT2_SB_S8_PKT4_PKT5_S6_PT6_21rocsparse_index_base_b,@function
_ZN9rocsparseL18bsrxmvn_4x4_kernelILj128ELj32Efli18rocsparse_bfloat16S1_fEEvT3_20rocsparse_direction_NS_24const_host_device_scalarIT1_EES2_PKS2_PKT2_SB_S8_PKT4_PKT5_S6_PT6_21rocsparse_index_base_b: ; @_ZN9rocsparseL18bsrxmvn_4x4_kernelILj128ELj32Efli18rocsparse_bfloat16S1_fEEvT3_20rocsparse_direction_NS_24const_host_device_scalarIT1_EES2_PKS2_PKT2_SB_S8_PKT4_PKT5_S6_PT6_21rocsparse_index_base_b
; %bb.0:
	s_clause 0x2
	s_load_b64 s[18:19], s[0:1], 0x58
	s_load_b64 s[16:17], s[0:1], 0x8
	;; [unrolled: 1-line block ×3, first 2 shown]
	s_waitcnt lgkmcnt(0)
	s_bitcmp1_b32 s19, 0
	s_cselect_b32 s2, -1, 0
	s_delay_alu instid0(SALU_CYCLE_1)
	s_and_b32 vcc_lo, exec_lo, s2
	s_xor_b32 s2, s2, -1
	s_cbranch_vccnz .LBB113_2
; %bb.1:
	s_load_b32 s16, s[16:17], 0x0
.LBB113_2:
	s_and_not1_b32 vcc_lo, exec_lo, s2
	s_cbranch_vccnz .LBB113_4
; %bb.3:
	s_load_b32 s12, s[12:13], 0x0
.LBB113_4:
	s_waitcnt lgkmcnt(0)
	v_cmp_neq_f32_e64 s2, s16, 0
	v_cmp_neq_f32_e64 s3, s12, 1.0
	s_mov_b32 s6, 0
	s_delay_alu instid0(VALU_DEP_1) | instskip(NEXT) | instid1(SALU_CYCLE_1)
	s_or_b32 s2, s2, s3
	s_and_not1_b32 vcc_lo, exec_lo, s2
	s_cbranch_vccnz .LBB113_10
; %bb.5:
	s_clause 0x1
	s_load_b64 s[4:5], s[0:1], 0x18
	s_load_b64 s[2:3], s[0:1], 0x0
	v_lshrrev_b32_e32 v1, 5, v0
	s_delay_alu instid0(VALU_DEP_1)
	v_lshl_or_b32 v4, s15, 2, v1
	s_waitcnt lgkmcnt(0)
	s_cmp_lg_u64 s[4:5], 0
	s_cbranch_scc0 .LBB113_11
; %bb.6:
	s_load_b32 s6, s[0:1], 0x10
	s_mov_b32 s7, 0
                                        ; implicit-def: $vgpr1
	s_waitcnt lgkmcnt(0)
	v_cmp_gt_i32_e32 vcc_lo, s6, v4
	s_mov_b32 s6, 0
	s_and_saveexec_b32 s8, vcc_lo
	s_delay_alu instid0(SALU_CYCLE_1)
	s_xor_b32 s8, exec_lo, s8
	s_cbranch_execz .LBB113_8
; %bb.7:
	v_ashrrev_i32_e32 v5, 31, v4
	s_mov_b32 s6, exec_lo
	s_delay_alu instid0(VALU_DEP_1) | instskip(NEXT) | instid1(VALU_DEP_1)
	v_lshlrev_b64 v[1:2], 2, v[4:5]
	v_add_co_u32 v1, vcc_lo, s4, v1
	s_delay_alu instid0(VALU_DEP_2)
	v_add_co_ci_u32_e32 v2, vcc_lo, s5, v2, vcc_lo
	global_load_b32 v1, v[1:2], off
	s_waitcnt vmcnt(0)
	v_subrev_nc_u32_e32 v1, s18, v1
.LBB113_8:
	s_or_b32 exec_lo, exec_lo, s8
	s_delay_alu instid0(SALU_CYCLE_1)
	s_and_b32 vcc_lo, exec_lo, s7
	s_cbranch_vccz .LBB113_12
.LBB113_9:
	v_cmp_gt_i32_e32 vcc_lo, s2, v4
	s_and_not1_b32 s2, s6, exec_lo
	s_and_b32 s4, vcc_lo, exec_lo
	s_delay_alu instid0(SALU_CYCLE_1) | instskip(NEXT) | instid1(SALU_CYCLE_1)
	s_or_b32 s6, s2, s4
	s_and_saveexec_b32 s2, s6
	s_cbranch_execnz .LBB113_13
.LBB113_10:
	s_nop 0
	s_sendmsg sendmsg(MSG_DEALLOC_VGPRS)
	s_endpgm
.LBB113_11:
                                        ; implicit-def: $vgpr1
	s_cbranch_execnz .LBB113_9
.LBB113_12:
	s_delay_alu instid0(VALU_DEP_1)
	v_mov_b32_e32 v4, v1
	s_and_saveexec_b32 s2, s6
	s_cbranch_execz .LBB113_10
.LBB113_13:
	s_load_b256 s[4:11], s[0:1], 0x20
	s_delay_alu instid0(VALU_DEP_1) | instskip(SKIP_1) | instid1(VALU_DEP_2)
	v_ashrrev_i32_e32 v5, 31, v4
	v_dual_mov_b32 v20, 0 :: v_dual_and_b32 v19, 31, v0
	v_lshlrev_b64 v[1:2], 3, v[4:5]
	s_waitcnt lgkmcnt(0)
	s_delay_alu instid0(VALU_DEP_1) | instskip(NEXT) | instid1(VALU_DEP_2)
	v_add_co_u32 v5, vcc_lo, s4, v1
	v_add_co_ci_u32_e32 v6, vcc_lo, s5, v2, vcc_lo
	v_add_co_u32 v1, vcc_lo, s6, v1
	v_add_co_ci_u32_e32 v2, vcc_lo, s7, v2, vcc_lo
	s_delay_alu instid0(VALU_DEP_4)
	v_add_co_u32 v3, vcc_lo, v5, 8
	global_load_b64 v[7:8], v[5:6], off
	v_add_co_ci_u32_e32 v9, vcc_lo, 0, v6, vcc_lo
	s_cmp_eq_u64 s[6:7], 0
	s_load_b64 s[4:5], s[0:1], 0x40
	s_cselect_b32 vcc_lo, -1, 0
	s_cmp_eq_u32 s3, 1
	v_dual_cndmask_b32 v2, v2, v9 :: v_dual_cndmask_b32 v1, v1, v3
	s_mov_b32 s3, 0
	global_load_b64 v[2:3], v[1:2], off
	s_waitcnt vmcnt(1)
	v_sub_co_u32 v0, vcc_lo, v7, s18
	v_subrev_co_ci_u32_e32 v1, vcc_lo, 0, v8, vcc_lo
	s_delay_alu instid0(VALU_DEP_2) | instskip(NEXT) | instid1(VALU_DEP_2)
	v_add_co_u32 v0, vcc_lo, v0, v19
	v_add_co_ci_u32_e32 v1, vcc_lo, 0, v1, vcc_lo
	s_delay_alu instid0(VALU_DEP_1) | instskip(SKIP_3) | instid1(VALU_DEP_3)
	v_lshlrev_b64 v[5:6], 5, v[0:1]
	s_waitcnt vmcnt(0)
	v_sub_co_u32 v2, vcc_lo, v2, s18
	v_subrev_co_ci_u32_e32 v3, vcc_lo, 0, v3, vcc_lo
	v_add_co_u32 v5, vcc_lo, s10, v5
	s_delay_alu instid0(VALU_DEP_2)
	v_cmp_lt_i64_e64 s2, v[0:1], v[2:3]
	v_add_co_ci_u32_e32 v6, vcc_lo, s11, v6, vcc_lo
	s_cbranch_scc1 .LBB113_25
; %bb.14:
	v_dual_mov_b32 v22, 0 :: v_dual_mov_b32 v23, 0
	v_mov_b32_e32 v21, 0
	s_delay_alu instid0(VALU_DEP_4)
	s_and_saveexec_b32 s6, s2
	s_cbranch_execz .LBB113_24
; %bb.15:
	v_or_b32_e32 v9, 32, v19
	v_not_b32_e32 v12, v7
	v_not_b32_e32 v11, v8
	v_mov_b32_e32 v23, 0
	v_dual_mov_b32 v21, 0 :: v_dual_mov_b32 v20, 0
	v_sub_co_u32 v9, s7, v9, s18
	s_delay_alu instid0(VALU_DEP_1) | instskip(SKIP_1) | instid1(VALU_DEP_3)
	v_sub_co_ci_u32_e64 v10, null, 0, 0, s7
	v_sub_co_u32 v13, s7, s18, v19
	v_add_co_u32 v9, vcc_lo, v9, v7
	s_delay_alu instid0(VALU_DEP_3) | instskip(SKIP_2) | instid1(VALU_DEP_2)
	v_add_co_ci_u32_e32 v10, vcc_lo, v10, v8, vcc_lo
	v_sub_co_ci_u32_e64 v14, null, 0, 0, s7
	s_mov_b32 s7, exec_lo
	v_cmp_gt_i64_e32 vcc_lo, v[9:10], v[2:3]
	v_mov_b32_e32 v22, 0
	v_dual_cndmask_b32 v10, v3, v10 :: v_dual_cndmask_b32 v9, v2, v9
	v_add_co_u32 v12, vcc_lo, v13, v12
	v_add_co_ci_u32_e32 v11, vcc_lo, v14, v11, vcc_lo
	s_delay_alu instid0(VALU_DEP_2) | instskip(NEXT) | instid1(VALU_DEP_2)
	v_add_co_u32 v13, vcc_lo, v12, v9
	v_add_co_ci_u32_e32 v14, vcc_lo, v11, v10, vcc_lo
	v_mov_b32_e32 v12, v6
	s_delay_alu instid0(VALU_DEP_3) | instskip(SKIP_1) | instid1(VALU_DEP_2)
	v_lshrrev_b32_e32 v9, 5, v13
	v_mov_b32_e32 v11, v5
	v_add_nc_u32_e32 v9, 1, v9
	s_delay_alu instid0(VALU_DEP_1) | instskip(SKIP_1) | instid1(VALU_DEP_2)
	v_dual_mov_b32 v10, v1 :: v_dual_and_b32 v15, 3, v9
	v_mov_b32_e32 v9, v0
	v_cmpx_ne_u32_e32 0, v15
	s_cbranch_execz .LBB113_19
; %bb.16:
	v_lshlrev_b64 v[9:10], 2, v[0:1]
	v_dual_mov_b32 v16, 0 :: v_dual_lshlrev_b32 v15, 3, v15
	v_dual_mov_b32 v12, v6 :: v_dual_mov_b32 v11, v5
	s_mov_b32 s10, 0
	s_delay_alu instid0(VALU_DEP_3) | instskip(NEXT) | instid1(VALU_DEP_4)
	v_add_co_u32 v17, vcc_lo, s8, v9
	v_add_co_ci_u32_e32 v18, vcc_lo, s9, v10, vcc_lo
	v_dual_mov_b32 v10, v1 :: v_dual_mov_b32 v9, v0
	v_mov_b32_e32 v20, v16
	v_mov_b32_e32 v22, v16
	;; [unrolled: 1-line block ×4, first 2 shown]
.LBB113_17:                             ; =>This Inner Loop Header: Depth=1
	global_load_b32 v28, v[17:18], off
	global_load_b128 v[24:27], v[11:12], off
	s_waitcnt vmcnt(1)
	v_subrev_nc_u32_e32 v28, s18, v28
	s_waitcnt vmcnt(0)
	v_lshlrev_b32_e32 v36, 16, v26
	v_lshlrev_b32_e32 v34, 16, v24
	s_delay_alu instid0(VALU_DEP_3) | instskip(NEXT) | instid1(VALU_DEP_1)
	v_lshlrev_b32_e32 v28, 2, v28
	v_ashrrev_i32_e32 v29, 31, v28
	s_delay_alu instid0(VALU_DEP_1) | instskip(SKIP_1) | instid1(VALU_DEP_1)
	v_lshlrev_b64 v[28:29], 1, v[28:29]
	s_waitcnt lgkmcnt(0)
	v_add_co_u32 v32, vcc_lo, s4, v28
	s_delay_alu instid0(VALU_DEP_2)
	v_add_co_ci_u32_e32 v33, vcc_lo, s5, v29, vcc_lo
	global_load_b128 v[28:31], v[11:12], off offset:16
	global_load_b64 v[32:33], v[32:33], off
	v_add_co_u32 v11, vcc_lo, 0x400, v11
	v_add_co_ci_u32_e32 v12, vcc_lo, 0, v12, vcc_lo
	v_add_co_u32 v9, vcc_lo, v9, 32
	v_add_co_ci_u32_e32 v10, vcc_lo, 0, v10, vcc_lo
	;; [unrolled: 2-line block ×3, first 2 shown]
	v_add_co_u32 v15, vcc_lo, v15, -8
	v_add_co_ci_u32_e32 v16, vcc_lo, -1, v16, vcc_lo
	s_delay_alu instid0(VALU_DEP_1) | instskip(SKIP_3) | instid1(VALU_DEP_1)
	v_cmp_eq_u64_e32 vcc_lo, 0, v[15:16]
	s_or_b32 s10, vcc_lo, s10
	s_waitcnt vmcnt(0)
	v_lshlrev_b32_e32 v42, 16, v32
	v_dual_fmac_f32 v23, v36, v42 :: v_dual_and_b32 v32, 0xffff0000, v32
	v_dual_fmac_f32 v21, v34, v42 :: v_dual_lshlrev_b32 v34, 16, v33
	v_lshlrev_b32_e32 v38, 16, v28
	v_lshlrev_b32_e32 v35, 16, v25
	;; [unrolled: 1-line block ×3, first 2 shown]
	v_and_b32_e32 v25, 0xffff0000, v25
	v_and_b32_e32 v28, 0xffff0000, v28
	v_fmac_f32_e32 v22, v38, v42
	v_and_b32_e32 v24, 0xffff0000, v24
	v_dual_fmac_f32 v20, v40, v42 :: v_dual_lshlrev_b32 v37, 16, v27
	s_delay_alu instid0(VALU_DEP_3) | instskip(NEXT) | instid1(VALU_DEP_3)
	v_fmac_f32_e32 v22, v28, v32
	v_dual_fmac_f32 v21, v24, v32 :: v_dual_and_b32 v24, 0xffff0000, v33
	v_lshlrev_b32_e32 v41, 16, v31
	v_and_b32_e32 v31, 0xffff0000, v31
	s_delay_alu instid0(VALU_DEP_3) | instskip(NEXT) | instid1(VALU_DEP_1)
	v_fmac_f32_e32 v21, v35, v34
	v_dual_fmac_f32 v21, v25, v24 :: v_dual_and_b32 v26, 0xffff0000, v26
	s_delay_alu instid0(VALU_DEP_1) | instskip(NEXT) | instid1(VALU_DEP_1)
	v_fmac_f32_e32 v23, v26, v32
	v_fmac_f32_e32 v23, v37, v34
	v_and_b32_e32 v30, 0xffff0000, v30
	s_delay_alu instid0(VALU_DEP_1) | instskip(SKIP_1) | instid1(VALU_DEP_2)
	v_dual_fmac_f32 v20, v30, v32 :: v_dual_and_b32 v27, 0xffff0000, v27
	v_lshlrev_b32_e32 v39, 16, v29
	v_dual_fmac_f32 v23, v27, v24 :: v_dual_fmac_f32 v20, v41, v34
	s_delay_alu instid0(VALU_DEP_2) | instskip(NEXT) | instid1(VALU_DEP_2)
	v_dual_fmac_f32 v22, v39, v34 :: v_dual_and_b32 v29, 0xffff0000, v29
	v_fmac_f32_e32 v20, v31, v24
	s_delay_alu instid0(VALU_DEP_2)
	v_fmac_f32_e32 v22, v29, v24
	s_and_not1_b32 exec_lo, exec_lo, s10
	s_cbranch_execnz .LBB113_17
; %bb.18:
	s_or_b32 exec_lo, exec_lo, s10
.LBB113_19:
	s_delay_alu instid0(SALU_CYCLE_1) | instskip(NEXT) | instid1(SALU_CYCLE_1)
	s_or_b32 exec_lo, exec_lo, s7
	s_mov_b32 s7, exec_lo
	v_cmpx_lt_u64_e32 0x5f, v[13:14]
	s_cbranch_execz .LBB113_23
; %bb.20:
	v_lshlrev_b64 v[13:14], 2, v[9:10]
	s_mov_b32 s10, 0
	s_delay_alu instid0(VALU_DEP_1) | instskip(NEXT) | instid1(VALU_DEP_2)
	v_add_co_u32 v13, vcc_lo, v13, s8
	v_add_co_ci_u32_e32 v14, vcc_lo, s9, v14, vcc_lo
	s_delay_alu instid0(VALU_DEP_2) | instskip(NEXT) | instid1(VALU_DEP_2)
	v_add_co_u32 v13, vcc_lo, 0x100, v13
	v_add_co_ci_u32_e32 v14, vcc_lo, 0, v14, vcc_lo
.LBB113_21:                             ; =>This Inner Loop Header: Depth=1
	s_clause 0x3
	global_load_b32 v52, v[13:14], off offset:-256
	global_load_b32 v53, v[13:14], off offset:-128
	global_load_b32 v54, v[13:14], off
	global_load_b32 v55, v[13:14], off offset:128
	s_clause 0x7
	global_load_b128 v[15:18], v[11:12], off
	global_load_b128 v[24:27], v[11:12], off offset:16
	global_load_b128 v[28:31], v[11:12], off offset:1024
	;; [unrolled: 1-line block ×7, first 2 shown]
	s_waitcnt vmcnt(11)
	v_subrev_nc_u32_e32 v52, s18, v52
	s_waitcnt vmcnt(10)
	v_subrev_nc_u32_e32 v53, s18, v53
	;; [unrolled: 2-line block ×4, first 2 shown]
	s_waitcnt vmcnt(7)
	v_lshlrev_b32_e32 v60, 16, v15
	v_lshlrev_b32_e32 v62, 16, v17
	s_waitcnt vmcnt(5)
	v_lshlrev_b32_e32 v69, 16, v29
	v_lshlrev_b32_e32 v70, 16, v30
	;; [unrolled: 1-line block ×3, first 2 shown]
	s_waitcnt vmcnt(3)
	v_lshlrev_b32_e32 v77, 16, v37
	v_and_b32_e32 v37, 0xffff0000, v37
	v_lshlrev_b32_e32 v76, 16, v36
	v_lshlrev_b32_e32 v74, 16, v34
	;; [unrolled: 1-line block ×3, first 2 shown]
	v_and_b32_e32 v30, 0xffff0000, v30
	v_lshlrev_b32_e32 v78, 16, v38
	v_and_b32_e32 v34, 0xffff0000, v34
	v_lshlrev_b32_e32 v73, 16, v33
	v_and_b32_e32 v31, 0xffff0000, v31
	s_waitcnt vmcnt(1)
	v_lshlrev_b32_e32 v85, 16, v45
	v_and_b32_e32 v45, 0xffff0000, v45
	v_lshlrev_b32_e32 v84, 16, v44
	v_lshlrev_b32_e32 v86, 16, v46
	s_waitcnt vmcnt(0)
	v_lshlrev_b32_e32 v88, 16, v48
	v_lshlrev_b32_e32 v83, 16, v43
	v_and_b32_e32 v48, 0xffff0000, v48
	v_lshlrev_b32_e32 v89, 16, v49
	v_lshlrev_b32_e32 v87, 16, v47
	v_and_b32_e32 v46, 0xffff0000, v46
	v_lshlrev_b32_e32 v91, 16, v51
	v_and_b32_e32 v47, 0xffff0000, v47
	v_and_b32_e32 v44, 0xffff0000, v44
	v_lshlrev_b32_e32 v80, 16, v40
	v_and_b32_e32 v40, 0xffff0000, v40
	v_lshlrev_b32_e32 v81, 16, v41
	v_lshlrev_b32_e32 v79, 16, v39
	v_and_b32_e32 v38, 0xffff0000, v38
	v_and_b32_e32 v39, 0xffff0000, v39
	v_and_b32_e32 v36, 0xffff0000, v36
	v_lshlrev_b32_e32 v72, 16, v32
	v_and_b32_e32 v32, 0xffff0000, v32
	v_and_b32_e32 v29, 0xffff0000, v29
	v_lshlrev_b32_e32 v68, 16, v28
	v_and_b32_e32 v28, 0xffff0000, v28
	v_and_b32_e32 v24, 0xffff0000, v24
	v_lshlrev_b32_e32 v63, 16, v18
	v_lshlrev_b32_e32 v66, 16, v26
	v_and_b32_e32 v26, 0xffff0000, v26
	v_lshlrev_b32_e32 v65, 16, v25
	v_and_b32_e32 v25, 0xffff0000, v25
	;; [unrolled: 2-line block ×3, first 2 shown]
	v_lshlrev_b32_e32 v52, 2, v52
	v_lshlrev_b32_e32 v54, 2, v53
	;; [unrolled: 1-line block ×3, first 2 shown]
	v_and_b32_e32 v18, 0xffff0000, v18
	v_lshlrev_b32_e32 v56, 2, v56
	v_ashrrev_i32_e32 v53, 31, v52
	v_ashrrev_i32_e32 v55, 31, v54
	;; [unrolled: 1-line block ×3, first 2 shown]
	v_lshlrev_b32_e32 v75, 16, v35
	v_ashrrev_i32_e32 v57, 31, v56
	v_lshlrev_b64 v[52:53], 1, v[52:53]
	v_lshlrev_b64 v[54:55], 1, v[54:55]
	;; [unrolled: 1-line block ×3, first 2 shown]
	v_lshlrev_b32_e32 v82, 16, v42
	v_lshlrev_b64 v[56:57], 1, v[56:57]
	v_and_b32_e32 v42, 0xffff0000, v42
	s_waitcnt lgkmcnt(0)
	v_add_co_u32 v52, vcc_lo, s4, v52
	v_add_co_ci_u32_e32 v53, vcc_lo, s5, v53, vcc_lo
	v_add_co_u32 v54, vcc_lo, s4, v54
	v_add_co_ci_u32_e32 v55, vcc_lo, s5, v55, vcc_lo
	global_load_b64 v[52:53], v[52:53], off
	v_add_co_u32 v56, vcc_lo, s4, v56
	global_load_b64 v[54:55], v[54:55], off
	v_add_co_ci_u32_e32 v57, vcc_lo, s5, v57, vcc_lo
	v_add_co_u32 v58, vcc_lo, s4, v58
	v_add_co_ci_u32_e32 v59, vcc_lo, s5, v59, vcc_lo
	global_load_b64 v[56:57], v[56:57], off
	v_lshlrev_b32_e32 v90, 16, v50
	v_and_b32_e32 v50, 0xffff0000, v50
	global_load_b64 v[58:59], v[58:59], off
	v_add_co_u32 v11, vcc_lo, 0x1000, v11
	v_add_co_ci_u32_e32 v12, vcc_lo, 0, v12, vcc_lo
	v_add_co_u32 v9, vcc_lo, 0x80, v9
	v_add_co_ci_u32_e32 v10, vcc_lo, 0, v10, vcc_lo
	v_add_co_u32 v13, vcc_lo, 0x200, v13
	v_and_b32_e32 v51, 0xffff0000, v51
	v_add_co_ci_u32_e32 v14, vcc_lo, 0, v14, vcc_lo
	s_delay_alu instid0(VALU_DEP_4)
	v_cmp_ge_i64_e32 vcc_lo, v[9:10], v[2:3]
	s_or_b32 s10, vcc_lo, s10
	s_waitcnt vmcnt(3)
	v_lshlrev_b32_e32 v92, 16, v52
	v_and_b32_e32 v15, 0xffff0000, v15
	v_and_b32_e32 v52, 0xffff0000, v52
	s_delay_alu instid0(VALU_DEP_3) | instskip(SKIP_3) | instid1(VALU_DEP_4)
	v_dual_fmac_f32 v20, v66, v92 :: v_dual_and_b32 v17, 0xffff0000, v17
	v_fmac_f32_e32 v22, v64, v92
	v_dual_fmac_f32 v21, v60, v92 :: v_dual_lshlrev_b32 v60, 16, v53
	v_fmac_f32_e32 v23, v62, v92
	v_fmac_f32_e32 v20, v26, v52
	s_delay_alu instid0(VALU_DEP_4) | instskip(NEXT) | instid1(VALU_DEP_4)
	v_fmac_f32_e32 v22, v24, v52
	v_fmac_f32_e32 v21, v15, v52
	v_and_b32_e32 v15, 0xffff0000, v53
	v_fmac_f32_e32 v23, v17, v52
	s_waitcnt vmcnt(2)
	v_dual_fmac_f32 v22, v65, v60 :: v_dual_lshlrev_b32 v17, 16, v54
	s_delay_alu instid0(VALU_DEP_1) | instskip(SKIP_2) | instid1(VALU_DEP_3)
	v_dual_fmac_f32 v23, v63, v60 :: v_dual_fmac_f32 v22, v25, v15
	v_lshlrev_b32_e32 v67, 16, v27
	v_fmac_f32_e32 v21, v61, v60
	v_dual_fmac_f32 v23, v18, v15 :: v_dual_fmac_f32 v22, v72, v17
	s_delay_alu instid0(VALU_DEP_3) | instskip(NEXT) | instid1(VALU_DEP_3)
	v_dual_fmac_f32 v20, v67, v60 :: v_dual_and_b32 v27, 0xffff0000, v27
	v_fmac_f32_e32 v21, v16, v15
	v_lshlrev_b32_e32 v16, 16, v55
	s_delay_alu instid0(VALU_DEP_3) | instskip(NEXT) | instid1(VALU_DEP_3)
	v_dual_fmac_f32 v20, v27, v15 :: v_dual_and_b32 v15, 0xffff0000, v54
	v_fmac_f32_e32 v21, v68, v17
	s_delay_alu instid0(VALU_DEP_2) | instskip(NEXT) | instid1(VALU_DEP_3)
	v_fmac_f32_e32 v20, v74, v17
	v_fmac_f32_e32 v22, v32, v15
	s_delay_alu instid0(VALU_DEP_3) | instskip(NEXT) | instid1(VALU_DEP_3)
	v_fmac_f32_e32 v21, v28, v15
	v_dual_fmac_f32 v20, v34, v15 :: v_dual_and_b32 v33, 0xffff0000, v33
	s_delay_alu instid0(VALU_DEP_2) | instskip(NEXT) | instid1(VALU_DEP_4)
	v_fmac_f32_e32 v21, v69, v16
	v_dual_fmac_f32 v23, v70, v17 :: v_dual_fmac_f32 v22, v73, v16
	s_delay_alu instid0(VALU_DEP_1) | instskip(SKIP_1) | instid1(VALU_DEP_2)
	v_dual_fmac_f32 v20, v75, v16 :: v_dual_fmac_f32 v23, v30, v15
	v_and_b32_e32 v15, 0xffff0000, v55
	v_fmac_f32_e32 v23, v71, v16
	s_waitcnt vmcnt(1)
	v_lshlrev_b32_e32 v16, 16, v56
	v_and_b32_e32 v35, 0xffff0000, v35
	v_fmac_f32_e32 v21, v29, v15
	v_fmac_f32_e32 v22, v33, v15
	v_fmac_f32_e32 v23, v31, v15
	s_delay_alu instid0(VALU_DEP_4) | instskip(NEXT) | instid1(VALU_DEP_4)
	v_dual_fmac_f32 v20, v35, v15 :: v_dual_and_b32 v15, 0xffff0000, v56
	v_fmac_f32_e32 v21, v76, v16
	s_delay_alu instid0(VALU_DEP_3) | instskip(SKIP_1) | instid1(VALU_DEP_4)
	v_fmac_f32_e32 v23, v78, v16
	v_fmac_f32_e32 v22, v80, v16
	v_dual_fmac_f32 v20, v82, v16 :: v_dual_and_b32 v41, 0xffff0000, v41
	s_delay_alu instid0(VALU_DEP_4) | instskip(NEXT) | instid1(VALU_DEP_4)
	v_dual_fmac_f32 v21, v36, v15 :: v_dual_lshlrev_b32 v16, 16, v57
	v_fmac_f32_e32 v23, v38, v15
	s_delay_alu instid0(VALU_DEP_3) | instskip(SKIP_1) | instid1(VALU_DEP_4)
	v_fmac_f32_e32 v20, v42, v15
	v_dual_fmac_f32 v22, v40, v15 :: v_dual_and_b32 v15, 0xffff0000, v57
	v_fmac_f32_e32 v21, v77, v16
	s_delay_alu instid0(VALU_DEP_3) | instskip(NEXT) | instid1(VALU_DEP_3)
	v_fmac_f32_e32 v20, v83, v16
	v_fmac_f32_e32 v22, v81, v16
	s_waitcnt vmcnt(0)
	v_dual_fmac_f32 v23, v79, v16 :: v_dual_lshlrev_b32 v16, 16, v58
	v_and_b32_e32 v43, 0xffff0000, v43
	v_fmac_f32_e32 v21, v37, v15
	v_fmac_f32_e32 v22, v41, v15
	s_delay_alu instid0(VALU_DEP_4) | instskip(NEXT) | instid1(VALU_DEP_4)
	v_fmac_f32_e32 v23, v39, v15
	v_dual_fmac_f32 v20, v43, v15 :: v_dual_and_b32 v15, 0xffff0000, v58
	s_delay_alu instid0(VALU_DEP_4) | instskip(NEXT) | instid1(VALU_DEP_3)
	v_fmac_f32_e32 v21, v84, v16
	v_fmac_f32_e32 v23, v86, v16
	;; [unrolled: 1-line block ×3, first 2 shown]
	s_delay_alu instid0(VALU_DEP_4) | instskip(SKIP_3) | instid1(VALU_DEP_4)
	v_dual_fmac_f32 v20, v90, v16 :: v_dual_and_b32 v49, 0xffff0000, v49
	v_lshlrev_b32_e32 v16, 16, v59
	v_fmac_f32_e32 v21, v44, v15
	v_fmac_f32_e32 v23, v46, v15
	;; [unrolled: 1-line block ×4, first 2 shown]
	v_and_b32_e32 v15, 0xffff0000, v59
	v_fmac_f32_e32 v21, v85, v16
	s_delay_alu instid0(VALU_DEP_4) | instskip(NEXT) | instid1(VALU_DEP_4)
	v_fmac_f32_e32 v20, v91, v16
	v_fmac_f32_e32 v22, v89, v16
	;; [unrolled: 1-line block ×3, first 2 shown]
	s_delay_alu instid0(VALU_DEP_4) | instskip(NEXT) | instid1(VALU_DEP_4)
	v_fmac_f32_e32 v21, v45, v15
	v_fmac_f32_e32 v20, v51, v15
	s_delay_alu instid0(VALU_DEP_4) | instskip(NEXT) | instid1(VALU_DEP_4)
	v_fmac_f32_e32 v22, v49, v15
	v_fmac_f32_e32 v23, v47, v15
	s_and_not1_b32 exec_lo, exec_lo, s10
	s_cbranch_execnz .LBB113_21
; %bb.22:
	s_or_b32 exec_lo, exec_lo, s10
.LBB113_23:
	s_delay_alu instid0(SALU_CYCLE_1)
	s_or_b32 exec_lo, exec_lo, s7
.LBB113_24:
	s_delay_alu instid0(SALU_CYCLE_1) | instskip(NEXT) | instid1(SALU_CYCLE_1)
	s_or_b32 exec_lo, exec_lo, s6
	s_and_not1_b32 vcc_lo, exec_lo, s3
	s_cbranch_vccz .LBB113_26
	s_branch .LBB113_37
.LBB113_25:
                                        ; implicit-def: $vgpr20
                                        ; implicit-def: $vgpr22
                                        ; implicit-def: $vgpr23
                                        ; implicit-def: $vgpr21
.LBB113_26:
	v_dual_mov_b32 v20, 0 :: v_dual_mov_b32 v23, 0
	v_dual_mov_b32 v22, 0 :: v_dual_mov_b32 v21, 0
	s_delay_alu instid0(VALU_DEP_4)
	s_and_saveexec_b32 s3, s2
	s_cbranch_execz .LBB113_36
; %bb.27:
	v_or_b32_e32 v9, 32, v19
	v_mov_b32_e32 v21, 0
	v_dual_mov_b32 v23, 0 :: v_dual_mov_b32 v22, 0
	v_mov_b32_e32 v20, 0
	s_delay_alu instid0(VALU_DEP_4) | instskip(NEXT) | instid1(VALU_DEP_1)
	v_sub_co_u32 v9, s2, v9, s18
	v_sub_co_ci_u32_e64 v10, null, 0, 0, s2
	v_sub_co_u32 v11, s2, s18, v19
	s_delay_alu instid0(VALU_DEP_3) | instskip(NEXT) | instid1(VALU_DEP_3)
	v_add_co_u32 v9, vcc_lo, v9, v7
	v_add_co_ci_u32_e32 v10, vcc_lo, v10, v8, vcc_lo
	v_not_b32_e32 v7, v7
	v_not_b32_e32 v8, v8
	v_sub_co_ci_u32_e64 v12, null, 0, 0, s2
	s_delay_alu instid0(VALU_DEP_4) | instskip(SKIP_4) | instid1(VALU_DEP_2)
	v_cmp_gt_i64_e32 vcc_lo, v[9:10], v[2:3]
	s_mov_b32 s2, exec_lo
	v_dual_cndmask_b32 v10, v3, v10 :: v_dual_cndmask_b32 v9, v2, v9
	v_add_co_u32 v7, vcc_lo, v11, v7
	v_add_co_ci_u32_e32 v8, vcc_lo, v12, v8, vcc_lo
	v_add_co_u32 v7, vcc_lo, v7, v9
	s_delay_alu instid0(VALU_DEP_2) | instskip(NEXT) | instid1(VALU_DEP_2)
	v_add_co_ci_u32_e32 v8, vcc_lo, v8, v10, vcc_lo
	v_lshrrev_b32_e32 v9, 5, v7
	s_delay_alu instid0(VALU_DEP_1) | instskip(NEXT) | instid1(VALU_DEP_1)
	v_add_nc_u32_e32 v9, 1, v9
	v_and_b32_e32 v9, 3, v9
	s_delay_alu instid0(VALU_DEP_1)
	v_cmpx_ne_u32_e32 0, v9
	s_cbranch_execz .LBB113_31
; %bb.28:
	v_lshlrev_b64 v[11:12], 2, v[0:1]
	v_dual_mov_b32 v10, 0 :: v_dual_lshlrev_b32 v9, 3, v9
	s_mov_b32 s6, 0
	s_delay_alu instid0(VALU_DEP_1) | instskip(NEXT) | instid1(VALU_DEP_3)
	v_mov_b32_e32 v20, v10
	v_add_co_u32 v11, vcc_lo, s8, v11
	s_delay_alu instid0(VALU_DEP_4)
	v_add_co_ci_u32_e32 v12, vcc_lo, s9, v12, vcc_lo
	v_mov_b32_e32 v22, v10
	v_mov_b32_e32 v23, v10
	;; [unrolled: 1-line block ×3, first 2 shown]
.LBB113_29:                             ; =>This Inner Loop Header: Depth=1
	global_load_b32 v17, v[11:12], off
	global_load_b128 v[13:16], v[5:6], off
	s_waitcnt vmcnt(1)
	v_subrev_nc_u32_e32 v17, s18, v17
	s_waitcnt vmcnt(0)
	v_lshlrev_b32_e32 v31, 16, v16
	v_lshlrev_b32_e32 v29, 16, v14
	s_delay_alu instid0(VALU_DEP_3) | instskip(NEXT) | instid1(VALU_DEP_1)
	v_lshlrev_b32_e32 v17, 2, v17
	v_ashrrev_i32_e32 v18, 31, v17
	s_delay_alu instid0(VALU_DEP_1) | instskip(SKIP_1) | instid1(VALU_DEP_1)
	v_lshlrev_b64 v[17:18], 1, v[17:18]
	s_waitcnt lgkmcnt(0)
	v_add_co_u32 v17, vcc_lo, s4, v17
	s_delay_alu instid0(VALU_DEP_2)
	v_add_co_ci_u32_e32 v18, vcc_lo, s5, v18, vcc_lo
	global_load_b64 v[17:18], v[17:18], off
	global_load_b128 v[24:27], v[5:6], off offset:16
	v_add_co_u32 v5, vcc_lo, 0x400, v5
	v_add_co_ci_u32_e32 v6, vcc_lo, 0, v6, vcc_lo
	v_add_co_u32 v0, vcc_lo, v0, 32
	v_add_co_ci_u32_e32 v1, vcc_lo, 0, v1, vcc_lo
	;; [unrolled: 2-line block ×3, first 2 shown]
	v_add_co_u32 v9, vcc_lo, v9, -8
	v_add_co_ci_u32_e32 v10, vcc_lo, -1, v10, vcc_lo
	s_delay_alu instid0(VALU_DEP_1)
	v_cmp_eq_u64_e32 vcc_lo, 0, v[9:10]
	s_or_b32 s6, vcc_lo, s6
	s_waitcnt vmcnt(0)
	v_lshlrev_b32_e32 v34, 16, v26
	v_lshlrev_b32_e32 v36, 16, v17
	;; [unrolled: 1-line block ×3, first 2 shown]
	v_and_b32_e32 v14, 0xffff0000, v14
	v_and_b32_e32 v13, 0xffff0000, v13
	v_and_b32_e32 v17, 0xffff0000, v17
	v_and_b32_e32 v26, 0xffff0000, v26
	s_delay_alu instid0(VALU_DEP_4) | instskip(NEXT) | instid1(VALU_DEP_4)
	v_fmac_f32_e32 v20, v14, v36
	v_dual_fmac_f32 v23, v13, v36 :: v_dual_lshlrev_b32 v30, 16, v15
	v_fmac_f32_e32 v21, v28, v36
	v_and_b32_e32 v16, 0xffff0000, v16
	v_and_b32_e32 v15, 0xffff0000, v15
	v_lshlrev_b32_e32 v13, 16, v18
	v_and_b32_e32 v14, 0xffff0000, v18
	s_delay_alu instid0(VALU_DEP_4) | instskip(NEXT) | instid1(VALU_DEP_4)
	v_fmac_f32_e32 v20, v16, v17
	v_dual_fmac_f32 v23, v15, v17 :: v_dual_lshlrev_b32 v32, 16, v24
	v_dual_fmac_f32 v21, v30, v17 :: v_dual_and_b32 v24, 0xffff0000, v24
	v_lshlrev_b32_e32 v35, 16, v27
	v_lshlrev_b32_e32 v33, 16, v25
	v_and_b32_e32 v27, 0xffff0000, v27
	v_and_b32_e32 v25, 0xffff0000, v25
	v_fmac_f32_e32 v23, v24, v13
	v_fmac_f32_e32 v21, v32, v13
	s_delay_alu instid0(VALU_DEP_2) | instskip(NEXT) | instid1(VALU_DEP_2)
	v_dual_fmac_f32 v20, v25, v13 :: v_dual_fmac_f32 v23, v26, v14
	v_dual_fmac_f32 v21, v34, v14 :: v_dual_fmac_f32 v22, v29, v36
	s_delay_alu instid0(VALU_DEP_2) | instskip(NEXT) | instid1(VALU_DEP_2)
	v_fmac_f32_e32 v20, v27, v14
	v_fmac_f32_e32 v22, v31, v17
	s_delay_alu instid0(VALU_DEP_1) | instskip(NEXT) | instid1(VALU_DEP_1)
	v_fmac_f32_e32 v22, v33, v13
	v_fmac_f32_e32 v22, v35, v14
	s_and_not1_b32 exec_lo, exec_lo, s6
	s_cbranch_execnz .LBB113_29
; %bb.30:
	s_or_b32 exec_lo, exec_lo, s6
.LBB113_31:
	s_delay_alu instid0(SALU_CYCLE_1) | instskip(NEXT) | instid1(SALU_CYCLE_1)
	s_or_b32 exec_lo, exec_lo, s2
	s_mov_b32 s2, exec_lo
	v_cmpx_lt_u64_e32 0x5f, v[7:8]
	s_cbranch_execz .LBB113_35
; %bb.32:
	v_lshlrev_b64 v[7:8], 2, v[0:1]
	s_mov_b32 s6, 0
	s_delay_alu instid0(VALU_DEP_1) | instskip(NEXT) | instid1(VALU_DEP_2)
	v_add_co_u32 v7, vcc_lo, v7, s8
	v_add_co_ci_u32_e32 v8, vcc_lo, s9, v8, vcc_lo
	s_delay_alu instid0(VALU_DEP_2) | instskip(NEXT) | instid1(VALU_DEP_2)
	v_add_co_u32 v7, vcc_lo, 0x100, v7
	v_add_co_ci_u32_e32 v8, vcc_lo, 0, v8, vcc_lo
.LBB113_33:                             ; =>This Inner Loop Header: Depth=1
	s_clause 0x3
	global_load_b32 v17, v[7:8], off offset:-256
	global_load_b32 v18, v[7:8], off offset:-128
	global_load_b32 v44, v[7:8], off
	global_load_b32 v45, v[7:8], off offset:128
	s_clause 0x6
	global_load_b128 v[9:12], v[5:6], off
	global_load_b128 v[13:16], v[5:6], off offset:16
	global_load_b128 v[24:27], v[5:6], off offset:1024
	;; [unrolled: 1-line block ×6, first 2 shown]
	s_waitcnt vmcnt(10)
	v_subrev_nc_u32_e32 v17, s18, v17
	s_waitcnt vmcnt(9)
	v_subrev_nc_u32_e32 v18, s18, v18
	s_waitcnt vmcnt(8)
	v_subrev_nc_u32_e32 v46, s18, v44
	s_waitcnt vmcnt(7)
	v_subrev_nc_u32_e32 v45, s18, v45
	s_waitcnt vmcnt(6)
	v_lshlrev_b32_e32 v54, 16, v9
	s_waitcnt vmcnt(5)
	v_lshlrev_b32_e32 v59, 16, v14
	v_lshlrev_b32_e32 v57, 16, v12
	;; [unrolled: 1-line block ×4, first 2 shown]
	s_waitcnt vmcnt(4)
	v_lshlrev_b32_e32 v65, 16, v27
	v_lshlrev_b32_e32 v63, 16, v25
	;; [unrolled: 1-line block ×3, first 2 shown]
	s_waitcnt vmcnt(0)
	v_lshlrev_b32_e32 v80, 16, v42
	v_lshlrev_b32_e32 v78, 16, v40
	v_and_b32_e32 v42, 0xffff0000, v42
	v_and_b32_e32 v40, 0xffff0000, v40
	v_lshlrev_b32_e32 v76, 16, v38
	v_lshlrev_b32_e32 v74, 16, v36
	v_and_b32_e32 v38, 0xffff0000, v38
	v_and_b32_e32 v36, 0xffff0000, v36
	;; [unrolled: 4-line block ×4, first 2 shown]
	v_lshlrev_b32_e32 v64, 16, v26
	v_and_b32_e32 v16, 0xffff0000, v16
	v_and_b32_e32 v26, 0xffff0000, v26
	v_lshlrev_b32_e32 v62, 16, v24
	v_and_b32_e32 v24, 0xffff0000, v24
	v_lshlrev_b32_e32 v60, 16, v15
	;; [unrolled: 2-line block ×4, first 2 shown]
	v_lshlrev_b32_e32 v44, 2, v18
	v_ashrrev_i32_e32 v18, 31, v17
	v_and_b32_e32 v12, 0xffff0000, v12
	v_and_b32_e32 v11, 0xffff0000, v11
	v_lshlrev_b32_e32 v46, 2, v46
	v_lshlrev_b32_e32 v48, 2, v45
	v_ashrrev_i32_e32 v45, 31, v44
	v_lshlrev_b64 v[17:18], 1, v[17:18]
	v_and_b32_e32 v10, 0xffff0000, v10
	v_ashrrev_i32_e32 v47, 31, v46
	v_ashrrev_i32_e32 v49, 31, v48
	v_lshlrev_b64 v[44:45], 1, v[44:45]
	v_and_b32_e32 v14, 0xffff0000, v14
	s_waitcnt lgkmcnt(0)
	v_add_co_u32 v17, vcc_lo, s4, v17
	v_lshlrev_b64 v[46:47], 1, v[46:47]
	v_add_co_ci_u32_e32 v18, vcc_lo, s5, v18, vcc_lo
	v_lshlrev_b64 v[48:49], 1, v[48:49]
	v_add_co_u32 v44, vcc_lo, s4, v44
	v_add_co_ci_u32_e32 v45, vcc_lo, s5, v45, vcc_lo
	v_add_co_u32 v46, vcc_lo, s4, v46
	v_add_co_ci_u32_e32 v47, vcc_lo, s5, v47, vcc_lo
	;; [unrolled: 2-line block ×3, first 2 shown]
	s_clause 0x3
	global_load_b64 v[17:18], v[17:18], off
	global_load_b64 v[50:51], v[44:45], off
	;; [unrolled: 1-line block ×4, first 2 shown]
	global_load_b128 v[44:47], v[5:6], off offset:3088
	v_lshlrev_b32_e32 v69, 16, v31
	v_lshlrev_b32_e32 v67, 16, v29
	v_and_b32_e32 v27, 0xffff0000, v27
	v_lshlrev_b32_e32 v73, 16, v35
	v_lshlrev_b32_e32 v71, 16, v33
	v_and_b32_e32 v31, 0xffff0000, v31
	;; [unrolled: 3-line block ×4, first 2 shown]
	v_add_co_u32 v5, vcc_lo, 0x1000, v5
	v_add_co_ci_u32_e32 v6, vcc_lo, 0, v6, vcc_lo
	v_add_co_u32 v0, vcc_lo, 0x80, v0
	v_add_co_ci_u32_e32 v1, vcc_lo, 0, v1, vcc_lo
	;; [unrolled: 2-line block ×3, first 2 shown]
	s_delay_alu instid0(VALU_DEP_3)
	v_cmp_ge_i64_e32 vcc_lo, v[0:1], v[2:3]
	s_or_b32 s6, vcc_lo, s6
	s_waitcnt vmcnt(4)
	v_lshlrev_b32_e32 v86, 16, v17
	v_and_b32_e32 v9, 0xffff0000, v9
	v_and_b32_e32 v17, 0xffff0000, v17
	s_waitcnt vmcnt(0)
	s_delay_alu instid0(VALU_DEP_3) | instskip(SKIP_3) | instid1(VALU_DEP_4)
	v_dual_fmac_f32 v22, v55, v86 :: v_dual_lshlrev_b32 v85, 16, v47
	v_fmac_f32_e32 v20, v10, v86
	v_fmac_f32_e32 v23, v9, v86
	v_lshlrev_b32_e32 v9, 16, v18
	v_dual_fmac_f32 v21, v54, v86 :: v_dual_fmac_f32 v22, v57, v17
	s_delay_alu instid0(VALU_DEP_4) | instskip(NEXT) | instid1(VALU_DEP_4)
	v_fmac_f32_e32 v20, v12, v17
	v_dual_fmac_f32 v23, v11, v17 :: v_dual_and_b32 v10, 0xffff0000, v18
	v_lshlrev_b32_e32 v83, 16, v45
	s_delay_alu instid0(VALU_DEP_3)
	v_dual_fmac_f32 v20, v14, v9 :: v_dual_and_b32 v43, 0xffff0000, v43
	v_fmac_f32_e32 v22, v59, v9
	v_lshlrev_b32_e32 v84, 16, v46
	v_lshlrev_b32_e32 v82, 16, v44
	v_and_b32_e32 v46, 0xffff0000, v46
	v_fmac_f32_e32 v20, v16, v10
	v_fmac_f32_e32 v22, v61, v10
	;; [unrolled: 1-line block ×3, first 2 shown]
	v_dual_fmac_f32 v21, v56, v17 :: v_dual_and_b32 v44, 0xffff0000, v44
	v_and_b32_e32 v47, 0xffff0000, v47
	s_delay_alu instid0(VALU_DEP_3) | instskip(NEXT) | instid1(VALU_DEP_3)
	v_fmac_f32_e32 v23, v15, v10
	v_fmac_f32_e32 v21, v58, v9
	v_lshlrev_b32_e32 v9, 16, v50
	s_delay_alu instid0(VALU_DEP_1) | instskip(NEXT) | instid1(VALU_DEP_3)
	v_fmac_f32_e32 v23, v24, v9
	v_fmac_f32_e32 v21, v60, v10
	v_and_b32_e32 v10, 0xffff0000, v50
	v_and_b32_e32 v25, 0xffff0000, v25
	s_delay_alu instid0(VALU_DEP_2) | instskip(NEXT) | instid1(VALU_DEP_4)
	v_dual_fmac_f32 v22, v63, v9 :: v_dual_fmac_f32 v23, v26, v10
	v_fmac_f32_e32 v21, v62, v9
	s_delay_alu instid0(VALU_DEP_3) | instskip(NEXT) | instid1(VALU_DEP_1)
	v_dual_fmac_f32 v20, v25, v9 :: v_dual_lshlrev_b32 v9, 16, v51
	v_dual_fmac_f32 v22, v65, v10 :: v_dual_fmac_f32 v23, v28, v9
	s_delay_alu instid0(VALU_DEP_1) | instskip(NEXT) | instid1(VALU_DEP_3)
	v_dual_fmac_f32 v21, v64, v10 :: v_dual_fmac_f32 v22, v67, v9
	v_fmac_f32_e32 v20, v27, v10
	v_and_b32_e32 v10, 0xffff0000, v51
	v_and_b32_e32 v29, 0xffff0000, v29
	s_delay_alu instid0(VALU_DEP_4) | instskip(NEXT) | instid1(VALU_DEP_2)
	v_fmac_f32_e32 v21, v66, v9
	v_dual_fmac_f32 v23, v30, v10 :: v_dual_fmac_f32 v20, v29, v9
	v_dual_fmac_f32 v22, v69, v10 :: v_dual_lshlrev_b32 v9, 16, v52
	s_delay_alu instid0(VALU_DEP_1) | instskip(NEXT) | instid1(VALU_DEP_2)
	v_fmac_f32_e32 v23, v32, v9
	v_dual_fmac_f32 v21, v68, v10 :: v_dual_fmac_f32 v22, v71, v9
	s_delay_alu instid0(VALU_DEP_4) | instskip(SKIP_2) | instid1(VALU_DEP_4)
	v_fmac_f32_e32 v20, v31, v10
	v_and_b32_e32 v10, 0xffff0000, v52
	v_and_b32_e32 v33, 0xffff0000, v33
	v_fmac_f32_e32 v21, v70, v9
	s_delay_alu instid0(VALU_DEP_2) | instskip(SKIP_1) | instid1(VALU_DEP_1)
	v_dual_fmac_f32 v23, v34, v10 :: v_dual_fmac_f32 v20, v33, v9
	v_dual_fmac_f32 v22, v73, v10 :: v_dual_lshlrev_b32 v9, 16, v53
	v_fmac_f32_e32 v23, v36, v9
	s_delay_alu instid0(VALU_DEP_2) | instskip(NEXT) | instid1(VALU_DEP_4)
	v_dual_fmac_f32 v21, v72, v10 :: v_dual_fmac_f32 v22, v75, v9
	v_fmac_f32_e32 v20, v35, v10
	v_and_b32_e32 v10, 0xffff0000, v53
	v_and_b32_e32 v37, 0xffff0000, v37
	s_delay_alu instid0(VALU_DEP_4) | instskip(NEXT) | instid1(VALU_DEP_2)
	v_fmac_f32_e32 v21, v74, v9
	v_dual_fmac_f32 v23, v38, v10 :: v_dual_fmac_f32 v20, v37, v9
	v_dual_fmac_f32 v22, v77, v10 :: v_dual_lshlrev_b32 v9, 16, v48
	s_delay_alu instid0(VALU_DEP_1) | instskip(NEXT) | instid1(VALU_DEP_2)
	v_fmac_f32_e32 v23, v40, v9
	v_dual_fmac_f32 v21, v76, v10 :: v_dual_fmac_f32 v22, v79, v9
	s_delay_alu instid0(VALU_DEP_4) | instskip(SKIP_2) | instid1(VALU_DEP_4)
	v_fmac_f32_e32 v20, v39, v10
	v_and_b32_e32 v10, 0xffff0000, v48
	v_and_b32_e32 v41, 0xffff0000, v41
	v_fmac_f32_e32 v21, v78, v9
	s_delay_alu instid0(VALU_DEP_2) | instskip(SKIP_1) | instid1(VALU_DEP_1)
	v_dual_fmac_f32 v23, v42, v10 :: v_dual_fmac_f32 v20, v41, v9
	v_dual_fmac_f32 v22, v81, v10 :: v_dual_lshlrev_b32 v9, 16, v49
	v_fmac_f32_e32 v23, v44, v9
	s_delay_alu instid0(VALU_DEP_2) | instskip(NEXT) | instid1(VALU_DEP_4)
	v_dual_fmac_f32 v21, v80, v10 :: v_dual_fmac_f32 v22, v83, v9
	v_fmac_f32_e32 v20, v43, v10
	v_and_b32_e32 v10, 0xffff0000, v49
	v_and_b32_e32 v45, 0xffff0000, v45
	s_delay_alu instid0(VALU_DEP_4) | instskip(NEXT) | instid1(VALU_DEP_2)
	v_fmac_f32_e32 v21, v82, v9
	v_dual_fmac_f32 v23, v46, v10 :: v_dual_fmac_f32 v20, v45, v9
	s_delay_alu instid0(VALU_DEP_2) | instskip(SKIP_1) | instid1(VALU_DEP_3)
	v_fmac_f32_e32 v21, v84, v10
	v_fmac_f32_e32 v22, v85, v10
	;; [unrolled: 1-line block ×3, first 2 shown]
	s_and_not1_b32 exec_lo, exec_lo, s6
	s_cbranch_execnz .LBB113_33
; %bb.34:
	s_or_b32 exec_lo, exec_lo, s6
.LBB113_35:
	s_delay_alu instid0(SALU_CYCLE_1)
	s_or_b32 exec_lo, exec_lo, s2
.LBB113_36:
	s_delay_alu instid0(SALU_CYCLE_1)
	s_or_b32 exec_lo, exec_lo, s3
.LBB113_37:
	v_mbcnt_lo_u32_b32 v0, -1, 0
	s_mov_b32 s2, -1
	s_delay_alu instid0(VALU_DEP_1) | instskip(SKIP_2) | instid1(VALU_DEP_3)
	v_xor_b32_e32 v1, 16, v0
	v_xor_b32_e32 v6, 8, v0
	v_xor_b32_e32 v10, 4, v0
	v_cmp_gt_i32_e32 vcc_lo, 32, v1
	v_cndmask_b32_e32 v1, v0, v1, vcc_lo
	s_delay_alu instid0(VALU_DEP_4) | instskip(SKIP_2) | instid1(VALU_DEP_2)
	v_cmp_gt_i32_e32 vcc_lo, 32, v6
	v_cndmask_b32_e32 v6, v0, v6, vcc_lo
	v_cmp_gt_i32_e32 vcc_lo, 32, v10
	v_lshlrev_b32_e32 v6, 2, v6
	v_dual_cndmask_b32 v10, v0, v10 :: v_dual_lshlrev_b32 v1, 2, v1
	ds_bpermute_b32 v2, v1, v21
	v_lshlrev_b32_e32 v10, 2, v10
	s_waitcnt lgkmcnt(0)
	v_add_f32_e32 v2, v21, v2
	ds_bpermute_b32 v3, v1, v23
	ds_bpermute_b32 v5, v1, v22
	;; [unrolled: 1-line block ×4, first 2 shown]
	s_waitcnt lgkmcnt(3)
	v_add_f32_e32 v3, v23, v3
	s_waitcnt lgkmcnt(2)
	v_add_f32_e32 v5, v22, v5
	s_waitcnt lgkmcnt(1)
	v_add_f32_e32 v1, v20, v1
	ds_bpermute_b32 v8, v6, v3
	ds_bpermute_b32 v9, v6, v5
	;; [unrolled: 1-line block ×3, first 2 shown]
	s_waitcnt lgkmcnt(2)
	v_dual_add_f32 v2, v2, v7 :: v_dual_add_f32 v3, v3, v8
	s_waitcnt lgkmcnt(1)
	v_add_f32_e32 v5, v5, v9
	s_waitcnt lgkmcnt(0)
	v_add_f32_e32 v1, v1, v6
	ds_bpermute_b32 v6, v10, v2
	ds_bpermute_b32 v7, v10, v3
	;; [unrolled: 1-line block ×4, first 2 shown]
	v_xor_b32_e32 v10, 2, v0
	s_delay_alu instid0(VALU_DEP_1) | instskip(SKIP_1) | instid1(VALU_DEP_1)
	v_cmp_gt_i32_e32 vcc_lo, 32, v10
	v_cndmask_b32_e32 v10, v0, v10, vcc_lo
	v_lshlrev_b32_e32 v10, 2, v10
	s_waitcnt lgkmcnt(2)
	v_dual_add_f32 v2, v2, v6 :: v_dual_add_f32 v3, v3, v7
	s_waitcnt lgkmcnt(1)
	v_add_f32_e32 v5, v5, v8
	ds_bpermute_b32 v7, v10, v3
	s_waitcnt lgkmcnt(1)
	v_add_f32_e32 v6, v1, v9
	ds_bpermute_b32 v1, v10, v2
	ds_bpermute_b32 v8, v10, v5
	;; [unrolled: 1-line block ×3, first 2 shown]
	v_xor_b32_e32 v10, 1, v0
	s_delay_alu instid0(VALU_DEP_1) | instskip(SKIP_2) | instid1(VALU_DEP_2)
	v_cmp_gt_i32_e32 vcc_lo, 32, v10
	v_cndmask_b32_e32 v0, v0, v10, vcc_lo
	v_cmp_eq_u32_e32 vcc_lo, 31, v19
	v_lshlrev_b32_e32 v10, 2, v0
	s_waitcnt lgkmcnt(2)
	v_dual_add_f32 v0, v2, v1 :: v_dual_add_f32 v1, v3, v7
	s_waitcnt lgkmcnt(0)
	v_dual_add_f32 v2, v5, v8 :: v_dual_add_f32 v3, v6, v9
	ds_bpermute_b32 v5, v10, v0
	ds_bpermute_b32 v6, v10, v1
	;; [unrolled: 1-line block ×4, first 2 shown]
	s_and_b32 exec_lo, exec_lo, vcc_lo
	s_cbranch_execz .LBB113_10
; %bb.38:
	s_load_b64 s[0:1], s[0:1], 0x50
	s_waitcnt lgkmcnt(0)
	v_dual_add_f32 v0, v0, v5 :: v_dual_add_f32 v1, v1, v6
	v_dual_add_f32 v2, v2, v7 :: v_dual_add_f32 v3, v3, v8
	v_cmp_eq_f32_e64 s3, s12, 0
	s_delay_alu instid0(VALU_DEP_3) | instskip(NEXT) | instid1(VALU_DEP_3)
	v_dual_mul_f32 v0, s16, v0 :: v_dual_mul_f32 v1, s16, v1
	v_dual_mul_f32 v2, s16, v2 :: v_dual_mul_f32 v3, s16, v3
	v_lshlrev_b32_e32 v4, 2, v4
	s_delay_alu instid0(VALU_DEP_4)
	s_and_b32 vcc_lo, exec_lo, s3
	s_cbranch_vccz .LBB113_40
; %bb.39:
	s_delay_alu instid0(VALU_DEP_1) | instskip(SKIP_1) | instid1(VALU_DEP_1)
	v_ashrrev_i32_e32 v5, 31, v4
	s_mov_b32 s2, 0
	v_lshlrev_b64 v[5:6], 2, v[4:5]
	s_delay_alu instid0(VALU_DEP_1) | instskip(NEXT) | instid1(VALU_DEP_2)
	v_add_co_u32 v5, vcc_lo, s0, v5
	v_add_co_ci_u32_e32 v6, vcc_lo, s1, v6, vcc_lo
	global_store_b128 v[5:6], v[0:3], off
.LBB113_40:
	s_and_not1_b32 vcc_lo, exec_lo, s2
	s_cbranch_vccnz .LBB113_10
; %bb.41:
	v_ashrrev_i32_e32 v5, 31, v4
	s_delay_alu instid0(VALU_DEP_1) | instskip(NEXT) | instid1(VALU_DEP_1)
	v_lshlrev_b64 v[4:5], 2, v[4:5]
	v_add_co_u32 v8, vcc_lo, s0, v4
	s_delay_alu instid0(VALU_DEP_2)
	v_add_co_ci_u32_e32 v9, vcc_lo, s1, v5, vcc_lo
	global_load_b128 v[4:7], v[8:9], off
	s_waitcnt vmcnt(0)
	v_dual_fmac_f32 v0, s12, v4 :: v_dual_fmac_f32 v1, s12, v5
	v_dual_fmac_f32 v2, s12, v6 :: v_dual_fmac_f32 v3, s12, v7
	global_store_b128 v[8:9], v[0:3], off
	s_nop 0
	s_sendmsg sendmsg(MSG_DEALLOC_VGPRS)
	s_endpgm
	.section	.rodata,"a",@progbits
	.p2align	6, 0x0
	.amdhsa_kernel _ZN9rocsparseL18bsrxmvn_4x4_kernelILj128ELj32Efli18rocsparse_bfloat16S1_fEEvT3_20rocsparse_direction_NS_24const_host_device_scalarIT1_EES2_PKS2_PKT2_SB_S8_PKT4_PKT5_S6_PT6_21rocsparse_index_base_b
		.amdhsa_group_segment_fixed_size 0
		.amdhsa_private_segment_fixed_size 0
		.amdhsa_kernarg_size 96
		.amdhsa_user_sgpr_count 15
		.amdhsa_user_sgpr_dispatch_ptr 0
		.amdhsa_user_sgpr_queue_ptr 0
		.amdhsa_user_sgpr_kernarg_segment_ptr 1
		.amdhsa_user_sgpr_dispatch_id 0
		.amdhsa_user_sgpr_private_segment_size 0
		.amdhsa_wavefront_size32 1
		.amdhsa_uses_dynamic_stack 0
		.amdhsa_enable_private_segment 0
		.amdhsa_system_sgpr_workgroup_id_x 1
		.amdhsa_system_sgpr_workgroup_id_y 0
		.amdhsa_system_sgpr_workgroup_id_z 0
		.amdhsa_system_sgpr_workgroup_info 0
		.amdhsa_system_vgpr_workitem_id 0
		.amdhsa_next_free_vgpr 93
		.amdhsa_next_free_sgpr 20
		.amdhsa_reserve_vcc 1
		.amdhsa_float_round_mode_32 0
		.amdhsa_float_round_mode_16_64 0
		.amdhsa_float_denorm_mode_32 3
		.amdhsa_float_denorm_mode_16_64 3
		.amdhsa_dx10_clamp 1
		.amdhsa_ieee_mode 1
		.amdhsa_fp16_overflow 0
		.amdhsa_workgroup_processor_mode 1
		.amdhsa_memory_ordered 1
		.amdhsa_forward_progress 0
		.amdhsa_shared_vgpr_count 0
		.amdhsa_exception_fp_ieee_invalid_op 0
		.amdhsa_exception_fp_denorm_src 0
		.amdhsa_exception_fp_ieee_div_zero 0
		.amdhsa_exception_fp_ieee_overflow 0
		.amdhsa_exception_fp_ieee_underflow 0
		.amdhsa_exception_fp_ieee_inexact 0
		.amdhsa_exception_int_div_zero 0
	.end_amdhsa_kernel
	.section	.text._ZN9rocsparseL18bsrxmvn_4x4_kernelILj128ELj32Efli18rocsparse_bfloat16S1_fEEvT3_20rocsparse_direction_NS_24const_host_device_scalarIT1_EES2_PKS2_PKT2_SB_S8_PKT4_PKT5_S6_PT6_21rocsparse_index_base_b,"axG",@progbits,_ZN9rocsparseL18bsrxmvn_4x4_kernelILj128ELj32Efli18rocsparse_bfloat16S1_fEEvT3_20rocsparse_direction_NS_24const_host_device_scalarIT1_EES2_PKS2_PKT2_SB_S8_PKT4_PKT5_S6_PT6_21rocsparse_index_base_b,comdat
.Lfunc_end113:
	.size	_ZN9rocsparseL18bsrxmvn_4x4_kernelILj128ELj32Efli18rocsparse_bfloat16S1_fEEvT3_20rocsparse_direction_NS_24const_host_device_scalarIT1_EES2_PKS2_PKT2_SB_S8_PKT4_PKT5_S6_PT6_21rocsparse_index_base_b, .Lfunc_end113-_ZN9rocsparseL18bsrxmvn_4x4_kernelILj128ELj32Efli18rocsparse_bfloat16S1_fEEvT3_20rocsparse_direction_NS_24const_host_device_scalarIT1_EES2_PKS2_PKT2_SB_S8_PKT4_PKT5_S6_PT6_21rocsparse_index_base_b
                                        ; -- End function
	.section	.AMDGPU.csdata,"",@progbits
; Kernel info:
; codeLenInByte = 5000
; NumSgprs: 22
; NumVgprs: 93
; ScratchSize: 0
; MemoryBound: 0
; FloatMode: 240
; IeeeMode: 1
; LDSByteSize: 0 bytes/workgroup (compile time only)
; SGPRBlocks: 2
; VGPRBlocks: 11
; NumSGPRsForWavesPerEU: 22
; NumVGPRsForWavesPerEU: 93
; Occupancy: 16
; WaveLimiterHint : 1
; COMPUTE_PGM_RSRC2:SCRATCH_EN: 0
; COMPUTE_PGM_RSRC2:USER_SGPR: 15
; COMPUTE_PGM_RSRC2:TRAP_HANDLER: 0
; COMPUTE_PGM_RSRC2:TGID_X_EN: 1
; COMPUTE_PGM_RSRC2:TGID_Y_EN: 0
; COMPUTE_PGM_RSRC2:TGID_Z_EN: 0
; COMPUTE_PGM_RSRC2:TIDIG_COMP_CNT: 0
	.section	.text._ZN9rocsparseL18bsrxmvn_4x4_kernelILj128ELj64Efli18rocsparse_bfloat16S1_fEEvT3_20rocsparse_direction_NS_24const_host_device_scalarIT1_EES2_PKS2_PKT2_SB_S8_PKT4_PKT5_S6_PT6_21rocsparse_index_base_b,"axG",@progbits,_ZN9rocsparseL18bsrxmvn_4x4_kernelILj128ELj64Efli18rocsparse_bfloat16S1_fEEvT3_20rocsparse_direction_NS_24const_host_device_scalarIT1_EES2_PKS2_PKT2_SB_S8_PKT4_PKT5_S6_PT6_21rocsparse_index_base_b,comdat
	.globl	_ZN9rocsparseL18bsrxmvn_4x4_kernelILj128ELj64Efli18rocsparse_bfloat16S1_fEEvT3_20rocsparse_direction_NS_24const_host_device_scalarIT1_EES2_PKS2_PKT2_SB_S8_PKT4_PKT5_S6_PT6_21rocsparse_index_base_b ; -- Begin function _ZN9rocsparseL18bsrxmvn_4x4_kernelILj128ELj64Efli18rocsparse_bfloat16S1_fEEvT3_20rocsparse_direction_NS_24const_host_device_scalarIT1_EES2_PKS2_PKT2_SB_S8_PKT4_PKT5_S6_PT6_21rocsparse_index_base_b
	.p2align	8
	.type	_ZN9rocsparseL18bsrxmvn_4x4_kernelILj128ELj64Efli18rocsparse_bfloat16S1_fEEvT3_20rocsparse_direction_NS_24const_host_device_scalarIT1_EES2_PKS2_PKT2_SB_S8_PKT4_PKT5_S6_PT6_21rocsparse_index_base_b,@function
_ZN9rocsparseL18bsrxmvn_4x4_kernelILj128ELj64Efli18rocsparse_bfloat16S1_fEEvT3_20rocsparse_direction_NS_24const_host_device_scalarIT1_EES2_PKS2_PKT2_SB_S8_PKT4_PKT5_S6_PT6_21rocsparse_index_base_b: ; @_ZN9rocsparseL18bsrxmvn_4x4_kernelILj128ELj64Efli18rocsparse_bfloat16S1_fEEvT3_20rocsparse_direction_NS_24const_host_device_scalarIT1_EES2_PKS2_PKT2_SB_S8_PKT4_PKT5_S6_PT6_21rocsparse_index_base_b
; %bb.0:
	s_clause 0x2
	s_load_b64 s[18:19], s[0:1], 0x58
	s_load_b64 s[16:17], s[0:1], 0x8
	;; [unrolled: 1-line block ×3, first 2 shown]
	s_waitcnt lgkmcnt(0)
	s_bitcmp1_b32 s19, 0
	s_cselect_b32 s2, -1, 0
	s_delay_alu instid0(SALU_CYCLE_1)
	s_and_b32 vcc_lo, exec_lo, s2
	s_xor_b32 s2, s2, -1
	s_cbranch_vccnz .LBB114_2
; %bb.1:
	s_load_b32 s16, s[16:17], 0x0
.LBB114_2:
	s_and_not1_b32 vcc_lo, exec_lo, s2
	s_cbranch_vccnz .LBB114_4
; %bb.3:
	s_load_b32 s12, s[12:13], 0x0
.LBB114_4:
	s_waitcnt lgkmcnt(0)
	v_cmp_neq_f32_e64 s2, s16, 0
	v_cmp_neq_f32_e64 s3, s12, 1.0
	s_mov_b32 s6, 0
	s_delay_alu instid0(VALU_DEP_1) | instskip(NEXT) | instid1(SALU_CYCLE_1)
	s_or_b32 s2, s2, s3
	s_and_not1_b32 vcc_lo, exec_lo, s2
	s_cbranch_vccnz .LBB114_10
; %bb.5:
	s_clause 0x1
	s_load_b64 s[4:5], s[0:1], 0x18
	s_load_b64 s[2:3], s[0:1], 0x0
	v_lshrrev_b32_e32 v1, 6, v0
	s_delay_alu instid0(VALU_DEP_1)
	v_lshl_or_b32 v4, s15, 1, v1
	s_waitcnt lgkmcnt(0)
	s_cmp_lg_u64 s[4:5], 0
	s_cbranch_scc0 .LBB114_11
; %bb.6:
	s_load_b32 s6, s[0:1], 0x10
	s_mov_b32 s7, 0
                                        ; implicit-def: $vgpr1
	s_waitcnt lgkmcnt(0)
	v_cmp_gt_i32_e32 vcc_lo, s6, v4
	s_mov_b32 s6, 0
	s_and_saveexec_b32 s8, vcc_lo
	s_delay_alu instid0(SALU_CYCLE_1)
	s_xor_b32 s8, exec_lo, s8
	s_cbranch_execz .LBB114_8
; %bb.7:
	v_ashrrev_i32_e32 v5, 31, v4
	s_mov_b32 s6, exec_lo
	s_delay_alu instid0(VALU_DEP_1) | instskip(NEXT) | instid1(VALU_DEP_1)
	v_lshlrev_b64 v[1:2], 2, v[4:5]
	v_add_co_u32 v1, vcc_lo, s4, v1
	s_delay_alu instid0(VALU_DEP_2)
	v_add_co_ci_u32_e32 v2, vcc_lo, s5, v2, vcc_lo
	global_load_b32 v1, v[1:2], off
	s_waitcnt vmcnt(0)
	v_subrev_nc_u32_e32 v1, s18, v1
.LBB114_8:
	s_or_b32 exec_lo, exec_lo, s8
	s_delay_alu instid0(SALU_CYCLE_1)
	s_and_b32 vcc_lo, exec_lo, s7
	s_cbranch_vccz .LBB114_12
.LBB114_9:
	v_cmp_gt_i32_e32 vcc_lo, s2, v4
	s_and_not1_b32 s2, s6, exec_lo
	s_and_b32 s4, vcc_lo, exec_lo
	s_delay_alu instid0(SALU_CYCLE_1) | instskip(NEXT) | instid1(SALU_CYCLE_1)
	s_or_b32 s6, s2, s4
	s_and_saveexec_b32 s2, s6
	s_cbranch_execnz .LBB114_13
.LBB114_10:
	s_nop 0
	s_sendmsg sendmsg(MSG_DEALLOC_VGPRS)
	s_endpgm
.LBB114_11:
                                        ; implicit-def: $vgpr1
	s_cbranch_execnz .LBB114_9
.LBB114_12:
	s_delay_alu instid0(VALU_DEP_1)
	v_mov_b32_e32 v4, v1
	s_and_saveexec_b32 s2, s6
	s_cbranch_execz .LBB114_10
.LBB114_13:
	s_load_b256 s[4:11], s[0:1], 0x20
	s_delay_alu instid0(VALU_DEP_1) | instskip(SKIP_1) | instid1(VALU_DEP_2)
	v_ashrrev_i32_e32 v5, 31, v4
	v_dual_mov_b32 v20, 0 :: v_dual_and_b32 v19, 63, v0
	v_lshlrev_b64 v[1:2], 3, v[4:5]
	s_waitcnt lgkmcnt(0)
	s_delay_alu instid0(VALU_DEP_1) | instskip(NEXT) | instid1(VALU_DEP_2)
	v_add_co_u32 v5, vcc_lo, s4, v1
	v_add_co_ci_u32_e32 v6, vcc_lo, s5, v2, vcc_lo
	v_add_co_u32 v1, vcc_lo, s6, v1
	v_add_co_ci_u32_e32 v2, vcc_lo, s7, v2, vcc_lo
	s_delay_alu instid0(VALU_DEP_4)
	v_add_co_u32 v3, vcc_lo, v5, 8
	global_load_b64 v[7:8], v[5:6], off
	v_add_co_ci_u32_e32 v9, vcc_lo, 0, v6, vcc_lo
	s_cmp_eq_u64 s[6:7], 0
	s_load_b64 s[4:5], s[0:1], 0x40
	s_cselect_b32 vcc_lo, -1, 0
	s_cmp_eq_u32 s3, 1
	v_dual_cndmask_b32 v2, v2, v9 :: v_dual_cndmask_b32 v1, v1, v3
	s_mov_b32 s3, 0
	global_load_b64 v[2:3], v[1:2], off
	s_waitcnt vmcnt(1)
	v_sub_co_u32 v0, vcc_lo, v7, s18
	v_subrev_co_ci_u32_e32 v1, vcc_lo, 0, v8, vcc_lo
	s_delay_alu instid0(VALU_DEP_2) | instskip(NEXT) | instid1(VALU_DEP_2)
	v_add_co_u32 v0, vcc_lo, v0, v19
	v_add_co_ci_u32_e32 v1, vcc_lo, 0, v1, vcc_lo
	s_delay_alu instid0(VALU_DEP_1) | instskip(SKIP_3) | instid1(VALU_DEP_3)
	v_lshlrev_b64 v[5:6], 5, v[0:1]
	s_waitcnt vmcnt(0)
	v_sub_co_u32 v2, vcc_lo, v2, s18
	v_subrev_co_ci_u32_e32 v3, vcc_lo, 0, v3, vcc_lo
	v_add_co_u32 v5, vcc_lo, s10, v5
	s_delay_alu instid0(VALU_DEP_2)
	v_cmp_lt_i64_e64 s2, v[0:1], v[2:3]
	v_add_co_ci_u32_e32 v6, vcc_lo, s11, v6, vcc_lo
	s_cbranch_scc1 .LBB114_25
; %bb.14:
	v_dual_mov_b32 v22, 0 :: v_dual_mov_b32 v23, 0
	v_mov_b32_e32 v21, 0
	s_delay_alu instid0(VALU_DEP_4)
	s_and_saveexec_b32 s6, s2
	s_cbranch_execz .LBB114_24
; %bb.15:
	v_or_b32_e32 v9, 64, v19
	v_not_b32_e32 v12, v7
	v_not_b32_e32 v11, v8
	v_mov_b32_e32 v23, 0
	v_dual_mov_b32 v21, 0 :: v_dual_mov_b32 v20, 0
	v_sub_co_u32 v9, s7, v9, s18
	s_delay_alu instid0(VALU_DEP_1) | instskip(SKIP_1) | instid1(VALU_DEP_3)
	v_sub_co_ci_u32_e64 v10, null, 0, 0, s7
	v_sub_co_u32 v13, s7, s18, v19
	v_add_co_u32 v9, vcc_lo, v9, v7
	s_delay_alu instid0(VALU_DEP_3) | instskip(SKIP_2) | instid1(VALU_DEP_2)
	v_add_co_ci_u32_e32 v10, vcc_lo, v10, v8, vcc_lo
	v_sub_co_ci_u32_e64 v14, null, 0, 0, s7
	s_mov_b32 s7, exec_lo
	v_cmp_gt_i64_e32 vcc_lo, v[9:10], v[2:3]
	v_mov_b32_e32 v22, 0
	v_dual_cndmask_b32 v10, v3, v10 :: v_dual_cndmask_b32 v9, v2, v9
	v_add_co_u32 v12, vcc_lo, v13, v12
	v_add_co_ci_u32_e32 v11, vcc_lo, v14, v11, vcc_lo
	s_delay_alu instid0(VALU_DEP_2) | instskip(NEXT) | instid1(VALU_DEP_2)
	v_add_co_u32 v13, vcc_lo, v12, v9
	v_add_co_ci_u32_e32 v14, vcc_lo, v11, v10, vcc_lo
	v_mov_b32_e32 v12, v6
	s_delay_alu instid0(VALU_DEP_3) | instskip(SKIP_1) | instid1(VALU_DEP_2)
	v_lshrrev_b32_e32 v9, 6, v13
	v_mov_b32_e32 v11, v5
	v_add_nc_u32_e32 v9, 1, v9
	s_delay_alu instid0(VALU_DEP_1) | instskip(SKIP_1) | instid1(VALU_DEP_2)
	v_dual_mov_b32 v10, v1 :: v_dual_and_b32 v15, 3, v9
	v_mov_b32_e32 v9, v0
	v_cmpx_ne_u32_e32 0, v15
	s_cbranch_execz .LBB114_19
; %bb.16:
	v_lshlrev_b64 v[9:10], 2, v[0:1]
	v_dual_mov_b32 v16, 0 :: v_dual_lshlrev_b32 v15, 3, v15
	v_dual_mov_b32 v12, v6 :: v_dual_mov_b32 v11, v5
	s_mov_b32 s10, 0
	s_delay_alu instid0(VALU_DEP_3) | instskip(NEXT) | instid1(VALU_DEP_4)
	v_add_co_u32 v17, vcc_lo, s8, v9
	v_add_co_ci_u32_e32 v18, vcc_lo, s9, v10, vcc_lo
	v_dual_mov_b32 v10, v1 :: v_dual_mov_b32 v9, v0
	v_mov_b32_e32 v20, v16
	v_mov_b32_e32 v22, v16
	;; [unrolled: 1-line block ×4, first 2 shown]
.LBB114_17:                             ; =>This Inner Loop Header: Depth=1
	global_load_b32 v28, v[17:18], off
	global_load_b128 v[24:27], v[11:12], off
	s_waitcnt vmcnt(1)
	v_subrev_nc_u32_e32 v28, s18, v28
	s_waitcnt vmcnt(0)
	v_lshlrev_b32_e32 v36, 16, v26
	v_lshlrev_b32_e32 v34, 16, v24
	s_delay_alu instid0(VALU_DEP_3) | instskip(NEXT) | instid1(VALU_DEP_1)
	v_lshlrev_b32_e32 v28, 2, v28
	v_ashrrev_i32_e32 v29, 31, v28
	s_delay_alu instid0(VALU_DEP_1) | instskip(SKIP_1) | instid1(VALU_DEP_1)
	v_lshlrev_b64 v[28:29], 1, v[28:29]
	s_waitcnt lgkmcnt(0)
	v_add_co_u32 v32, vcc_lo, s4, v28
	s_delay_alu instid0(VALU_DEP_2)
	v_add_co_ci_u32_e32 v33, vcc_lo, s5, v29, vcc_lo
	global_load_b128 v[28:31], v[11:12], off offset:16
	global_load_b64 v[32:33], v[32:33], off
	v_add_co_u32 v11, vcc_lo, 0x800, v11
	v_add_co_ci_u32_e32 v12, vcc_lo, 0, v12, vcc_lo
	v_add_co_u32 v9, vcc_lo, v9, 64
	v_add_co_ci_u32_e32 v10, vcc_lo, 0, v10, vcc_lo
	v_add_co_u32 v17, vcc_lo, 0x100, v17
	v_add_co_ci_u32_e32 v18, vcc_lo, 0, v18, vcc_lo
	v_add_co_u32 v15, vcc_lo, v15, -8
	v_add_co_ci_u32_e32 v16, vcc_lo, -1, v16, vcc_lo
	s_delay_alu instid0(VALU_DEP_1) | instskip(SKIP_3) | instid1(VALU_DEP_1)
	v_cmp_eq_u64_e32 vcc_lo, 0, v[15:16]
	s_or_b32 s10, vcc_lo, s10
	s_waitcnt vmcnt(0)
	v_lshlrev_b32_e32 v42, 16, v32
	v_dual_fmac_f32 v23, v36, v42 :: v_dual_and_b32 v32, 0xffff0000, v32
	v_dual_fmac_f32 v21, v34, v42 :: v_dual_lshlrev_b32 v34, 16, v33
	v_lshlrev_b32_e32 v38, 16, v28
	v_lshlrev_b32_e32 v35, 16, v25
	;; [unrolled: 1-line block ×3, first 2 shown]
	v_and_b32_e32 v25, 0xffff0000, v25
	v_and_b32_e32 v28, 0xffff0000, v28
	v_fmac_f32_e32 v22, v38, v42
	v_and_b32_e32 v24, 0xffff0000, v24
	v_dual_fmac_f32 v20, v40, v42 :: v_dual_lshlrev_b32 v37, 16, v27
	s_delay_alu instid0(VALU_DEP_3) | instskip(NEXT) | instid1(VALU_DEP_3)
	v_fmac_f32_e32 v22, v28, v32
	v_dual_fmac_f32 v21, v24, v32 :: v_dual_and_b32 v24, 0xffff0000, v33
	v_lshlrev_b32_e32 v41, 16, v31
	v_and_b32_e32 v31, 0xffff0000, v31
	s_delay_alu instid0(VALU_DEP_3) | instskip(NEXT) | instid1(VALU_DEP_1)
	v_fmac_f32_e32 v21, v35, v34
	v_dual_fmac_f32 v21, v25, v24 :: v_dual_and_b32 v26, 0xffff0000, v26
	s_delay_alu instid0(VALU_DEP_1) | instskip(NEXT) | instid1(VALU_DEP_1)
	v_fmac_f32_e32 v23, v26, v32
	v_fmac_f32_e32 v23, v37, v34
	v_and_b32_e32 v30, 0xffff0000, v30
	s_delay_alu instid0(VALU_DEP_1) | instskip(SKIP_1) | instid1(VALU_DEP_2)
	v_dual_fmac_f32 v20, v30, v32 :: v_dual_and_b32 v27, 0xffff0000, v27
	v_lshlrev_b32_e32 v39, 16, v29
	v_dual_fmac_f32 v23, v27, v24 :: v_dual_fmac_f32 v20, v41, v34
	s_delay_alu instid0(VALU_DEP_2) | instskip(NEXT) | instid1(VALU_DEP_2)
	v_dual_fmac_f32 v22, v39, v34 :: v_dual_and_b32 v29, 0xffff0000, v29
	v_fmac_f32_e32 v20, v31, v24
	s_delay_alu instid0(VALU_DEP_2)
	v_fmac_f32_e32 v22, v29, v24
	s_and_not1_b32 exec_lo, exec_lo, s10
	s_cbranch_execnz .LBB114_17
; %bb.18:
	s_or_b32 exec_lo, exec_lo, s10
.LBB114_19:
	s_delay_alu instid0(SALU_CYCLE_1) | instskip(NEXT) | instid1(SALU_CYCLE_1)
	s_or_b32 exec_lo, exec_lo, s7
	s_mov_b32 s7, exec_lo
	v_cmpx_lt_u64_e32 0xbf, v[13:14]
	s_cbranch_execz .LBB114_23
; %bb.20:
	v_lshlrev_b64 v[13:14], 2, v[9:10]
	s_mov_b32 s10, 0
	s_delay_alu instid0(VALU_DEP_1) | instskip(NEXT) | instid1(VALU_DEP_2)
	v_add_co_u32 v13, vcc_lo, v13, s8
	v_add_co_ci_u32_e32 v14, vcc_lo, s9, v14, vcc_lo
	s_delay_alu instid0(VALU_DEP_2) | instskip(NEXT) | instid1(VALU_DEP_2)
	v_add_co_u32 v13, vcc_lo, 0x200, v13
	v_add_co_ci_u32_e32 v14, vcc_lo, 0, v14, vcc_lo
.LBB114_21:                             ; =>This Inner Loop Header: Depth=1
	v_add_co_u32 v48, vcc_lo, 0x1000, v11
	v_add_co_ci_u32_e32 v49, vcc_lo, 0, v12, vcc_lo
	s_clause 0x3
	global_load_b32 v52, v[13:14], off offset:-512
	global_load_b32 v53, v[13:14], off offset:-256
	global_load_b32 v54, v[13:14], off
	global_load_b32 v55, v[13:14], off offset:256
	s_clause 0x7
	global_load_b128 v[15:18], v[11:12], off
	global_load_b128 v[24:27], v[11:12], off offset:16
	global_load_b128 v[28:31], v[11:12], off offset:2048
	;; [unrolled: 1-line block ×3, first 2 shown]
	global_load_b128 v[36:39], v[48:49], off
	global_load_b128 v[40:43], v[48:49], off offset:16
	global_load_b128 v[44:47], v[48:49], off offset:2048
	;; [unrolled: 1-line block ×3, first 2 shown]
	s_waitcnt vmcnt(11)
	v_subrev_nc_u32_e32 v52, s18, v52
	s_waitcnt vmcnt(10)
	v_subrev_nc_u32_e32 v53, s18, v53
	;; [unrolled: 2-line block ×4, first 2 shown]
	s_waitcnt vmcnt(7)
	v_lshlrev_b32_e32 v60, 16, v15
	v_lshlrev_b32_e32 v62, 16, v17
	s_waitcnt vmcnt(5)
	v_lshlrev_b32_e32 v69, 16, v29
	v_lshlrev_b32_e32 v70, 16, v30
	v_lshlrev_b32_e32 v64, 16, v24
	s_waitcnt vmcnt(3)
	v_lshlrev_b32_e32 v77, 16, v37
	v_and_b32_e32 v37, 0xffff0000, v37
	v_lshlrev_b32_e32 v76, 16, v36
	v_lshlrev_b32_e32 v74, 16, v34
	;; [unrolled: 1-line block ×3, first 2 shown]
	v_and_b32_e32 v30, 0xffff0000, v30
	v_lshlrev_b32_e32 v78, 16, v38
	v_and_b32_e32 v34, 0xffff0000, v34
	v_lshlrev_b32_e32 v73, 16, v33
	v_and_b32_e32 v31, 0xffff0000, v31
	s_waitcnt vmcnt(1)
	v_lshlrev_b32_e32 v85, 16, v45
	v_and_b32_e32 v45, 0xffff0000, v45
	v_lshlrev_b32_e32 v84, 16, v44
	v_lshlrev_b32_e32 v86, 16, v46
	s_waitcnt vmcnt(0)
	v_lshlrev_b32_e32 v88, 16, v48
	v_lshlrev_b32_e32 v83, 16, v43
	v_and_b32_e32 v48, 0xffff0000, v48
	v_lshlrev_b32_e32 v89, 16, v49
	v_lshlrev_b32_e32 v87, 16, v47
	v_and_b32_e32 v46, 0xffff0000, v46
	v_lshlrev_b32_e32 v91, 16, v51
	v_and_b32_e32 v47, 0xffff0000, v47
	v_and_b32_e32 v44, 0xffff0000, v44
	v_lshlrev_b32_e32 v80, 16, v40
	v_and_b32_e32 v40, 0xffff0000, v40
	v_lshlrev_b32_e32 v81, 16, v41
	v_lshlrev_b32_e32 v79, 16, v39
	v_and_b32_e32 v38, 0xffff0000, v38
	v_and_b32_e32 v39, 0xffff0000, v39
	;; [unrolled: 1-line block ×3, first 2 shown]
	v_lshlrev_b32_e32 v72, 16, v32
	v_and_b32_e32 v32, 0xffff0000, v32
	v_and_b32_e32 v29, 0xffff0000, v29
	v_lshlrev_b32_e32 v68, 16, v28
	v_and_b32_e32 v28, 0xffff0000, v28
	v_and_b32_e32 v24, 0xffff0000, v24
	v_lshlrev_b32_e32 v63, 16, v18
	v_lshlrev_b32_e32 v66, 16, v26
	v_and_b32_e32 v26, 0xffff0000, v26
	v_lshlrev_b32_e32 v65, 16, v25
	v_and_b32_e32 v25, 0xffff0000, v25
	;; [unrolled: 2-line block ×3, first 2 shown]
	v_lshlrev_b32_e32 v52, 2, v52
	v_lshlrev_b32_e32 v54, 2, v53
	;; [unrolled: 1-line block ×3, first 2 shown]
	v_and_b32_e32 v18, 0xffff0000, v18
	v_lshlrev_b32_e32 v56, 2, v56
	v_ashrrev_i32_e32 v53, 31, v52
	v_ashrrev_i32_e32 v55, 31, v54
	;; [unrolled: 1-line block ×3, first 2 shown]
	v_lshlrev_b32_e32 v75, 16, v35
	v_ashrrev_i32_e32 v57, 31, v56
	v_lshlrev_b64 v[52:53], 1, v[52:53]
	v_lshlrev_b64 v[54:55], 1, v[54:55]
	;; [unrolled: 1-line block ×3, first 2 shown]
	v_lshlrev_b32_e32 v82, 16, v42
	v_lshlrev_b64 v[56:57], 1, v[56:57]
	v_and_b32_e32 v42, 0xffff0000, v42
	s_waitcnt lgkmcnt(0)
	v_add_co_u32 v52, vcc_lo, s4, v52
	v_add_co_ci_u32_e32 v53, vcc_lo, s5, v53, vcc_lo
	v_add_co_u32 v54, vcc_lo, s4, v54
	v_add_co_ci_u32_e32 v55, vcc_lo, s5, v55, vcc_lo
	global_load_b64 v[52:53], v[52:53], off
	v_add_co_u32 v56, vcc_lo, s4, v56
	global_load_b64 v[54:55], v[54:55], off
	v_add_co_ci_u32_e32 v57, vcc_lo, s5, v57, vcc_lo
	v_add_co_u32 v58, vcc_lo, s4, v58
	v_add_co_ci_u32_e32 v59, vcc_lo, s5, v59, vcc_lo
	global_load_b64 v[56:57], v[56:57], off
	v_lshlrev_b32_e32 v90, 16, v50
	v_and_b32_e32 v50, 0xffff0000, v50
	global_load_b64 v[58:59], v[58:59], off
	v_add_co_u32 v9, vcc_lo, 0x100, v9
	v_add_co_ci_u32_e32 v10, vcc_lo, 0, v10, vcc_lo
	v_add_co_u32 v13, vcc_lo, 0x400, v13
	v_add_co_ci_u32_e32 v14, vcc_lo, 0, v14, vcc_lo
	v_add_co_u32 v11, vcc_lo, 0x2000, v11
	v_and_b32_e32 v51, 0xffff0000, v51
	v_add_co_ci_u32_e32 v12, vcc_lo, 0, v12, vcc_lo
	v_cmp_ge_i64_e32 vcc_lo, v[9:10], v[2:3]
	s_or_b32 s10, vcc_lo, s10
	s_waitcnt vmcnt(3)
	v_lshlrev_b32_e32 v92, 16, v52
	v_and_b32_e32 v15, 0xffff0000, v15
	v_and_b32_e32 v52, 0xffff0000, v52
	s_delay_alu instid0(VALU_DEP_3) | instskip(SKIP_3) | instid1(VALU_DEP_4)
	v_dual_fmac_f32 v20, v66, v92 :: v_dual_and_b32 v17, 0xffff0000, v17
	v_fmac_f32_e32 v22, v64, v92
	v_dual_fmac_f32 v21, v60, v92 :: v_dual_lshlrev_b32 v60, 16, v53
	v_fmac_f32_e32 v23, v62, v92
	v_fmac_f32_e32 v20, v26, v52
	s_delay_alu instid0(VALU_DEP_4) | instskip(NEXT) | instid1(VALU_DEP_4)
	v_fmac_f32_e32 v22, v24, v52
	v_fmac_f32_e32 v21, v15, v52
	v_and_b32_e32 v15, 0xffff0000, v53
	v_fmac_f32_e32 v23, v17, v52
	s_waitcnt vmcnt(2)
	v_dual_fmac_f32 v22, v65, v60 :: v_dual_lshlrev_b32 v17, 16, v54
	s_delay_alu instid0(VALU_DEP_1) | instskip(SKIP_2) | instid1(VALU_DEP_3)
	v_dual_fmac_f32 v23, v63, v60 :: v_dual_fmac_f32 v22, v25, v15
	v_lshlrev_b32_e32 v67, 16, v27
	v_fmac_f32_e32 v21, v61, v60
	v_dual_fmac_f32 v23, v18, v15 :: v_dual_fmac_f32 v22, v72, v17
	s_delay_alu instid0(VALU_DEP_3) | instskip(NEXT) | instid1(VALU_DEP_3)
	v_dual_fmac_f32 v20, v67, v60 :: v_dual_and_b32 v27, 0xffff0000, v27
	v_fmac_f32_e32 v21, v16, v15
	v_lshlrev_b32_e32 v16, 16, v55
	s_delay_alu instid0(VALU_DEP_3) | instskip(NEXT) | instid1(VALU_DEP_3)
	v_dual_fmac_f32 v20, v27, v15 :: v_dual_and_b32 v15, 0xffff0000, v54
	v_fmac_f32_e32 v21, v68, v17
	s_delay_alu instid0(VALU_DEP_2) | instskip(NEXT) | instid1(VALU_DEP_3)
	v_fmac_f32_e32 v20, v74, v17
	v_fmac_f32_e32 v22, v32, v15
	s_delay_alu instid0(VALU_DEP_3) | instskip(NEXT) | instid1(VALU_DEP_3)
	v_fmac_f32_e32 v21, v28, v15
	v_dual_fmac_f32 v20, v34, v15 :: v_dual_and_b32 v33, 0xffff0000, v33
	s_delay_alu instid0(VALU_DEP_2) | instskip(NEXT) | instid1(VALU_DEP_4)
	v_fmac_f32_e32 v21, v69, v16
	v_dual_fmac_f32 v23, v70, v17 :: v_dual_fmac_f32 v22, v73, v16
	s_delay_alu instid0(VALU_DEP_1) | instskip(SKIP_1) | instid1(VALU_DEP_2)
	v_dual_fmac_f32 v20, v75, v16 :: v_dual_fmac_f32 v23, v30, v15
	v_and_b32_e32 v15, 0xffff0000, v55
	v_fmac_f32_e32 v23, v71, v16
	s_waitcnt vmcnt(1)
	v_lshlrev_b32_e32 v16, 16, v56
	v_and_b32_e32 v35, 0xffff0000, v35
	v_fmac_f32_e32 v21, v29, v15
	v_fmac_f32_e32 v22, v33, v15
	;; [unrolled: 1-line block ×3, first 2 shown]
	s_delay_alu instid0(VALU_DEP_4) | instskip(NEXT) | instid1(VALU_DEP_4)
	v_dual_fmac_f32 v20, v35, v15 :: v_dual_and_b32 v15, 0xffff0000, v56
	v_fmac_f32_e32 v21, v76, v16
	s_delay_alu instid0(VALU_DEP_3) | instskip(SKIP_1) | instid1(VALU_DEP_4)
	v_fmac_f32_e32 v23, v78, v16
	v_fmac_f32_e32 v22, v80, v16
	v_dual_fmac_f32 v20, v82, v16 :: v_dual_and_b32 v41, 0xffff0000, v41
	s_delay_alu instid0(VALU_DEP_4) | instskip(NEXT) | instid1(VALU_DEP_4)
	v_dual_fmac_f32 v21, v36, v15 :: v_dual_lshlrev_b32 v16, 16, v57
	v_fmac_f32_e32 v23, v38, v15
	s_delay_alu instid0(VALU_DEP_3) | instskip(SKIP_1) | instid1(VALU_DEP_4)
	v_fmac_f32_e32 v20, v42, v15
	v_dual_fmac_f32 v22, v40, v15 :: v_dual_and_b32 v15, 0xffff0000, v57
	v_fmac_f32_e32 v21, v77, v16
	s_delay_alu instid0(VALU_DEP_3) | instskip(NEXT) | instid1(VALU_DEP_3)
	v_fmac_f32_e32 v20, v83, v16
	v_fmac_f32_e32 v22, v81, v16
	s_waitcnt vmcnt(0)
	v_dual_fmac_f32 v23, v79, v16 :: v_dual_lshlrev_b32 v16, 16, v58
	v_and_b32_e32 v43, 0xffff0000, v43
	v_fmac_f32_e32 v21, v37, v15
	v_fmac_f32_e32 v22, v41, v15
	s_delay_alu instid0(VALU_DEP_4) | instskip(NEXT) | instid1(VALU_DEP_4)
	v_fmac_f32_e32 v23, v39, v15
	v_dual_fmac_f32 v20, v43, v15 :: v_dual_and_b32 v15, 0xffff0000, v58
	s_delay_alu instid0(VALU_DEP_4) | instskip(NEXT) | instid1(VALU_DEP_3)
	v_fmac_f32_e32 v21, v84, v16
	v_fmac_f32_e32 v23, v86, v16
	;; [unrolled: 1-line block ×3, first 2 shown]
	s_delay_alu instid0(VALU_DEP_4) | instskip(SKIP_3) | instid1(VALU_DEP_4)
	v_dual_fmac_f32 v20, v90, v16 :: v_dual_and_b32 v49, 0xffff0000, v49
	v_lshlrev_b32_e32 v16, 16, v59
	v_fmac_f32_e32 v21, v44, v15
	v_fmac_f32_e32 v23, v46, v15
	;; [unrolled: 1-line block ×4, first 2 shown]
	v_and_b32_e32 v15, 0xffff0000, v59
	v_fmac_f32_e32 v21, v85, v16
	s_delay_alu instid0(VALU_DEP_4) | instskip(NEXT) | instid1(VALU_DEP_4)
	v_fmac_f32_e32 v20, v91, v16
	v_fmac_f32_e32 v22, v89, v16
	;; [unrolled: 1-line block ×3, first 2 shown]
	s_delay_alu instid0(VALU_DEP_4) | instskip(NEXT) | instid1(VALU_DEP_4)
	v_fmac_f32_e32 v21, v45, v15
	v_fmac_f32_e32 v20, v51, v15
	s_delay_alu instid0(VALU_DEP_4) | instskip(NEXT) | instid1(VALU_DEP_4)
	v_fmac_f32_e32 v22, v49, v15
	v_fmac_f32_e32 v23, v47, v15
	s_and_not1_b32 exec_lo, exec_lo, s10
	s_cbranch_execnz .LBB114_21
; %bb.22:
	s_or_b32 exec_lo, exec_lo, s10
.LBB114_23:
	s_delay_alu instid0(SALU_CYCLE_1)
	s_or_b32 exec_lo, exec_lo, s7
.LBB114_24:
	s_delay_alu instid0(SALU_CYCLE_1) | instskip(NEXT) | instid1(SALU_CYCLE_1)
	s_or_b32 exec_lo, exec_lo, s6
	s_and_not1_b32 vcc_lo, exec_lo, s3
	s_cbranch_vccz .LBB114_26
	s_branch .LBB114_37
.LBB114_25:
                                        ; implicit-def: $vgpr20
                                        ; implicit-def: $vgpr22
                                        ; implicit-def: $vgpr23
                                        ; implicit-def: $vgpr21
.LBB114_26:
	v_dual_mov_b32 v20, 0 :: v_dual_mov_b32 v23, 0
	v_dual_mov_b32 v22, 0 :: v_dual_mov_b32 v21, 0
	s_delay_alu instid0(VALU_DEP_4)
	s_and_saveexec_b32 s3, s2
	s_cbranch_execz .LBB114_36
; %bb.27:
	v_or_b32_e32 v9, 64, v19
	v_mov_b32_e32 v21, 0
	v_dual_mov_b32 v23, 0 :: v_dual_mov_b32 v22, 0
	v_mov_b32_e32 v20, 0
	s_delay_alu instid0(VALU_DEP_4) | instskip(NEXT) | instid1(VALU_DEP_1)
	v_sub_co_u32 v9, s2, v9, s18
	v_sub_co_ci_u32_e64 v10, null, 0, 0, s2
	v_sub_co_u32 v11, s2, s18, v19
	s_delay_alu instid0(VALU_DEP_3) | instskip(NEXT) | instid1(VALU_DEP_3)
	v_add_co_u32 v9, vcc_lo, v9, v7
	v_add_co_ci_u32_e32 v10, vcc_lo, v10, v8, vcc_lo
	v_not_b32_e32 v7, v7
	v_not_b32_e32 v8, v8
	v_sub_co_ci_u32_e64 v12, null, 0, 0, s2
	s_delay_alu instid0(VALU_DEP_4) | instskip(SKIP_4) | instid1(VALU_DEP_2)
	v_cmp_gt_i64_e32 vcc_lo, v[9:10], v[2:3]
	s_mov_b32 s2, exec_lo
	v_dual_cndmask_b32 v10, v3, v10 :: v_dual_cndmask_b32 v9, v2, v9
	v_add_co_u32 v7, vcc_lo, v11, v7
	v_add_co_ci_u32_e32 v8, vcc_lo, v12, v8, vcc_lo
	v_add_co_u32 v7, vcc_lo, v7, v9
	s_delay_alu instid0(VALU_DEP_2) | instskip(NEXT) | instid1(VALU_DEP_2)
	v_add_co_ci_u32_e32 v8, vcc_lo, v8, v10, vcc_lo
	v_lshrrev_b32_e32 v9, 6, v7
	s_delay_alu instid0(VALU_DEP_1) | instskip(NEXT) | instid1(VALU_DEP_1)
	v_add_nc_u32_e32 v9, 1, v9
	v_and_b32_e32 v9, 3, v9
	s_delay_alu instid0(VALU_DEP_1)
	v_cmpx_ne_u32_e32 0, v9
	s_cbranch_execz .LBB114_31
; %bb.28:
	v_lshlrev_b64 v[11:12], 2, v[0:1]
	v_dual_mov_b32 v10, 0 :: v_dual_lshlrev_b32 v9, 3, v9
	s_mov_b32 s6, 0
	s_delay_alu instid0(VALU_DEP_1) | instskip(NEXT) | instid1(VALU_DEP_3)
	v_mov_b32_e32 v20, v10
	v_add_co_u32 v11, vcc_lo, s8, v11
	s_delay_alu instid0(VALU_DEP_4)
	v_add_co_ci_u32_e32 v12, vcc_lo, s9, v12, vcc_lo
	v_mov_b32_e32 v22, v10
	v_mov_b32_e32 v23, v10
	;; [unrolled: 1-line block ×3, first 2 shown]
.LBB114_29:                             ; =>This Inner Loop Header: Depth=1
	global_load_b32 v17, v[11:12], off
	global_load_b128 v[13:16], v[5:6], off
	s_waitcnt vmcnt(1)
	v_subrev_nc_u32_e32 v17, s18, v17
	s_waitcnt vmcnt(0)
	v_lshlrev_b32_e32 v31, 16, v16
	v_lshlrev_b32_e32 v29, 16, v14
	s_delay_alu instid0(VALU_DEP_3) | instskip(NEXT) | instid1(VALU_DEP_1)
	v_lshlrev_b32_e32 v17, 2, v17
	v_ashrrev_i32_e32 v18, 31, v17
	s_delay_alu instid0(VALU_DEP_1) | instskip(SKIP_1) | instid1(VALU_DEP_1)
	v_lshlrev_b64 v[17:18], 1, v[17:18]
	s_waitcnt lgkmcnt(0)
	v_add_co_u32 v17, vcc_lo, s4, v17
	s_delay_alu instid0(VALU_DEP_2)
	v_add_co_ci_u32_e32 v18, vcc_lo, s5, v18, vcc_lo
	global_load_b64 v[17:18], v[17:18], off
	global_load_b128 v[24:27], v[5:6], off offset:16
	v_add_co_u32 v5, vcc_lo, 0x800, v5
	v_add_co_ci_u32_e32 v6, vcc_lo, 0, v6, vcc_lo
	v_add_co_u32 v0, vcc_lo, v0, 64
	v_add_co_ci_u32_e32 v1, vcc_lo, 0, v1, vcc_lo
	v_add_co_u32 v11, vcc_lo, 0x100, v11
	v_add_co_ci_u32_e32 v12, vcc_lo, 0, v12, vcc_lo
	v_add_co_u32 v9, vcc_lo, v9, -8
	v_add_co_ci_u32_e32 v10, vcc_lo, -1, v10, vcc_lo
	s_delay_alu instid0(VALU_DEP_1)
	v_cmp_eq_u64_e32 vcc_lo, 0, v[9:10]
	s_or_b32 s6, vcc_lo, s6
	s_waitcnt vmcnt(0)
	v_lshlrev_b32_e32 v34, 16, v26
	v_lshlrev_b32_e32 v36, 16, v17
	;; [unrolled: 1-line block ×3, first 2 shown]
	v_and_b32_e32 v14, 0xffff0000, v14
	v_and_b32_e32 v13, 0xffff0000, v13
	;; [unrolled: 1-line block ×4, first 2 shown]
	s_delay_alu instid0(VALU_DEP_4) | instskip(NEXT) | instid1(VALU_DEP_4)
	v_fmac_f32_e32 v20, v14, v36
	v_dual_fmac_f32 v23, v13, v36 :: v_dual_lshlrev_b32 v30, 16, v15
	v_fmac_f32_e32 v21, v28, v36
	v_and_b32_e32 v16, 0xffff0000, v16
	v_and_b32_e32 v15, 0xffff0000, v15
	v_lshlrev_b32_e32 v13, 16, v18
	v_and_b32_e32 v14, 0xffff0000, v18
	s_delay_alu instid0(VALU_DEP_4) | instskip(NEXT) | instid1(VALU_DEP_4)
	v_fmac_f32_e32 v20, v16, v17
	v_dual_fmac_f32 v23, v15, v17 :: v_dual_lshlrev_b32 v32, 16, v24
	v_dual_fmac_f32 v21, v30, v17 :: v_dual_and_b32 v24, 0xffff0000, v24
	v_lshlrev_b32_e32 v35, 16, v27
	v_lshlrev_b32_e32 v33, 16, v25
	v_and_b32_e32 v27, 0xffff0000, v27
	v_and_b32_e32 v25, 0xffff0000, v25
	v_fmac_f32_e32 v23, v24, v13
	v_fmac_f32_e32 v21, v32, v13
	s_delay_alu instid0(VALU_DEP_2) | instskip(NEXT) | instid1(VALU_DEP_2)
	v_dual_fmac_f32 v20, v25, v13 :: v_dual_fmac_f32 v23, v26, v14
	v_dual_fmac_f32 v21, v34, v14 :: v_dual_fmac_f32 v22, v29, v36
	s_delay_alu instid0(VALU_DEP_2) | instskip(NEXT) | instid1(VALU_DEP_2)
	v_fmac_f32_e32 v20, v27, v14
	v_fmac_f32_e32 v22, v31, v17
	s_delay_alu instid0(VALU_DEP_1) | instskip(NEXT) | instid1(VALU_DEP_1)
	v_fmac_f32_e32 v22, v33, v13
	v_fmac_f32_e32 v22, v35, v14
	s_and_not1_b32 exec_lo, exec_lo, s6
	s_cbranch_execnz .LBB114_29
; %bb.30:
	s_or_b32 exec_lo, exec_lo, s6
.LBB114_31:
	s_delay_alu instid0(SALU_CYCLE_1) | instskip(NEXT) | instid1(SALU_CYCLE_1)
	s_or_b32 exec_lo, exec_lo, s2
	s_mov_b32 s2, exec_lo
	v_cmpx_lt_u64_e32 0xbf, v[7:8]
	s_cbranch_execz .LBB114_35
; %bb.32:
	v_lshlrev_b64 v[7:8], 2, v[0:1]
	s_mov_b32 s6, 0
	s_delay_alu instid0(VALU_DEP_1) | instskip(NEXT) | instid1(VALU_DEP_2)
	v_add_co_u32 v7, vcc_lo, v7, s8
	v_add_co_ci_u32_e32 v8, vcc_lo, s9, v8, vcc_lo
	s_delay_alu instid0(VALU_DEP_2) | instskip(NEXT) | instid1(VALU_DEP_2)
	v_add_co_u32 v7, vcc_lo, 0x200, v7
	v_add_co_ci_u32_e32 v8, vcc_lo, 0, v8, vcc_lo
.LBB114_33:                             ; =>This Inner Loop Header: Depth=1
	s_clause 0x3
	global_load_b32 v44, v[7:8], off offset:-512
	global_load_b32 v45, v[7:8], off offset:-256
	global_load_b32 v46, v[7:8], off
	global_load_b32 v47, v[7:8], off offset:256
	global_load_b128 v[9:12], v[5:6], off
	v_add_co_u32 v17, vcc_lo, 0x1000, v5
	v_add_co_ci_u32_e32 v18, vcc_lo, 0, v6, vcc_lo
	s_clause 0x5
	global_load_b128 v[13:16], v[5:6], off offset:16
	global_load_b128 v[24:27], v[5:6], off offset:2048
	;; [unrolled: 1-line block ×3, first 2 shown]
	global_load_b128 v[32:35], v[17:18], off
	global_load_b128 v[36:39], v[17:18], off offset:16
	global_load_b128 v[40:43], v[17:18], off offset:2048
	s_waitcnt vmcnt(10)
	v_subrev_nc_u32_e32 v44, s18, v44
	s_waitcnt vmcnt(9)
	v_subrev_nc_u32_e32 v45, s18, v45
	;; [unrolled: 2-line block ×4, first 2 shown]
	s_waitcnt vmcnt(5)
	v_lshlrev_b32_e32 v59, 16, v14
	v_lshlrev_b32_e32 v44, 2, v44
	;; [unrolled: 1-line block ×4, first 2 shown]
	s_waitcnt vmcnt(1)
	v_lshlrev_b32_e32 v76, 16, v38
	s_waitcnt vmcnt(0)
	v_lshlrev_b32_e32 v80, 16, v42
	v_ashrrev_i32_e32 v45, 31, v44
	v_lshlrev_b32_e32 v78, 16, v40
	v_lshlrev_b32_e32 v72, 16, v34
	;; [unrolled: 1-line block ×10, first 2 shown]
	v_and_b32_e32 v38, 0xffff0000, v38
	v_and_b32_e32 v36, 0xffff0000, v36
	;; [unrolled: 1-line block ×5, first 2 shown]
	v_lshlrev_b32_e32 v60, 16, v15
	v_lshlrev_b32_e32 v56, 16, v11
	;; [unrolled: 1-line block ×3, first 2 shown]
	v_ashrrev_i32_e32 v47, 31, v46
	v_lshlrev_b64 v[44:45], 1, v[44:45]
	v_ashrrev_i32_e32 v49, 31, v48
	v_and_b32_e32 v42, 0xffff0000, v42
	v_ashrrev_i32_e32 v51, 31, v50
	v_lshlrev_b64 v[46:47], 1, v[46:47]
	v_and_b32_e32 v40, 0xffff0000, v40
	v_lshlrev_b64 v[48:49], 1, v[48:49]
	s_waitcnt lgkmcnt(0)
	v_add_co_u32 v44, vcc_lo, s4, v44
	v_add_co_ci_u32_e32 v45, vcc_lo, s5, v45, vcc_lo
	v_lshlrev_b64 v[50:51], 1, v[50:51]
	v_add_co_u32 v46, vcc_lo, s4, v46
	v_add_co_ci_u32_e32 v47, vcc_lo, s5, v47, vcc_lo
	v_add_co_u32 v48, vcc_lo, s4, v48
	v_add_co_ci_u32_e32 v49, vcc_lo, s5, v49, vcc_lo
	;; [unrolled: 2-line block ×3, first 2 shown]
	s_clause 0x3
	global_load_b64 v[52:53], v[44:45], off
	global_load_b64 v[54:55], v[46:47], off
	;; [unrolled: 1-line block ×4, first 2 shown]
	global_load_b128 v[44:47], v[17:18], off offset:2064
	v_and_b32_e32 v34, 0xffff0000, v34
	v_and_b32_e32 v32, 0xffff0000, v32
	v_and_b32_e32 v26, 0xffff0000, v26
	v_add_co_u32 v0, vcc_lo, 0x100, v0
	v_add_co_ci_u32_e32 v1, vcc_lo, 0, v1, vcc_lo
	v_add_co_u32 v7, vcc_lo, 0x400, v7
	v_add_co_ci_u32_e32 v8, vcc_lo, 0, v8, vcc_lo
	;; [unrolled: 2-line block ×3, first 2 shown]
	v_cmp_ge_i64_e32 vcc_lo, v[0:1], v[2:3]
	s_or_b32 s6, vcc_lo, s6
	s_waitcnt vmcnt(4)
	v_lshlrev_b32_e32 v86, 16, v52
	v_and_b32_e32 v52, 0xffff0000, v52
	v_and_b32_e32 v11, 0xffff0000, v11
	v_lshlrev_b32_e32 v18, 16, v10
	v_lshlrev_b32_e32 v17, 16, v9
	v_and_b32_e32 v13, 0xffff0000, v13
	v_and_b32_e32 v10, 0xffff0000, v10
	v_and_b32_e32 v9, 0xffff0000, v9
	s_waitcnt vmcnt(0)
	v_lshlrev_b32_e32 v84, 16, v46
	v_and_b32_e32 v46, 0xffff0000, v46
	v_fmac_f32_e32 v20, v10, v86
	v_fmac_f32_e32 v23, v9, v86
	v_lshlrev_b32_e32 v9, 16, v53
	v_and_b32_e32 v10, 0xffff0000, v53
	v_lshlrev_b32_e32 v61, 16, v16
	v_and_b32_e32 v15, 0xffff0000, v15
	v_dual_fmac_f32 v23, v11, v52 :: v_dual_fmac_f32 v22, v18, v86
	v_fmac_f32_e32 v21, v17, v86
	s_delay_alu instid0(VALU_DEP_2) | instskip(NEXT) | instid1(VALU_DEP_2)
	v_dual_fmac_f32 v23, v13, v9 :: v_dual_and_b32 v12, 0xffff0000, v12
	v_fmac_f32_e32 v21, v56, v52
	s_delay_alu instid0(VALU_DEP_2) | instskip(NEXT) | instid1(VALU_DEP_2)
	v_dual_fmac_f32 v22, v57, v52 :: v_dual_fmac_f32 v23, v15, v10
	v_dual_fmac_f32 v20, v12, v52 :: v_dual_fmac_f32 v21, v58, v9
	s_delay_alu instid0(VALU_DEP_1) | instskip(SKIP_1) | instid1(VALU_DEP_1)
	v_fmac_f32_e32 v21, v60, v10
	v_and_b32_e32 v14, 0xffff0000, v14
	v_fmac_f32_e32 v20, v14, v9
	v_dual_fmac_f32 v22, v59, v9 :: v_dual_lshlrev_b32 v9, 16, v54
	s_delay_alu instid0(VALU_DEP_1) | instskip(SKIP_1) | instid1(VALU_DEP_1)
	v_fmac_f32_e32 v21, v62, v9
	v_dual_fmac_f32 v23, v24, v9 :: v_dual_and_b32 v16, 0xffff0000, v16
	v_fmac_f32_e32 v20, v16, v10
	s_delay_alu instid0(VALU_DEP_4) | instskip(SKIP_4) | instid1(VALU_DEP_2)
	v_dual_fmac_f32 v22, v61, v10 :: v_dual_lshlrev_b32 v65, 16, v27
	v_and_b32_e32 v27, 0xffff0000, v27
	v_and_b32_e32 v10, 0xffff0000, v54
	v_lshlrev_b32_e32 v63, 16, v25
	v_and_b32_e32 v25, 0xffff0000, v25
	v_dual_fmac_f32 v21, v64, v10 :: v_dual_fmac_f32 v22, v63, v9
	s_delay_alu instid0(VALU_DEP_2) | instskip(SKIP_1) | instid1(VALU_DEP_3)
	v_dual_fmac_f32 v20, v25, v9 :: v_dual_lshlrev_b32 v9, 16, v55
	v_fmac_f32_e32 v23, v26, v10
	v_fmac_f32_e32 v22, v65, v10
	s_delay_alu instid0(VALU_DEP_3)
	v_dual_fmac_f32 v20, v27, v10 :: v_dual_lshlrev_b32 v69, 16, v31
	v_and_b32_e32 v31, 0xffff0000, v31
	v_and_b32_e32 v10, 0xffff0000, v55
	v_lshlrev_b32_e32 v67, 16, v29
	v_and_b32_e32 v29, 0xffff0000, v29
	v_fmac_f32_e32 v21, v66, v9
	v_fmac_f32_e32 v23, v28, v9
	s_delay_alu instid0(VALU_DEP_4) | instskip(NEXT) | instid1(VALU_DEP_4)
	v_fmac_f32_e32 v22, v67, v9
	v_dual_fmac_f32 v20, v29, v9 :: v_dual_lshlrev_b32 v9, 16, v48
	s_delay_alu instid0(VALU_DEP_4) | instskip(NEXT) | instid1(VALU_DEP_4)
	v_fmac_f32_e32 v21, v68, v10
	v_fmac_f32_e32 v23, v30, v10
	s_delay_alu instid0(VALU_DEP_4) | instskip(NEXT) | instid1(VALU_DEP_4)
	v_fmac_f32_e32 v22, v69, v10
	v_dual_fmac_f32 v20, v31, v10 :: v_dual_lshlrev_b32 v73, 16, v35
	v_and_b32_e32 v35, 0xffff0000, v35
	v_and_b32_e32 v10, 0xffff0000, v48
	v_lshlrev_b32_e32 v71, 16, v33
	v_and_b32_e32 v33, 0xffff0000, v33
	v_fmac_f32_e32 v21, v70, v9
	v_fmac_f32_e32 v23, v32, v9
	s_delay_alu instid0(VALU_DEP_4) | instskip(NEXT) | instid1(VALU_DEP_4)
	v_fmac_f32_e32 v22, v71, v9
	v_fmac_f32_e32 v20, v33, v9
	v_lshlrev_b32_e32 v9, 16, v49
	v_fmac_f32_e32 v21, v72, v10
	v_fmac_f32_e32 v23, v34, v10
	;; [unrolled: 1-line block ×3, first 2 shown]
	v_dual_fmac_f32 v20, v35, v10 :: v_dual_lshlrev_b32 v77, 16, v39
	v_and_b32_e32 v39, 0xffff0000, v39
	v_and_b32_e32 v10, 0xffff0000, v49
	v_lshlrev_b32_e32 v75, 16, v37
	v_and_b32_e32 v37, 0xffff0000, v37
	v_fmac_f32_e32 v21, v74, v9
	v_fmac_f32_e32 v23, v36, v9
	s_delay_alu instid0(VALU_DEP_4) | instskip(NEXT) | instid1(VALU_DEP_4)
	v_fmac_f32_e32 v22, v75, v9
	v_dual_fmac_f32 v20, v37, v9 :: v_dual_lshlrev_b32 v9, 16, v50
	s_delay_alu instid0(VALU_DEP_4) | instskip(NEXT) | instid1(VALU_DEP_4)
	v_fmac_f32_e32 v21, v76, v10
	v_fmac_f32_e32 v23, v38, v10
	s_delay_alu instid0(VALU_DEP_4) | instskip(NEXT) | instid1(VALU_DEP_4)
	v_fmac_f32_e32 v22, v77, v10
	v_dual_fmac_f32 v20, v39, v10 :: v_dual_lshlrev_b32 v81, 16, v43
	v_and_b32_e32 v43, 0xffff0000, v43
	v_and_b32_e32 v10, 0xffff0000, v50
	v_lshlrev_b32_e32 v79, 16, v41
	v_and_b32_e32 v41, 0xffff0000, v41
	v_fmac_f32_e32 v21, v78, v9
	v_fmac_f32_e32 v23, v40, v9
	s_delay_alu instid0(VALU_DEP_4) | instskip(NEXT) | instid1(VALU_DEP_4)
	v_fmac_f32_e32 v22, v79, v9
	v_dual_fmac_f32 v20, v41, v9 :: v_dual_lshlrev_b32 v9, 16, v51
	s_delay_alu instid0(VALU_DEP_4) | instskip(NEXT) | instid1(VALU_DEP_4)
	v_fmac_f32_e32 v21, v80, v10
	v_fmac_f32_e32 v23, v42, v10
	s_delay_alu instid0(VALU_DEP_4) | instskip(NEXT) | instid1(VALU_DEP_4)
	v_fmac_f32_e32 v22, v81, v10
	v_dual_fmac_f32 v20, v43, v10 :: v_dual_lshlrev_b32 v85, 16, v47
	v_and_b32_e32 v47, 0xffff0000, v47
	v_and_b32_e32 v10, 0xffff0000, v51
	v_lshlrev_b32_e32 v82, 16, v44
	v_and_b32_e32 v44, 0xffff0000, v44
	v_lshlrev_b32_e32 v83, 16, v45
	v_and_b32_e32 v45, 0xffff0000, v45
	s_delay_alu instid0(VALU_DEP_4) | instskip(NEXT) | instid1(VALU_DEP_4)
	v_fmac_f32_e32 v21, v82, v9
	v_fmac_f32_e32 v23, v44, v9
	s_delay_alu instid0(VALU_DEP_4) | instskip(NEXT) | instid1(VALU_DEP_3)
	v_fmac_f32_e32 v22, v83, v9
	v_dual_fmac_f32 v20, v45, v9 :: v_dual_fmac_f32 v21, v84, v10
	s_delay_alu instid0(VALU_DEP_3) | instskip(NEXT) | instid1(VALU_DEP_3)
	v_fmac_f32_e32 v23, v46, v10
	v_fmac_f32_e32 v22, v85, v10
	s_delay_alu instid0(VALU_DEP_3)
	v_fmac_f32_e32 v20, v47, v10
	s_and_not1_b32 exec_lo, exec_lo, s6
	s_cbranch_execnz .LBB114_33
; %bb.34:
	s_or_b32 exec_lo, exec_lo, s6
.LBB114_35:
	s_delay_alu instid0(SALU_CYCLE_1)
	s_or_b32 exec_lo, exec_lo, s2
.LBB114_36:
	s_delay_alu instid0(SALU_CYCLE_1)
	s_or_b32 exec_lo, exec_lo, s3
.LBB114_37:
	v_mbcnt_lo_u32_b32 v0, -1, 0
	s_mov_b32 s2, -1
	s_delay_alu instid0(VALU_DEP_1) | instskip(SKIP_2) | instid1(VALU_DEP_3)
	v_or_b32_e32 v1, 32, v0
	v_xor_b32_e32 v6, 16, v0
	v_xor_b32_e32 v10, 8, v0
	v_cmp_gt_i32_e32 vcc_lo, 32, v1
	v_cndmask_b32_e32 v1, v0, v1, vcc_lo
	s_delay_alu instid0(VALU_DEP_4) | instskip(SKIP_2) | instid1(VALU_DEP_2)
	v_cmp_gt_i32_e32 vcc_lo, 32, v6
	v_cndmask_b32_e32 v6, v0, v6, vcc_lo
	v_cmp_gt_i32_e32 vcc_lo, 32, v10
	v_lshlrev_b32_e32 v6, 2, v6
	v_dual_cndmask_b32 v10, v0, v10 :: v_dual_lshlrev_b32 v1, 2, v1
	ds_bpermute_b32 v2, v1, v21
	v_lshlrev_b32_e32 v10, 2, v10
	s_waitcnt lgkmcnt(0)
	v_add_f32_e32 v2, v21, v2
	ds_bpermute_b32 v3, v1, v23
	ds_bpermute_b32 v5, v1, v22
	;; [unrolled: 1-line block ×4, first 2 shown]
	s_waitcnt lgkmcnt(3)
	v_add_f32_e32 v3, v23, v3
	s_waitcnt lgkmcnt(2)
	v_add_f32_e32 v5, v22, v5
	;; [unrolled: 2-line block ×3, first 2 shown]
	ds_bpermute_b32 v8, v6, v3
	ds_bpermute_b32 v9, v6, v5
	;; [unrolled: 1-line block ×3, first 2 shown]
	s_waitcnt lgkmcnt(2)
	v_dual_add_f32 v2, v2, v7 :: v_dual_add_f32 v3, v3, v8
	s_waitcnt lgkmcnt(1)
	v_add_f32_e32 v5, v5, v9
	s_waitcnt lgkmcnt(0)
	v_add_f32_e32 v1, v1, v6
	ds_bpermute_b32 v6, v10, v2
	ds_bpermute_b32 v7, v10, v3
	;; [unrolled: 1-line block ×4, first 2 shown]
	v_xor_b32_e32 v10, 4, v0
	s_delay_alu instid0(VALU_DEP_1) | instskip(SKIP_1) | instid1(VALU_DEP_1)
	v_cmp_gt_i32_e32 vcc_lo, 32, v10
	v_cndmask_b32_e32 v10, v0, v10, vcc_lo
	v_lshlrev_b32_e32 v10, 2, v10
	s_waitcnt lgkmcnt(2)
	v_dual_add_f32 v2, v2, v6 :: v_dual_add_f32 v3, v3, v7
	s_waitcnt lgkmcnt(1)
	v_add_f32_e32 v5, v5, v8
	s_waitcnt lgkmcnt(0)
	v_add_f32_e32 v1, v1, v9
	ds_bpermute_b32 v6, v10, v2
	ds_bpermute_b32 v7, v10, v3
	ds_bpermute_b32 v8, v10, v5
	ds_bpermute_b32 v9, v10, v1
	v_xor_b32_e32 v10, 2, v0
	s_delay_alu instid0(VALU_DEP_1) | instskip(SKIP_1) | instid1(VALU_DEP_1)
	v_cmp_gt_i32_e32 vcc_lo, 32, v10
	v_cndmask_b32_e32 v10, v0, v10, vcc_lo
	v_lshlrev_b32_e32 v10, 2, v10
	s_waitcnt lgkmcnt(2)
	v_dual_add_f32 v2, v2, v6 :: v_dual_add_f32 v3, v3, v7
	s_waitcnt lgkmcnt(1)
	v_add_f32_e32 v5, v5, v8
	ds_bpermute_b32 v7, v10, v3
	s_waitcnt lgkmcnt(1)
	v_add_f32_e32 v6, v1, v9
	ds_bpermute_b32 v1, v10, v2
	ds_bpermute_b32 v8, v10, v5
	;; [unrolled: 1-line block ×3, first 2 shown]
	v_xor_b32_e32 v10, 1, v0
	s_delay_alu instid0(VALU_DEP_1) | instskip(SKIP_2) | instid1(VALU_DEP_2)
	v_cmp_gt_i32_e32 vcc_lo, 32, v10
	v_cndmask_b32_e32 v0, v0, v10, vcc_lo
	v_cmp_eq_u32_e32 vcc_lo, 63, v19
	v_lshlrev_b32_e32 v10, 2, v0
	s_waitcnt lgkmcnt(2)
	v_dual_add_f32 v0, v2, v1 :: v_dual_add_f32 v1, v3, v7
	s_waitcnt lgkmcnt(0)
	v_dual_add_f32 v2, v5, v8 :: v_dual_add_f32 v3, v6, v9
	ds_bpermute_b32 v5, v10, v0
	ds_bpermute_b32 v6, v10, v1
	;; [unrolled: 1-line block ×4, first 2 shown]
	s_and_b32 exec_lo, exec_lo, vcc_lo
	s_cbranch_execz .LBB114_10
; %bb.38:
	s_load_b64 s[0:1], s[0:1], 0x50
	s_waitcnt lgkmcnt(0)
	v_dual_add_f32 v0, v0, v5 :: v_dual_add_f32 v1, v1, v6
	v_dual_add_f32 v2, v2, v7 :: v_dual_add_f32 v3, v3, v8
	v_cmp_eq_f32_e64 s3, s12, 0
	s_delay_alu instid0(VALU_DEP_3) | instskip(NEXT) | instid1(VALU_DEP_3)
	v_dual_mul_f32 v0, s16, v0 :: v_dual_mul_f32 v1, s16, v1
	v_dual_mul_f32 v2, s16, v2 :: v_dual_mul_f32 v3, s16, v3
	v_lshlrev_b32_e32 v4, 2, v4
	s_delay_alu instid0(VALU_DEP_4)
	s_and_b32 vcc_lo, exec_lo, s3
	s_cbranch_vccz .LBB114_40
; %bb.39:
	s_delay_alu instid0(VALU_DEP_1) | instskip(SKIP_1) | instid1(VALU_DEP_1)
	v_ashrrev_i32_e32 v5, 31, v4
	s_mov_b32 s2, 0
	v_lshlrev_b64 v[5:6], 2, v[4:5]
	s_delay_alu instid0(VALU_DEP_1) | instskip(NEXT) | instid1(VALU_DEP_2)
	v_add_co_u32 v5, vcc_lo, s0, v5
	v_add_co_ci_u32_e32 v6, vcc_lo, s1, v6, vcc_lo
	global_store_b128 v[5:6], v[0:3], off
.LBB114_40:
	s_and_not1_b32 vcc_lo, exec_lo, s2
	s_cbranch_vccnz .LBB114_10
; %bb.41:
	v_ashrrev_i32_e32 v5, 31, v4
	s_delay_alu instid0(VALU_DEP_1) | instskip(NEXT) | instid1(VALU_DEP_1)
	v_lshlrev_b64 v[4:5], 2, v[4:5]
	v_add_co_u32 v8, vcc_lo, s0, v4
	s_delay_alu instid0(VALU_DEP_2)
	v_add_co_ci_u32_e32 v9, vcc_lo, s1, v5, vcc_lo
	global_load_b128 v[4:7], v[8:9], off
	s_waitcnt vmcnt(0)
	v_dual_fmac_f32 v0, s12, v4 :: v_dual_fmac_f32 v1, s12, v5
	v_dual_fmac_f32 v2, s12, v6 :: v_dual_fmac_f32 v3, s12, v7
	global_store_b128 v[8:9], v[0:3], off
	s_nop 0
	s_sendmsg sendmsg(MSG_DEALLOC_VGPRS)
	s_endpgm
	.section	.rodata,"a",@progbits
	.p2align	6, 0x0
	.amdhsa_kernel _ZN9rocsparseL18bsrxmvn_4x4_kernelILj128ELj64Efli18rocsparse_bfloat16S1_fEEvT3_20rocsparse_direction_NS_24const_host_device_scalarIT1_EES2_PKS2_PKT2_SB_S8_PKT4_PKT5_S6_PT6_21rocsparse_index_base_b
		.amdhsa_group_segment_fixed_size 0
		.amdhsa_private_segment_fixed_size 0
		.amdhsa_kernarg_size 96
		.amdhsa_user_sgpr_count 15
		.amdhsa_user_sgpr_dispatch_ptr 0
		.amdhsa_user_sgpr_queue_ptr 0
		.amdhsa_user_sgpr_kernarg_segment_ptr 1
		.amdhsa_user_sgpr_dispatch_id 0
		.amdhsa_user_sgpr_private_segment_size 0
		.amdhsa_wavefront_size32 1
		.amdhsa_uses_dynamic_stack 0
		.amdhsa_enable_private_segment 0
		.amdhsa_system_sgpr_workgroup_id_x 1
		.amdhsa_system_sgpr_workgroup_id_y 0
		.amdhsa_system_sgpr_workgroup_id_z 0
		.amdhsa_system_sgpr_workgroup_info 0
		.amdhsa_system_vgpr_workitem_id 0
		.amdhsa_next_free_vgpr 93
		.amdhsa_next_free_sgpr 20
		.amdhsa_reserve_vcc 1
		.amdhsa_float_round_mode_32 0
		.amdhsa_float_round_mode_16_64 0
		.amdhsa_float_denorm_mode_32 3
		.amdhsa_float_denorm_mode_16_64 3
		.amdhsa_dx10_clamp 1
		.amdhsa_ieee_mode 1
		.amdhsa_fp16_overflow 0
		.amdhsa_workgroup_processor_mode 1
		.amdhsa_memory_ordered 1
		.amdhsa_forward_progress 0
		.amdhsa_shared_vgpr_count 0
		.amdhsa_exception_fp_ieee_invalid_op 0
		.amdhsa_exception_fp_denorm_src 0
		.amdhsa_exception_fp_ieee_div_zero 0
		.amdhsa_exception_fp_ieee_overflow 0
		.amdhsa_exception_fp_ieee_underflow 0
		.amdhsa_exception_fp_ieee_inexact 0
		.amdhsa_exception_int_div_zero 0
	.end_amdhsa_kernel
	.section	.text._ZN9rocsparseL18bsrxmvn_4x4_kernelILj128ELj64Efli18rocsparse_bfloat16S1_fEEvT3_20rocsparse_direction_NS_24const_host_device_scalarIT1_EES2_PKS2_PKT2_SB_S8_PKT4_PKT5_S6_PT6_21rocsparse_index_base_b,"axG",@progbits,_ZN9rocsparseL18bsrxmvn_4x4_kernelILj128ELj64Efli18rocsparse_bfloat16S1_fEEvT3_20rocsparse_direction_NS_24const_host_device_scalarIT1_EES2_PKS2_PKT2_SB_S8_PKT4_PKT5_S6_PT6_21rocsparse_index_base_b,comdat
.Lfunc_end114:
	.size	_ZN9rocsparseL18bsrxmvn_4x4_kernelILj128ELj64Efli18rocsparse_bfloat16S1_fEEvT3_20rocsparse_direction_NS_24const_host_device_scalarIT1_EES2_PKS2_PKT2_SB_S8_PKT4_PKT5_S6_PT6_21rocsparse_index_base_b, .Lfunc_end114-_ZN9rocsparseL18bsrxmvn_4x4_kernelILj128ELj64Efli18rocsparse_bfloat16S1_fEEvT3_20rocsparse_direction_NS_24const_host_device_scalarIT1_EES2_PKS2_PKT2_SB_S8_PKT4_PKT5_S6_PT6_21rocsparse_index_base_b
                                        ; -- End function
	.section	.AMDGPU.csdata,"",@progbits
; Kernel info:
; codeLenInByte = 5104
; NumSgprs: 22
; NumVgprs: 93
; ScratchSize: 0
; MemoryBound: 0
; FloatMode: 240
; IeeeMode: 1
; LDSByteSize: 0 bytes/workgroup (compile time only)
; SGPRBlocks: 2
; VGPRBlocks: 11
; NumSGPRsForWavesPerEU: 22
; NumVGPRsForWavesPerEU: 93
; Occupancy: 16
; WaveLimiterHint : 1
; COMPUTE_PGM_RSRC2:SCRATCH_EN: 0
; COMPUTE_PGM_RSRC2:USER_SGPR: 15
; COMPUTE_PGM_RSRC2:TRAP_HANDLER: 0
; COMPUTE_PGM_RSRC2:TGID_X_EN: 1
; COMPUTE_PGM_RSRC2:TGID_Y_EN: 0
; COMPUTE_PGM_RSRC2:TGID_Z_EN: 0
; COMPUTE_PGM_RSRC2:TIDIG_COMP_CNT: 0
	.section	.text._ZN9rocsparseL18bsrxmvn_4x4_kernelILj128ELj4Efll18rocsparse_bfloat16S1_fEEvT3_20rocsparse_direction_NS_24const_host_device_scalarIT1_EES2_PKS2_PKT2_SB_S8_PKT4_PKT5_S6_PT6_21rocsparse_index_base_b,"axG",@progbits,_ZN9rocsparseL18bsrxmvn_4x4_kernelILj128ELj4Efll18rocsparse_bfloat16S1_fEEvT3_20rocsparse_direction_NS_24const_host_device_scalarIT1_EES2_PKS2_PKT2_SB_S8_PKT4_PKT5_S6_PT6_21rocsparse_index_base_b,comdat
	.globl	_ZN9rocsparseL18bsrxmvn_4x4_kernelILj128ELj4Efll18rocsparse_bfloat16S1_fEEvT3_20rocsparse_direction_NS_24const_host_device_scalarIT1_EES2_PKS2_PKT2_SB_S8_PKT4_PKT5_S6_PT6_21rocsparse_index_base_b ; -- Begin function _ZN9rocsparseL18bsrxmvn_4x4_kernelILj128ELj4Efll18rocsparse_bfloat16S1_fEEvT3_20rocsparse_direction_NS_24const_host_device_scalarIT1_EES2_PKS2_PKT2_SB_S8_PKT4_PKT5_S6_PT6_21rocsparse_index_base_b
	.p2align	8
	.type	_ZN9rocsparseL18bsrxmvn_4x4_kernelILj128ELj4Efll18rocsparse_bfloat16S1_fEEvT3_20rocsparse_direction_NS_24const_host_device_scalarIT1_EES2_PKS2_PKT2_SB_S8_PKT4_PKT5_S6_PT6_21rocsparse_index_base_b,@function
_ZN9rocsparseL18bsrxmvn_4x4_kernelILj128ELj4Efll18rocsparse_bfloat16S1_fEEvT3_20rocsparse_direction_NS_24const_host_device_scalarIT1_EES2_PKS2_PKT2_SB_S8_PKT4_PKT5_S6_PT6_21rocsparse_index_base_b: ; @_ZN9rocsparseL18bsrxmvn_4x4_kernelILj128ELj4Efll18rocsparse_bfloat16S1_fEEvT3_20rocsparse_direction_NS_24const_host_device_scalarIT1_EES2_PKS2_PKT2_SB_S8_PKT4_PKT5_S6_PT6_21rocsparse_index_base_b
; %bb.0:
	s_clause 0x2
	s_load_b64 s[20:21], s[0:1], 0x60
	s_load_b128 s[16:19], s[0:1], 0x10
	s_load_b64 s[12:13], s[0:1], 0x50
	s_waitcnt lgkmcnt(0)
	s_bitcmp1_b32 s21, 0
	s_cselect_b32 s2, -1, 0
	s_delay_alu instid0(SALU_CYCLE_1)
	s_and_b32 vcc_lo, exec_lo, s2
	s_xor_b32 s2, s2, -1
	s_cbranch_vccnz .LBB115_2
; %bb.1:
	s_load_b32 s16, s[16:17], 0x0
.LBB115_2:
	s_and_not1_b32 vcc_lo, exec_lo, s2
	s_cbranch_vccnz .LBB115_4
; %bb.3:
	s_load_b32 s12, s[12:13], 0x0
.LBB115_4:
	s_waitcnt lgkmcnt(0)
	v_cmp_neq_f32_e64 s2, s16, 0
	v_cmp_neq_f32_e64 s3, s12, 1.0
	s_mov_b32 s4, 0
	s_delay_alu instid0(VALU_DEP_1) | instskip(NEXT) | instid1(SALU_CYCLE_1)
	s_or_b32 s2, s2, s3
	s_and_not1_b32 vcc_lo, exec_lo, s2
	s_cbranch_vccnz .LBB115_10
; %bb.5:
	s_load_b64 s[2:3], s[0:1], 0x20
	v_lshrrev_b32_e32 v1, 2, v0
	v_mov_b32_e32 v2, 0
	s_delay_alu instid0(VALU_DEP_2)
	v_lshl_or_b32 v1, s15, 5, v1
	s_waitcnt lgkmcnt(0)
	s_cmp_lg_u64 s[2:3], 0
	s_cbranch_scc0 .LBB115_11
; %bb.6:
	s_mov_b32 s5, 0
	s_mov_b32 s6, exec_lo
                                        ; implicit-def: $vgpr3_vgpr4
	v_cmpx_gt_i64_e64 s[18:19], v[1:2]
	s_xor_b32 s6, exec_lo, s6
                                        ; implicit-def: $sgpr14_sgpr15
	s_cbranch_execz .LBB115_8
; %bb.7:
	v_lshlrev_b64 v[3:4], 3, v[1:2]
	s_mov_b32 s4, exec_lo
	s_mov_b32 s15, 0
	s_delay_alu instid0(VALU_DEP_1) | instskip(NEXT) | instid1(VALU_DEP_2)
	v_add_co_u32 v3, vcc_lo, s2, v3
	v_add_co_ci_u32_e32 v4, vcc_lo, s3, v4, vcc_lo
	global_load_b64 v[3:4], v[3:4], off
	s_waitcnt vmcnt(0)
	v_sub_co_u32 v3, vcc_lo, v3, s20
	v_subrev_co_ci_u32_e32 v4, vcc_lo, 0, v4, vcc_lo
.LBB115_8:
	s_or_b32 exec_lo, exec_lo, s6
	s_delay_alu instid0(SALU_CYCLE_1)
	s_and_b32 vcc_lo, exec_lo, s5
	s_cbranch_vccnz .LBB115_12
.LBB115_9:
	s_and_saveexec_b32 s2, s4
	s_cbranch_execnz .LBB115_15
.LBB115_10:
	s_nop 0
	s_sendmsg sendmsg(MSG_DEALLOC_VGPRS)
	s_endpgm
.LBB115_11:
                                        ; implicit-def: $vgpr3_vgpr4
                                        ; implicit-def: $sgpr14_sgpr15
	s_cbranch_execz .LBB115_9
.LBB115_12:
	s_load_b64 s[2:3], s[0:1], 0x0
                                        ; implicit-def: $vgpr3_vgpr4
	s_waitcnt lgkmcnt(0)
	v_cmp_gt_i64_e32 vcc_lo, s[2:3], v[1:2]
	s_and_saveexec_b32 s2, vcc_lo
                                        ; implicit-def: $sgpr14_sgpr15
; %bb.13:
	v_dual_mov_b32 v4, v2 :: v_dual_mov_b32 v3, v1
	s_mov_b32 s15, 0
	s_or_b32 s4, s4, exec_lo
; %bb.14:
	s_or_b32 exec_lo, exec_lo, s2
	s_and_saveexec_b32 s2, s4
	s_cbranch_execz .LBB115_10
.LBB115_15:
	s_load_b256 s[4:11], s[0:1], 0x28
	v_lshlrev_b64 v[1:2], 3, v[3:4]
	s_load_b32 s3, s[0:1], 0x8
	v_mov_b32_e32 v21, 0
	s_waitcnt lgkmcnt(0)
	s_delay_alu instid0(VALU_DEP_2) | instskip(NEXT) | instid1(VALU_DEP_3)
	v_add_co_u32 v5, vcc_lo, s4, v1
	v_add_co_ci_u32_e32 v6, vcc_lo, s5, v2, vcc_lo
	v_add_co_u32 v1, vcc_lo, s6, v1
	v_add_co_ci_u32_e32 v2, vcc_lo, s7, v2, vcc_lo
	s_delay_alu instid0(VALU_DEP_4)
	v_add_co_u32 v7, vcc_lo, v5, 8
	global_load_b64 v[9:10], v[5:6], off
	v_add_co_ci_u32_e32 v8, vcc_lo, 0, v6, vcc_lo
	s_cmp_eq_u64 s[6:7], 0
	s_load_b64 s[4:5], s[0:1], 0x48
	s_cselect_b32 vcc_lo, -1, 0
	s_cmp_eq_u32 s3, 1
	v_dual_cndmask_b32 v2, v2, v8 :: v_dual_cndmask_b32 v1, v1, v7
	global_load_b64 v[5:6], v[1:2], off
	v_and_b32_e32 v2, 3, v0
	s_waitcnt vmcnt(1)
	v_sub_co_u32 v0, vcc_lo, v9, s20
	v_subrev_co_ci_u32_e32 v1, vcc_lo, s15, v10, vcc_lo
	s_delay_alu instid0(VALU_DEP_2) | instskip(NEXT) | instid1(VALU_DEP_2)
	v_add_co_u32 v0, vcc_lo, v0, v2
	v_add_co_ci_u32_e32 v1, vcc_lo, 0, v1, vcc_lo
	s_delay_alu instid0(VALU_DEP_1) | instskip(SKIP_3) | instid1(VALU_DEP_3)
	v_lshlrev_b64 v[7:8], 5, v[0:1]
	s_waitcnt vmcnt(0)
	v_sub_co_u32 v5, vcc_lo, v5, s20
	v_subrev_co_ci_u32_e32 v6, vcc_lo, s15, v6, vcc_lo
	v_add_co_u32 v7, vcc_lo, s10, v7
	s_delay_alu instid0(VALU_DEP_2)
	v_cmp_lt_i64_e64 s2, v[0:1], v[5:6]
	v_add_co_ci_u32_e32 v8, vcc_lo, s11, v8, vcc_lo
	s_cbranch_scc1 .LBB115_27
; %bb.16:
	v_dual_mov_b32 v23, 0 :: v_dual_mov_b32 v24, 0
	v_mov_b32_e32 v22, 0
	s_mov_b32 s6, 0
	s_and_saveexec_b32 s7, s2
	s_cbranch_execz .LBB115_26
; %bb.17:
	v_or_b32_e32 v11, 4, v2
	v_not_b32_e32 v14, v9
	v_not_b32_e32 v13, v10
	v_mov_b32_e32 v23, 0
	v_mov_b32_e32 v21, 0
	v_sub_co_u32 v11, s3, v11, s20
	s_delay_alu instid0(VALU_DEP_1) | instskip(SKIP_1) | instid1(VALU_DEP_3)
	v_sub_co_ci_u32_e64 v12, null, 0, s15, s3
	v_sub_co_u32 v15, s3, s20, v2
	v_add_co_u32 v11, vcc_lo, v11, v9
	s_delay_alu instid0(VALU_DEP_3) | instskip(SKIP_2) | instid1(VALU_DEP_2)
	v_add_co_ci_u32_e32 v12, vcc_lo, v12, v10, vcc_lo
	v_sub_co_ci_u32_e64 v16, null, s15, 0, s3
	s_mov_b32 s3, exec_lo
	v_cmp_gt_i64_e32 vcc_lo, v[11:12], v[5:6]
	v_mov_b32_e32 v22, 0
	v_mov_b32_e32 v24, 0
	v_dual_cndmask_b32 v12, v6, v12 :: v_dual_cndmask_b32 v11, v5, v11
	v_add_co_u32 v14, vcc_lo, v15, v14
	v_add_co_ci_u32_e32 v13, vcc_lo, v16, v13, vcc_lo
	s_delay_alu instid0(VALU_DEP_2) | instskip(NEXT) | instid1(VALU_DEP_2)
	v_add_co_u32 v15, vcc_lo, v14, v11
	v_add_co_ci_u32_e32 v16, vcc_lo, v13, v12, vcc_lo
	v_mov_b32_e32 v14, v8
	s_delay_alu instid0(VALU_DEP_3) | instskip(SKIP_1) | instid1(VALU_DEP_2)
	v_lshrrev_b32_e32 v11, 2, v15
	v_mov_b32_e32 v13, v7
	v_add_nc_u32_e32 v11, 1, v11
	s_delay_alu instid0(VALU_DEP_1) | instskip(SKIP_1) | instid1(VALU_DEP_2)
	v_dual_mov_b32 v12, v1 :: v_dual_and_b32 v17, 3, v11
	v_mov_b32_e32 v11, v0
	v_cmpx_ne_u32_e32 0, v17
	s_cbranch_execz .LBB115_21
; %bb.18:
	v_lshlrev_b64 v[11:12], 3, v[0:1]
	v_dual_mov_b32 v18, 0 :: v_dual_lshlrev_b32 v17, 2, v17
	v_dual_mov_b32 v14, v8 :: v_dual_mov_b32 v13, v7
	s_mov_b32 s10, 0
	s_delay_alu instid0(VALU_DEP_3) | instskip(NEXT) | instid1(VALU_DEP_4)
	v_add_co_u32 v19, vcc_lo, s8, v11
	v_add_co_ci_u32_e32 v20, vcc_lo, s9, v12, vcc_lo
	v_dual_mov_b32 v12, v1 :: v_dual_mov_b32 v11, v0
	v_mov_b32_e32 v21, v18
	v_mov_b32_e32 v23, v18
	;; [unrolled: 1-line block ×4, first 2 shown]
.LBB115_19:                             ; =>This Inner Loop Header: Depth=1
	global_load_b64 v[29:30], v[19:20], off
	global_load_b128 v[25:28], v[13:14], off
	s_waitcnt vmcnt(1)
	v_sub_co_u32 v29, vcc_lo, v29, s20
	v_subrev_co_ci_u32_e32 v30, vcc_lo, s15, v30, vcc_lo
	s_delay_alu instid0(VALU_DEP_1) | instskip(SKIP_1) | instid1(VALU_DEP_1)
	v_lshlrev_b64 v[29:30], 3, v[29:30]
	s_waitcnt lgkmcnt(0)
	v_add_co_u32 v33, vcc_lo, s4, v29
	s_delay_alu instid0(VALU_DEP_2)
	v_add_co_ci_u32_e32 v34, vcc_lo, s5, v30, vcc_lo
	global_load_b128 v[29:32], v[13:14], off offset:16
	global_load_b64 v[33:34], v[33:34], off
	v_add_co_u32 v13, vcc_lo, 0x80, v13
	v_add_co_ci_u32_e32 v14, vcc_lo, 0, v14, vcc_lo
	v_add_co_u32 v11, vcc_lo, v11, 4
	v_add_co_ci_u32_e32 v12, vcc_lo, 0, v12, vcc_lo
	;; [unrolled: 2-line block ×3, first 2 shown]
	v_add_co_u32 v17, vcc_lo, v17, -4
	v_add_co_ci_u32_e32 v18, vcc_lo, -1, v18, vcc_lo
	s_delay_alu instid0(VALU_DEP_1)
	v_cmp_eq_u64_e32 vcc_lo, 0, v[17:18]
	s_or_b32 s10, vcc_lo, s10
	s_waitcnt vmcnt(0)
	v_lshlrev_b32_e32 v43, 16, v33
	v_and_b32_e32 v33, 0xffff0000, v33
	v_lshlrev_b32_e32 v37, 16, v27
	s_delay_alu instid0(VALU_DEP_1) | instskip(NEXT) | instid1(VALU_DEP_1)
	v_dual_fmac_f32 v24, v37, v43 :: v_dual_lshlrev_b32 v35, 16, v25
	v_dual_fmac_f32 v22, v35, v43 :: v_dual_and_b32 v25, 0xffff0000, v25
	v_lshlrev_b32_e32 v41, 16, v31
	s_delay_alu instid0(VALU_DEP_2) | instskip(SKIP_2) | instid1(VALU_DEP_4)
	v_dual_fmac_f32 v22, v25, v33 :: v_dual_lshlrev_b32 v35, 16, v34
	v_lshlrev_b32_e32 v39, 16, v29
	v_lshlrev_b32_e32 v36, 16, v26
	v_dual_fmac_f32 v21, v41, v43 :: v_dual_and_b32 v26, 0xffff0000, v26
	v_and_b32_e32 v25, 0xffff0000, v34
	s_delay_alu instid0(VALU_DEP_4) | instskip(NEXT) | instid1(VALU_DEP_4)
	v_fmac_f32_e32 v23, v39, v43
	v_fmac_f32_e32 v22, v36, v35
	v_and_b32_e32 v27, 0xffff0000, v27
	v_lshlrev_b32_e32 v42, 16, v32
	v_and_b32_e32 v32, 0xffff0000, v32
	s_delay_alu instid0(VALU_DEP_4) | instskip(NEXT) | instid1(VALU_DEP_4)
	v_fmac_f32_e32 v22, v26, v25
	v_fmac_f32_e32 v24, v27, v33
	v_and_b32_e32 v29, 0xffff0000, v29
	s_delay_alu instid0(VALU_DEP_1) | instskip(NEXT) | instid1(VALU_DEP_1)
	v_dual_fmac_f32 v23, v29, v33 :: v_dual_lshlrev_b32 v38, 16, v28
	v_fmac_f32_e32 v24, v38, v35
	v_and_b32_e32 v31, 0xffff0000, v31
	s_delay_alu instid0(VALU_DEP_1) | instskip(SKIP_1) | instid1(VALU_DEP_2)
	v_dual_fmac_f32 v21, v31, v33 :: v_dual_and_b32 v28, 0xffff0000, v28
	v_lshlrev_b32_e32 v40, 16, v30
	v_dual_fmac_f32 v24, v28, v25 :: v_dual_fmac_f32 v21, v42, v35
	s_delay_alu instid0(VALU_DEP_2) | instskip(NEXT) | instid1(VALU_DEP_2)
	v_dual_fmac_f32 v23, v40, v35 :: v_dual_and_b32 v30, 0xffff0000, v30
	v_fmac_f32_e32 v21, v32, v25
	s_delay_alu instid0(VALU_DEP_2)
	v_fmac_f32_e32 v23, v30, v25
	s_and_not1_b32 exec_lo, exec_lo, s10
	s_cbranch_execnz .LBB115_19
; %bb.20:
	s_or_b32 exec_lo, exec_lo, s10
.LBB115_21:
	s_delay_alu instid0(SALU_CYCLE_1) | instskip(NEXT) | instid1(SALU_CYCLE_1)
	s_or_b32 exec_lo, exec_lo, s3
	s_mov_b32 s10, exec_lo
	v_cmpx_lt_u64_e32 11, v[15:16]
	s_cbranch_execz .LBB115_25
; %bb.22:
	v_lshlrev_b64 v[15:16], 3, v[11:12]
	s_mov_b32 s11, 0
	s_delay_alu instid0(VALU_DEP_1) | instskip(NEXT) | instid1(VALU_DEP_2)
	v_add_co_u32 v15, vcc_lo, v15, s8
	v_add_co_ci_u32_e32 v16, vcc_lo, s9, v16, vcc_lo
	s_delay_alu instid0(VALU_DEP_2) | instskip(NEXT) | instid1(VALU_DEP_2)
	v_add_co_u32 v15, vcc_lo, v15, 64
	v_add_co_ci_u32_e32 v16, vcc_lo, 0, v16, vcc_lo
.LBB115_23:                             ; =>This Inner Loop Header: Depth=1
	s_clause 0x3
	global_load_b64 v[53:54], v[15:16], off offset:-64
	global_load_b64 v[55:56], v[15:16], off offset:-32
	global_load_b64 v[57:58], v[15:16], off
	global_load_b64 v[59:60], v[15:16], off offset:32
	s_clause 0x7
	global_load_b128 v[17:20], v[13:14], off
	global_load_b128 v[25:28], v[13:14], off offset:16
	global_load_b128 v[29:32], v[13:14], off offset:128
	;; [unrolled: 1-line block ×7, first 2 shown]
	s_waitcnt vmcnt(11)
	v_sub_co_u32 v53, vcc_lo, v53, s20
	v_subrev_co_ci_u32_e32 v54, vcc_lo, s15, v54, vcc_lo
	s_waitcnt vmcnt(10)
	v_sub_co_u32 v55, vcc_lo, v55, s20
	v_subrev_co_ci_u32_e32 v56, vcc_lo, s15, v56, vcc_lo
	s_delay_alu instid0(VALU_DEP_3) | instskip(SKIP_2) | instid1(VALU_DEP_3)
	v_lshlrev_b64 v[53:54], 3, v[53:54]
	s_waitcnt vmcnt(1)
	v_lshlrev_b32_e32 v85, 16, v45
	v_lshlrev_b64 v[55:56], 3, v[55:56]
	v_lshlrev_b32_e32 v77, 16, v37
	v_lshlrev_b32_e32 v69, 16, v29
	s_waitcnt lgkmcnt(0)
	v_add_co_u32 v53, vcc_lo, s4, v53
	v_add_co_ci_u32_e32 v54, vcc_lo, s5, v54, vcc_lo
	v_sub_co_u32 v57, vcc_lo, v57, s20
	v_subrev_co_ci_u32_e32 v58, vcc_lo, s15, v58, vcc_lo
	global_load_b64 v[53:54], v[53:54], off
	v_add_co_u32 v55, vcc_lo, s4, v55
	v_add_co_ci_u32_e32 v56, vcc_lo, s5, v56, vcc_lo
	v_lshlrev_b64 v[57:58], 3, v[57:58]
	v_sub_co_u32 v59, vcc_lo, v59, s20
	global_load_b64 v[55:56], v[55:56], off
	v_subrev_co_ci_u32_e32 v60, vcc_lo, s15, v60, vcc_lo
	v_add_co_u32 v57, s3, s4, v57
	s_delay_alu instid0(VALU_DEP_1) | instskip(NEXT) | instid1(VALU_DEP_3)
	v_add_co_ci_u32_e64 v58, s3, s5, v58, s3
	v_lshlrev_b64 v[59:60], 3, v[59:60]
	v_and_b32_e32 v45, 0xffff0000, v45
	s_waitcnt vmcnt(2)
	v_lshlrev_b32_e32 v89, 16, v49
	global_load_b64 v[57:58], v[57:58], off
	v_lshlrev_b32_e32 v88, 16, v48
	v_and_b32_e32 v49, 0xffff0000, v49
	v_add_co_u32 v59, vcc_lo, s4, v59
	v_add_co_ci_u32_e32 v60, vcc_lo, s5, v60, vcc_lo
	v_lshlrev_b32_e32 v86, 16, v46
	v_lshlrev_b32_e32 v81, 16, v41
	;; [unrolled: 1-line block ×3, first 2 shown]
	global_load_b64 v[59:60], v[59:60], off
	v_and_b32_e32 v41, 0xffff0000, v41
	v_lshlrev_b32_e32 v78, 16, v38
	v_lshlrev_b32_e32 v73, 16, v33
	v_and_b32_e32 v33, 0xffff0000, v33
	v_lshlrev_b32_e32 v72, 16, v32
	v_add_co_u32 v13, vcc_lo, 0x200, v13
	v_add_co_ci_u32_e32 v14, vcc_lo, 0, v14, vcc_lo
	v_add_co_u32 v11, vcc_lo, v11, 16
	v_add_co_ci_u32_e32 v12, vcc_lo, 0, v12, vcc_lo
	;; [unrolled: 2-line block ×3, first 2 shown]
	s_delay_alu instid0(VALU_DEP_3)
	v_cmp_ge_i64_e32 vcc_lo, v[11:12], v[5:6]
	s_or_b32 s11, vcc_lo, s11
	s_waitcnt vmcnt(3)
	v_lshlrev_b32_e32 v93, 16, v53
	v_lshlrev_b32_e32 v63, 16, v19
	v_and_b32_e32 v19, 0xffff0000, v19
	v_and_b32_e32 v53, 0xffff0000, v53
	s_delay_alu instid0(VALU_DEP_3) | instskip(SKIP_1) | instid1(VALU_DEP_1)
	v_dual_fmac_f32 v24, v63, v93 :: v_dual_lshlrev_b32 v71, 16, v31
	s_waitcnt vmcnt(2)
	v_dual_fmac_f32 v24, v19, v53 :: v_dual_lshlrev_b32 v19, 16, v55
	v_lshlrev_b32_e32 v61, 16, v17
	v_and_b32_e32 v17, 0xffff0000, v17
	s_delay_alu instid0(VALU_DEP_2) | instskip(NEXT) | instid1(VALU_DEP_1)
	v_dual_fmac_f32 v22, v61, v93 :: v_dual_lshlrev_b32 v67, 16, v27
	v_dual_fmac_f32 v22, v17, v53 :: v_dual_lshlrev_b32 v61, 16, v54
	v_and_b32_e32 v17, 0xffff0000, v54
	v_lshlrev_b32_e32 v70, 16, v30
	v_lshlrev_b32_e32 v65, 16, v25
	;; [unrolled: 1-line block ×3, first 2 shown]
	v_dual_fmac_f32 v21, v67, v93 :: v_dual_and_b32 v18, 0xffff0000, v18
	s_delay_alu instid0(VALU_DEP_3) | instskip(NEXT) | instid1(VALU_DEP_3)
	v_dual_fmac_f32 v23, v65, v93 :: v_dual_lshlrev_b32 v68, 16, v28
	v_dual_fmac_f32 v22, v62, v61 :: v_dual_and_b32 v27, 0xffff0000, v27
	v_lshlrev_b32_e32 v75, 16, v35
	s_delay_alu instid0(VALU_DEP_2) | instskip(NEXT) | instid1(VALU_DEP_3)
	v_fmac_f32_e32 v21, v27, v53
	v_fmac_f32_e32 v22, v18, v17
	v_lshlrev_b32_e32 v18, 16, v56
	v_and_b32_e32 v25, 0xffff0000, v25
	v_lshlrev_b32_e32 v64, 16, v20
	v_and_b32_e32 v20, 0xffff0000, v20
	v_dual_fmac_f32 v21, v68, v61 :: v_dual_lshlrev_b32 v66, 16, v26
	s_delay_alu instid0(VALU_DEP_4) | instskip(NEXT) | instid1(VALU_DEP_4)
	v_dual_fmac_f32 v23, v25, v53 :: v_dual_and_b32 v26, 0xffff0000, v26
	v_dual_fmac_f32 v24, v64, v61 :: v_dual_and_b32 v31, 0xffff0000, v31
	v_and_b32_e32 v35, 0xffff0000, v35
	s_delay_alu instid0(VALU_DEP_3) | instskip(NEXT) | instid1(VALU_DEP_3)
	v_dual_fmac_f32 v23, v66, v61 :: v_dual_fmac_f32 v22, v69, v19
	v_fmac_f32_e32 v24, v20, v17
	s_delay_alu instid0(VALU_DEP_2) | instskip(NEXT) | instid1(VALU_DEP_2)
	v_dual_fmac_f32 v23, v26, v17 :: v_dual_and_b32 v28, 0xffff0000, v28
	v_fmac_f32_e32 v24, v71, v19
	s_delay_alu instid0(VALU_DEP_2) | instskip(NEXT) | instid1(VALU_DEP_3)
	v_fmac_f32_e32 v23, v73, v19
	v_dual_fmac_f32 v21, v28, v17 :: v_dual_and_b32 v30, 0xffff0000, v30
	v_and_b32_e32 v17, 0xffff0000, v55
	v_lshlrev_b32_e32 v79, 16, v39
	v_and_b32_e32 v29, 0xffff0000, v29
	s_delay_alu instid0(VALU_DEP_4) | instskip(NEXT) | instid1(VALU_DEP_4)
	v_dual_fmac_f32 v21, v75, v19 :: v_dual_and_b32 v32, 0xffff0000, v32
	v_dual_fmac_f32 v24, v31, v17 :: v_dual_and_b32 v39, 0xffff0000, v39
	s_delay_alu instid0(VALU_DEP_3) | instskip(SKIP_1) | instid1(VALU_DEP_4)
	v_fmac_f32_e32 v22, v29, v17
	v_fmac_f32_e32 v23, v33, v17
	;; [unrolled: 1-line block ×3, first 2 shown]
	v_and_b32_e32 v17, 0xffff0000, v56
	v_lshlrev_b32_e32 v74, 16, v34
	v_lshlrev_b32_e32 v76, 16, v36
	v_fmac_f32_e32 v22, v70, v18
	v_dual_fmac_f32 v24, v72, v18 :: v_dual_lshlrev_b32 v83, 16, v43
	s_delay_alu instid0(VALU_DEP_4) | instskip(NEXT) | instid1(VALU_DEP_4)
	v_dual_fmac_f32 v23, v74, v18 :: v_dual_and_b32 v36, 0xffff0000, v36
	v_fmac_f32_e32 v21, v76, v18
	v_and_b32_e32 v34, 0xffff0000, v34
	s_delay_alu instid0(VALU_DEP_4)
	v_dual_fmac_f32 v24, v32, v17 :: v_dual_and_b32 v43, 0xffff0000, v43
	s_waitcnt vmcnt(1)
	v_lshlrev_b32_e32 v18, 16, v57
	v_fmac_f32_e32 v22, v30, v17
	v_fmac_f32_e32 v21, v36, v17
	v_dual_fmac_f32 v23, v34, v17 :: v_dual_and_b32 v40, 0xffff0000, v40
	s_delay_alu instid0(VALU_DEP_3) | instskip(NEXT) | instid1(VALU_DEP_3)
	v_dual_fmac_f32 v22, v77, v18 :: v_dual_and_b32 v17, 0xffff0000, v57
	v_fmac_f32_e32 v21, v83, v18
	v_lshlrev_b32_e32 v87, 16, v47
	v_dual_fmac_f32 v24, v79, v18 :: v_dual_and_b32 v37, 0xffff0000, v37
	v_fmac_f32_e32 v23, v81, v18
	s_delay_alu instid0(VALU_DEP_4) | instskip(NEXT) | instid1(VALU_DEP_3)
	v_dual_fmac_f32 v21, v43, v17 :: v_dual_and_b32 v38, 0xffff0000, v38
	v_dual_fmac_f32 v24, v39, v17 :: v_dual_and_b32 v47, 0xffff0000, v47
	v_lshlrev_b32_e32 v18, 16, v58
	v_fmac_f32_e32 v22, v37, v17
	v_fmac_f32_e32 v23, v41, v17
	v_and_b32_e32 v17, 0xffff0000, v58
	v_lshlrev_b32_e32 v82, 16, v42
	v_lshlrev_b32_e32 v84, 16, v44
	v_fmac_f32_e32 v22, v78, v18
	v_dual_fmac_f32 v24, v80, v18 :: v_dual_lshlrev_b32 v91, 16, v51
	s_delay_alu instid0(VALU_DEP_4) | instskip(NEXT) | instid1(VALU_DEP_4)
	v_dual_fmac_f32 v23, v82, v18 :: v_dual_and_b32 v44, 0xffff0000, v44
	v_fmac_f32_e32 v21, v84, v18
	v_and_b32_e32 v42, 0xffff0000, v42
	s_delay_alu instid0(VALU_DEP_4)
	v_dual_fmac_f32 v24, v40, v17 :: v_dual_and_b32 v51, 0xffff0000, v51
	s_waitcnt vmcnt(0)
	v_lshlrev_b32_e32 v18, 16, v59
	v_fmac_f32_e32 v22, v38, v17
	v_fmac_f32_e32 v21, v44, v17
	v_dual_fmac_f32 v23, v42, v17 :: v_dual_and_b32 v48, 0xffff0000, v48
	s_delay_alu instid0(VALU_DEP_3) | instskip(NEXT) | instid1(VALU_DEP_3)
	v_dual_fmac_f32 v22, v85, v18 :: v_dual_and_b32 v17, 0xffff0000, v59
	v_fmac_f32_e32 v21, v91, v18
	v_fmac_f32_e32 v24, v87, v18
	s_delay_alu instid0(VALU_DEP_4) | instskip(SKIP_1) | instid1(VALU_DEP_4)
	v_fmac_f32_e32 v23, v89, v18
	v_and_b32_e32 v46, 0xffff0000, v46
	v_dual_fmac_f32 v21, v51, v17 :: v_dual_lshlrev_b32 v18, 16, v60
	v_fmac_f32_e32 v22, v45, v17
	v_fmac_f32_e32 v24, v47, v17
	v_fmac_f32_e32 v23, v49, v17
	v_and_b32_e32 v17, 0xffff0000, v60
	v_lshlrev_b32_e32 v90, 16, v50
	v_lshlrev_b32_e32 v92, 16, v52
	v_fmac_f32_e32 v22, v86, v18
	v_fmac_f32_e32 v24, v88, v18
	s_delay_alu instid0(VALU_DEP_4) | instskip(NEXT) | instid1(VALU_DEP_4)
	v_dual_fmac_f32 v23, v90, v18 :: v_dual_and_b32 v52, 0xffff0000, v52
	v_fmac_f32_e32 v21, v92, v18
	v_and_b32_e32 v50, 0xffff0000, v50
	v_fmac_f32_e32 v22, v46, v17
	v_fmac_f32_e32 v24, v48, v17
	s_delay_alu instid0(VALU_DEP_4) | instskip(NEXT) | instid1(VALU_DEP_4)
	v_fmac_f32_e32 v21, v52, v17
	v_fmac_f32_e32 v23, v50, v17
	s_and_not1_b32 exec_lo, exec_lo, s11
	s_cbranch_execnz .LBB115_23
; %bb.24:
	s_or_b32 exec_lo, exec_lo, s11
.LBB115_25:
	s_delay_alu instid0(SALU_CYCLE_1)
	s_or_b32 exec_lo, exec_lo, s10
.LBB115_26:
	s_delay_alu instid0(SALU_CYCLE_1) | instskip(NEXT) | instid1(SALU_CYCLE_1)
	s_or_b32 exec_lo, exec_lo, s7
	s_and_not1_b32 vcc_lo, exec_lo, s6
	s_cbranch_vccz .LBB115_28
	s_branch .LBB115_39
.LBB115_27:
                                        ; implicit-def: $vgpr21
                                        ; implicit-def: $vgpr23
                                        ; implicit-def: $vgpr24
                                        ; implicit-def: $vgpr22
.LBB115_28:
	v_dual_mov_b32 v21, 0 :: v_dual_mov_b32 v24, 0
	v_dual_mov_b32 v23, 0 :: v_dual_mov_b32 v22, 0
	s_delay_alu instid0(VALU_DEP_4)
	s_and_saveexec_b32 s3, s2
	s_cbranch_execz .LBB115_38
; %bb.29:
	v_or_b32_e32 v11, 4, v2
	v_mov_b32_e32 v23, 0
	v_dual_mov_b32 v21, 0 :: v_dual_mov_b32 v22, 0
	v_mov_b32_e32 v24, 0
	s_delay_alu instid0(VALU_DEP_4) | instskip(NEXT) | instid1(VALU_DEP_1)
	v_sub_co_u32 v11, s2, v11, s20
	v_sub_co_ci_u32_e64 v12, null, 0, s15, s2
	v_sub_co_u32 v13, s2, s20, v2
	s_delay_alu instid0(VALU_DEP_3) | instskip(NEXT) | instid1(VALU_DEP_3)
	v_add_co_u32 v11, vcc_lo, v11, v9
	v_add_co_ci_u32_e32 v12, vcc_lo, v12, v10, vcc_lo
	v_not_b32_e32 v9, v9
	v_not_b32_e32 v10, v10
	v_sub_co_ci_u32_e64 v14, null, s15, 0, s2
	s_delay_alu instid0(VALU_DEP_4) | instskip(SKIP_4) | instid1(VALU_DEP_2)
	v_cmp_gt_i64_e32 vcc_lo, v[11:12], v[5:6]
	s_mov_b32 s2, exec_lo
	v_dual_cndmask_b32 v12, v6, v12 :: v_dual_cndmask_b32 v11, v5, v11
	v_add_co_u32 v9, vcc_lo, v13, v9
	v_add_co_ci_u32_e32 v10, vcc_lo, v14, v10, vcc_lo
	v_add_co_u32 v9, vcc_lo, v9, v11
	s_delay_alu instid0(VALU_DEP_2) | instskip(NEXT) | instid1(VALU_DEP_2)
	v_add_co_ci_u32_e32 v10, vcc_lo, v10, v12, vcc_lo
	v_lshrrev_b32_e32 v11, 2, v9
	s_delay_alu instid0(VALU_DEP_1) | instskip(NEXT) | instid1(VALU_DEP_1)
	v_add_nc_u32_e32 v11, 1, v11
	v_and_b32_e32 v11, 3, v11
	s_delay_alu instid0(VALU_DEP_1)
	v_cmpx_ne_u32_e32 0, v11
	s_cbranch_execz .LBB115_33
; %bb.30:
	v_lshlrev_b64 v[13:14], 3, v[0:1]
	v_dual_mov_b32 v12, 0 :: v_dual_lshlrev_b32 v11, 2, v11
	s_mov_b32 s6, 0
	s_delay_alu instid0(VALU_DEP_1) | instskip(NEXT) | instid1(VALU_DEP_3)
	v_mov_b32_e32 v21, v12
	v_add_co_u32 v13, vcc_lo, s8, v13
	s_delay_alu instid0(VALU_DEP_4)
	v_add_co_ci_u32_e32 v14, vcc_lo, s9, v14, vcc_lo
	v_mov_b32_e32 v23, v12
	v_mov_b32_e32 v24, v12
	;; [unrolled: 1-line block ×3, first 2 shown]
.LBB115_31:                             ; =>This Inner Loop Header: Depth=1
	global_load_b64 v[19:20], v[13:14], off
	global_load_b128 v[15:18], v[7:8], off
	s_waitcnt vmcnt(1)
	v_sub_co_u32 v19, vcc_lo, v19, s20
	v_subrev_co_ci_u32_e32 v20, vcc_lo, s15, v20, vcc_lo
	s_delay_alu instid0(VALU_DEP_1) | instskip(SKIP_1) | instid1(VALU_DEP_1)
	v_lshlrev_b64 v[19:20], 3, v[19:20]
	s_waitcnt lgkmcnt(0)
	v_add_co_u32 v19, vcc_lo, s4, v19
	s_delay_alu instid0(VALU_DEP_2)
	v_add_co_ci_u32_e32 v20, vcc_lo, s5, v20, vcc_lo
	global_load_b64 v[19:20], v[19:20], off
	global_load_b128 v[25:28], v[7:8], off offset:16
	v_add_co_u32 v7, vcc_lo, 0x80, v7
	v_add_co_ci_u32_e32 v8, vcc_lo, 0, v8, vcc_lo
	v_add_co_u32 v0, vcc_lo, v0, 4
	v_add_co_ci_u32_e32 v1, vcc_lo, 0, v1, vcc_lo
	;; [unrolled: 2-line block ×3, first 2 shown]
	v_add_co_u32 v11, vcc_lo, v11, -4
	v_add_co_ci_u32_e32 v12, vcc_lo, -1, v12, vcc_lo
	s_delay_alu instid0(VALU_DEP_1)
	v_cmp_eq_u64_e32 vcc_lo, 0, v[11:12]
	s_or_b32 s6, vcc_lo, s6
	s_waitcnt vmcnt(1)
	v_lshlrev_b32_e32 v37, 16, v19
	v_lshlrev_b32_e32 v29, 16, v15
	v_and_b32_e32 v15, 0xffff0000, v15
	v_lshlrev_b32_e32 v30, 16, v16
	v_and_b32_e32 v16, 0xffff0000, v16
	v_and_b32_e32 v19, 0xffff0000, v19
	s_waitcnt vmcnt(0)
	v_lshlrev_b32_e32 v36, 16, v28
	v_fmac_f32_e32 v24, v15, v37
	v_lshlrev_b32_e32 v31, 16, v17
	v_fmac_f32_e32 v22, v29, v37
	v_and_b32_e32 v17, 0xffff0000, v17
	v_dual_fmac_f32 v21, v16, v37 :: v_dual_lshlrev_b32 v32, 16, v18
	v_dual_fmac_f32 v23, v30, v37 :: v_dual_and_b32 v18, 0xffff0000, v18
	s_delay_alu instid0(VALU_DEP_3) | instskip(SKIP_2) | instid1(VALU_DEP_4)
	v_dual_fmac_f32 v24, v17, v19 :: v_dual_lshlrev_b32 v15, 16, v20
	v_dual_fmac_f32 v22, v31, v19 :: v_dual_lshlrev_b32 v33, 16, v25
	v_and_b32_e32 v25, 0xffff0000, v25
	v_dual_fmac_f32 v21, v18, v19 :: v_dual_lshlrev_b32 v34, 16, v26
	v_dual_fmac_f32 v23, v32, v19 :: v_dual_and_b32 v26, 0xffff0000, v26
	v_and_b32_e32 v28, 0xffff0000, v28
	v_and_b32_e32 v16, 0xffff0000, v20
	v_fmac_f32_e32 v24, v25, v15
	v_lshlrev_b32_e32 v35, 16, v27
	v_fmac_f32_e32 v22, v33, v15
	v_and_b32_e32 v27, 0xffff0000, v27
	v_fmac_f32_e32 v21, v26, v15
	s_delay_alu instid0(VALU_DEP_2) | instskip(NEXT) | instid1(VALU_DEP_4)
	v_dual_fmac_f32 v23, v34, v15 :: v_dual_fmac_f32 v24, v27, v16
	v_fmac_f32_e32 v22, v35, v16
	s_delay_alu instid0(VALU_DEP_2) | instskip(NEXT) | instid1(VALU_DEP_4)
	v_fmac_f32_e32 v23, v36, v16
	v_fmac_f32_e32 v21, v28, v16
	s_and_not1_b32 exec_lo, exec_lo, s6
	s_cbranch_execnz .LBB115_31
; %bb.32:
	s_or_b32 exec_lo, exec_lo, s6
.LBB115_33:
	s_delay_alu instid0(SALU_CYCLE_1) | instskip(NEXT) | instid1(SALU_CYCLE_1)
	s_or_b32 exec_lo, exec_lo, s2
	s_mov_b32 s2, exec_lo
	v_cmpx_lt_u64_e32 11, v[9:10]
	s_cbranch_execz .LBB115_37
; %bb.34:
	v_lshlrev_b64 v[9:10], 3, v[0:1]
	s_mov_b32 s6, 0
	s_delay_alu instid0(VALU_DEP_1) | instskip(NEXT) | instid1(VALU_DEP_2)
	v_add_co_u32 v9, vcc_lo, v9, s8
	v_add_co_ci_u32_e32 v10, vcc_lo, s9, v10, vcc_lo
	s_delay_alu instid0(VALU_DEP_2) | instskip(NEXT) | instid1(VALU_DEP_2)
	v_add_co_u32 v9, vcc_lo, v9, 64
	v_add_co_ci_u32_e32 v10, vcc_lo, 0, v10, vcc_lo
.LBB115_35:                             ; =>This Inner Loop Header: Depth=1
	s_clause 0x3
	global_load_b64 v[19:20], v[9:10], off offset:-64
	global_load_b64 v[45:46], v[9:10], off offset:-32
	global_load_b64 v[47:48], v[9:10], off
	global_load_b64 v[49:50], v[9:10], off offset:32
	s_clause 0x6
	global_load_b128 v[11:14], v[7:8], off
	global_load_b128 v[15:18], v[7:8], off offset:16
	global_load_b128 v[25:28], v[7:8], off offset:128
	;; [unrolled: 1-line block ×6, first 2 shown]
	s_waitcnt vmcnt(10)
	v_sub_co_u32 v19, vcc_lo, v19, s20
	v_subrev_co_ci_u32_e32 v20, vcc_lo, s15, v20, vcc_lo
	s_waitcnt vmcnt(9)
	v_sub_co_u32 v45, vcc_lo, v45, s20
	v_subrev_co_ci_u32_e32 v46, vcc_lo, s15, v46, vcc_lo
	s_waitcnt vmcnt(8)
	v_sub_co_u32 v47, vcc_lo, v47, s20
	v_lshlrev_b64 v[19:20], 3, v[19:20]
	v_subrev_co_ci_u32_e32 v48, vcc_lo, s15, v48, vcc_lo
	s_waitcnt vmcnt(7)
	v_sub_co_u32 v49, vcc_lo, v49, s20
	v_lshlrev_b64 v[45:46], 3, v[45:46]
	v_subrev_co_ci_u32_e32 v50, vcc_lo, s15, v50, vcc_lo
	v_lshlrev_b64 v[47:48], 3, v[47:48]
	s_waitcnt lgkmcnt(0)
	v_add_co_u32 v19, vcc_lo, s4, v19
	v_add_co_ci_u32_e32 v20, vcc_lo, s5, v20, vcc_lo
	v_lshlrev_b64 v[49:50], 3, v[49:50]
	v_add_co_u32 v45, vcc_lo, s4, v45
	v_add_co_ci_u32_e32 v46, vcc_lo, s5, v46, vcc_lo
	v_add_co_u32 v47, vcc_lo, s4, v47
	v_add_co_ci_u32_e32 v48, vcc_lo, s5, v48, vcc_lo
	;; [unrolled: 2-line block ×3, first 2 shown]
	s_clause 0x3
	global_load_b64 v[19:20], v[19:20], off
	global_load_b64 v[51:52], v[45:46], off
	;; [unrolled: 1-line block ×4, first 2 shown]
	global_load_b128 v[45:48], v[7:8], off offset:400
	v_add_co_u32 v7, vcc_lo, 0x200, v7
	v_add_co_ci_u32_e32 v8, vcc_lo, 0, v8, vcc_lo
	v_add_co_u32 v0, vcc_lo, v0, 16
	v_add_co_ci_u32_e32 v1, vcc_lo, 0, v1, vcc_lo
	;; [unrolled: 2-line block ×3, first 2 shown]
	s_delay_alu instid0(VALU_DEP_3)
	v_cmp_ge_i64_e32 vcc_lo, v[0:1], v[5:6]
	s_or_b32 s6, vcc_lo, s6
	s_waitcnt vmcnt(4)
	v_lshlrev_b32_e32 v87, 16, v19
	v_lshlrev_b32_e32 v56, 16, v12
	v_and_b32_e32 v12, 0xffff0000, v12
	v_and_b32_e32 v19, 0xffff0000, v19
	v_lshlrev_b32_e32 v61, 16, v17
	v_and_b32_e32 v17, 0xffff0000, v17
	s_waitcnt vmcnt(0)
	v_lshlrev_b32_e32 v85, 16, v47
	v_dual_fmac_f32 v21, v12, v87 :: v_dual_and_b32 v12, 0xffff0000, v20
	v_lshlrev_b32_e32 v55, 16, v11
	v_and_b32_e32 v11, 0xffff0000, v11
	v_lshlrev_b32_e32 v57, 16, v13
	v_and_b32_e32 v13, 0xffff0000, v13
	v_lshlrev_b32_e32 v58, 16, v14
	v_fmac_f32_e32 v22, v55, v87
	v_fmac_f32_e32 v24, v11, v87
	v_dual_fmac_f32 v23, v56, v87 :: v_dual_and_b32 v14, 0xffff0000, v14
	v_lshlrev_b32_e32 v81, 16, v43
	v_lshlrev_b32_e32 v77, 16, v39
	;; [unrolled: 1-line block ×6, first 2 shown]
	v_and_b32_e32 v47, 0xffff0000, v47
	v_and_b32_e32 v43, 0xffff0000, v43
	;; [unrolled: 1-line block ×7, first 2 shown]
	v_dual_fmac_f32 v22, v57, v19 :: v_dual_lshlrev_b32 v11, 16, v20
	v_fmac_f32_e32 v24, v13, v19
	v_dual_fmac_f32 v21, v14, v19 :: v_dual_lshlrev_b32 v60, 16, v16
	v_dual_fmac_f32 v23, v58, v19 :: v_dual_and_b32 v16, 0xffff0000, v16
	s_delay_alu instid0(VALU_DEP_4) | instskip(NEXT) | instid1(VALU_DEP_4)
	v_dual_fmac_f32 v22, v59, v11 :: v_dual_lshlrev_b32 v63, 16, v25
	v_dual_fmac_f32 v24, v15, v11 :: v_dual_and_b32 v25, 0xffff0000, v25
	s_delay_alu instid0(VALU_DEP_3) | instskip(NEXT) | instid1(VALU_DEP_4)
	v_dual_fmac_f32 v21, v16, v11 :: v_dual_lshlrev_b32 v62, 16, v18
	v_dual_fmac_f32 v23, v60, v11 :: v_dual_and_b32 v18, 0xffff0000, v18
	s_delay_alu instid0(VALU_DEP_4) | instskip(NEXT) | instid1(VALU_DEP_4)
	v_dual_fmac_f32 v22, v61, v12 :: v_dual_lshlrev_b32 v11, 16, v51
	v_dual_fmac_f32 v24, v17, v12 :: v_dual_lshlrev_b32 v67, 16, v29
	s_delay_alu instid0(VALU_DEP_3) | instskip(NEXT) | instid1(VALU_DEP_4)
	v_dual_fmac_f32 v21, v18, v12 :: v_dual_lshlrev_b32 v64, 16, v26
	v_dual_fmac_f32 v23, v62, v12 :: v_dual_and_b32 v26, 0xffff0000, v26
	s_delay_alu instid0(VALU_DEP_3) | instskip(SKIP_2) | instid1(VALU_DEP_4)
	v_dual_fmac_f32 v24, v25, v11 :: v_dual_and_b32 v29, 0xffff0000, v29
	v_and_b32_e32 v12, 0xffff0000, v51
	v_fmac_f32_e32 v22, v63, v11
	v_fmac_f32_e32 v21, v26, v11
	v_dual_fmac_f32 v23, v64, v11 :: v_dual_lshlrev_b32 v68, 16, v30
	v_and_b32_e32 v30, 0xffff0000, v30
	v_lshlrev_b32_e32 v11, 16, v52
	v_lshlrev_b32_e32 v66, 16, v28
	v_and_b32_e32 v28, 0xffff0000, v28
	v_fmac_f32_e32 v22, v65, v12
	v_dual_fmac_f32 v24, v27, v12 :: v_dual_lshlrev_b32 v71, 16, v33
	s_delay_alu instid0(VALU_DEP_4) | instskip(NEXT) | instid1(VALU_DEP_3)
	v_fmac_f32_e32 v23, v66, v12
	v_dual_fmac_f32 v21, v28, v12 :: v_dual_fmac_f32 v22, v67, v11
	s_delay_alu instid0(VALU_DEP_3) | instskip(NEXT) | instid1(VALU_DEP_3)
	v_dual_fmac_f32 v24, v29, v11 :: v_dual_and_b32 v33, 0xffff0000, v33
	v_dual_fmac_f32 v23, v68, v11 :: v_dual_and_b32 v12, 0xffff0000, v52
	s_delay_alu instid0(VALU_DEP_3)
	v_dual_fmac_f32 v21, v30, v11 :: v_dual_lshlrev_b32 v72, 16, v34
	v_and_b32_e32 v34, 0xffff0000, v34
	v_lshlrev_b32_e32 v11, 16, v53
	v_lshlrev_b32_e32 v70, 16, v32
	v_and_b32_e32 v32, 0xffff0000, v32
	v_fmac_f32_e32 v22, v69, v12
	v_dual_fmac_f32 v24, v31, v12 :: v_dual_lshlrev_b32 v75, 16, v37
	s_delay_alu instid0(VALU_DEP_4) | instskip(NEXT) | instid1(VALU_DEP_3)
	v_fmac_f32_e32 v23, v70, v12
	v_dual_fmac_f32 v21, v32, v12 :: v_dual_fmac_f32 v22, v71, v11
	s_delay_alu instid0(VALU_DEP_3) | instskip(NEXT) | instid1(VALU_DEP_3)
	v_dual_fmac_f32 v24, v33, v11 :: v_dual_and_b32 v37, 0xffff0000, v37
	v_dual_fmac_f32 v23, v72, v11 :: v_dual_and_b32 v12, 0xffff0000, v53
	s_delay_alu instid0(VALU_DEP_3)
	;; [unrolled: 14-line block ×4, first 2 shown]
	v_dual_fmac_f32 v21, v42, v11 :: v_dual_lshlrev_b32 v84, 16, v46
	v_and_b32_e32 v46, 0xffff0000, v46
	v_lshlrev_b32_e32 v11, 16, v50
	v_lshlrev_b32_e32 v82, 16, v44
	v_and_b32_e32 v44, 0xffff0000, v44
	v_fmac_f32_e32 v22, v81, v12
	v_fmac_f32_e32 v24, v43, v12
	v_lshlrev_b32_e32 v86, 16, v48
	v_fmac_f32_e32 v23, v82, v12
	v_fmac_f32_e32 v21, v44, v12
	v_and_b32_e32 v48, 0xffff0000, v48
	s_delay_alu instid0(VALU_DEP_3) | instskip(NEXT) | instid1(VALU_DEP_3)
	v_dual_fmac_f32 v23, v84, v11 :: v_dual_and_b32 v12, 0xffff0000, v50
	v_fmac_f32_e32 v21, v46, v11
	v_fmac_f32_e32 v22, v83, v11
	s_delay_alu instid0(VALU_DEP_3) | instskip(NEXT) | instid1(VALU_DEP_3)
	v_dual_fmac_f32 v24, v45, v11 :: v_dual_fmac_f32 v23, v86, v12
	v_fmac_f32_e32 v21, v48, v12
	s_delay_alu instid0(VALU_DEP_3) | instskip(NEXT) | instid1(VALU_DEP_3)
	v_fmac_f32_e32 v22, v85, v12
	v_fmac_f32_e32 v24, v47, v12
	s_and_not1_b32 exec_lo, exec_lo, s6
	s_cbranch_execnz .LBB115_35
; %bb.36:
	s_or_b32 exec_lo, exec_lo, s6
.LBB115_37:
	s_delay_alu instid0(SALU_CYCLE_1)
	s_or_b32 exec_lo, exec_lo, s2
.LBB115_38:
	s_delay_alu instid0(SALU_CYCLE_1)
	s_or_b32 exec_lo, exec_lo, s3
.LBB115_39:
	v_mbcnt_lo_u32_b32 v0, -1, 0
	s_mov_b32 s2, -1
	s_delay_alu instid0(VALU_DEP_1) | instskip(NEXT) | instid1(VALU_DEP_1)
	v_xor_b32_e32 v1, 2, v0
	v_cmp_gt_i32_e32 vcc_lo, 32, v1
	v_cndmask_b32_e32 v1, v0, v1, vcc_lo
	s_delay_alu instid0(VALU_DEP_1)
	v_lshlrev_b32_e32 v1, 2, v1
	ds_bpermute_b32 v5, v1, v22
	ds_bpermute_b32 v6, v1, v24
	;; [unrolled: 1-line block ×4, first 2 shown]
	v_xor_b32_e32 v1, 1, v0
	s_delay_alu instid0(VALU_DEP_1) | instskip(SKIP_2) | instid1(VALU_DEP_2)
	v_cmp_gt_i32_e32 vcc_lo, 32, v1
	v_cndmask_b32_e32 v0, v0, v1, vcc_lo
	v_cmp_eq_u32_e32 vcc_lo, 3, v2
	v_lshlrev_b32_e32 v10, 2, v0
	s_waitcnt lgkmcnt(0)
	v_dual_add_f32 v0, v22, v5 :: v_dual_add_f32 v1, v24, v6
	v_dual_add_f32 v5, v23, v7 :: v_dual_add_f32 v6, v21, v8
	ds_bpermute_b32 v7, v10, v0
	ds_bpermute_b32 v8, v10, v1
	;; [unrolled: 1-line block ×4, first 2 shown]
	s_and_b32 exec_lo, exec_lo, vcc_lo
	s_cbranch_execz .LBB115_10
; %bb.40:
	s_load_b64 s[0:1], s[0:1], 0x58
	s_waitcnt lgkmcnt(0)
	v_dual_add_f32 v0, v0, v7 :: v_dual_add_f32 v1, v1, v8
	v_add_f32_e32 v6, v6, v10
	v_cmp_eq_f32_e64 s3, s12, 0
	s_delay_alu instid0(VALU_DEP_3) | instskip(SKIP_4) | instid1(VALU_DEP_3)
	v_dual_mul_f32 v0, s16, v0 :: v_dual_mul_f32 v1, s16, v1
	v_add_f32_e32 v2, v5, v9
	v_lshlrev_b64 v[4:5], 4, v[3:4]
	v_mul_f32_e32 v3, s16, v6
	s_and_b32 vcc_lo, exec_lo, s3
	v_mul_f32_e32 v2, s16, v2
	s_cbranch_vccz .LBB115_42
; %bb.41:
	s_delay_alu instid0(VALU_DEP_3)
	v_add_co_u32 v6, vcc_lo, s0, v4
	v_add_co_ci_u32_e32 v7, vcc_lo, s1, v5, vcc_lo
	s_mov_b32 s2, 0
	global_store_b128 v[6:7], v[0:3], off
.LBB115_42:
	s_and_not1_b32 vcc_lo, exec_lo, s2
	s_cbranch_vccnz .LBB115_10
; %bb.43:
	v_add_co_u32 v8, vcc_lo, s0, v4
	v_add_co_ci_u32_e32 v9, vcc_lo, s1, v5, vcc_lo
	global_load_b128 v[4:7], v[8:9], off
	s_waitcnt vmcnt(0)
	v_dual_fmac_f32 v0, s12, v4 :: v_dual_fmac_f32 v1, s12, v5
	v_dual_fmac_f32 v2, s12, v6 :: v_dual_fmac_f32 v3, s12, v7
	global_store_b128 v[8:9], v[0:3], off
	s_nop 0
	s_sendmsg sendmsg(MSG_DEALLOC_VGPRS)
	s_endpgm
	.section	.rodata,"a",@progbits
	.p2align	6, 0x0
	.amdhsa_kernel _ZN9rocsparseL18bsrxmvn_4x4_kernelILj128ELj4Efll18rocsparse_bfloat16S1_fEEvT3_20rocsparse_direction_NS_24const_host_device_scalarIT1_EES2_PKS2_PKT2_SB_S8_PKT4_PKT5_S6_PT6_21rocsparse_index_base_b
		.amdhsa_group_segment_fixed_size 0
		.amdhsa_private_segment_fixed_size 0
		.amdhsa_kernarg_size 104
		.amdhsa_user_sgpr_count 15
		.amdhsa_user_sgpr_dispatch_ptr 0
		.amdhsa_user_sgpr_queue_ptr 0
		.amdhsa_user_sgpr_kernarg_segment_ptr 1
		.amdhsa_user_sgpr_dispatch_id 0
		.amdhsa_user_sgpr_private_segment_size 0
		.amdhsa_wavefront_size32 1
		.amdhsa_uses_dynamic_stack 0
		.amdhsa_enable_private_segment 0
		.amdhsa_system_sgpr_workgroup_id_x 1
		.amdhsa_system_sgpr_workgroup_id_y 0
		.amdhsa_system_sgpr_workgroup_id_z 0
		.amdhsa_system_sgpr_workgroup_info 0
		.amdhsa_system_vgpr_workitem_id 0
		.amdhsa_next_free_vgpr 94
		.amdhsa_next_free_sgpr 22
		.amdhsa_reserve_vcc 1
		.amdhsa_float_round_mode_32 0
		.amdhsa_float_round_mode_16_64 0
		.amdhsa_float_denorm_mode_32 3
		.amdhsa_float_denorm_mode_16_64 3
		.amdhsa_dx10_clamp 1
		.amdhsa_ieee_mode 1
		.amdhsa_fp16_overflow 0
		.amdhsa_workgroup_processor_mode 1
		.amdhsa_memory_ordered 1
		.amdhsa_forward_progress 0
		.amdhsa_shared_vgpr_count 0
		.amdhsa_exception_fp_ieee_invalid_op 0
		.amdhsa_exception_fp_denorm_src 0
		.amdhsa_exception_fp_ieee_div_zero 0
		.amdhsa_exception_fp_ieee_overflow 0
		.amdhsa_exception_fp_ieee_underflow 0
		.amdhsa_exception_fp_ieee_inexact 0
		.amdhsa_exception_int_div_zero 0
	.end_amdhsa_kernel
	.section	.text._ZN9rocsparseL18bsrxmvn_4x4_kernelILj128ELj4Efll18rocsparse_bfloat16S1_fEEvT3_20rocsparse_direction_NS_24const_host_device_scalarIT1_EES2_PKS2_PKT2_SB_S8_PKT4_PKT5_S6_PT6_21rocsparse_index_base_b,"axG",@progbits,_ZN9rocsparseL18bsrxmvn_4x4_kernelILj128ELj4Efll18rocsparse_bfloat16S1_fEEvT3_20rocsparse_direction_NS_24const_host_device_scalarIT1_EES2_PKS2_PKT2_SB_S8_PKT4_PKT5_S6_PT6_21rocsparse_index_base_b,comdat
.Lfunc_end115:
	.size	_ZN9rocsparseL18bsrxmvn_4x4_kernelILj128ELj4Efll18rocsparse_bfloat16S1_fEEvT3_20rocsparse_direction_NS_24const_host_device_scalarIT1_EES2_PKS2_PKT2_SB_S8_PKT4_PKT5_S6_PT6_21rocsparse_index_base_b, .Lfunc_end115-_ZN9rocsparseL18bsrxmvn_4x4_kernelILj128ELj4Efll18rocsparse_bfloat16S1_fEEvT3_20rocsparse_direction_NS_24const_host_device_scalarIT1_EES2_PKS2_PKT2_SB_S8_PKT4_PKT5_S6_PT6_21rocsparse_index_base_b
                                        ; -- End function
	.section	.AMDGPU.csdata,"",@progbits
; Kernel info:
; codeLenInByte = 4644
; NumSgprs: 24
; NumVgprs: 94
; ScratchSize: 0
; MemoryBound: 0
; FloatMode: 240
; IeeeMode: 1
; LDSByteSize: 0 bytes/workgroup (compile time only)
; SGPRBlocks: 2
; VGPRBlocks: 11
; NumSGPRsForWavesPerEU: 24
; NumVGPRsForWavesPerEU: 94
; Occupancy: 16
; WaveLimiterHint : 1
; COMPUTE_PGM_RSRC2:SCRATCH_EN: 0
; COMPUTE_PGM_RSRC2:USER_SGPR: 15
; COMPUTE_PGM_RSRC2:TRAP_HANDLER: 0
; COMPUTE_PGM_RSRC2:TGID_X_EN: 1
; COMPUTE_PGM_RSRC2:TGID_Y_EN: 0
; COMPUTE_PGM_RSRC2:TGID_Z_EN: 0
; COMPUTE_PGM_RSRC2:TIDIG_COMP_CNT: 0
	.section	.text._ZN9rocsparseL18bsrxmvn_4x4_kernelILj128ELj8Efll18rocsparse_bfloat16S1_fEEvT3_20rocsparse_direction_NS_24const_host_device_scalarIT1_EES2_PKS2_PKT2_SB_S8_PKT4_PKT5_S6_PT6_21rocsparse_index_base_b,"axG",@progbits,_ZN9rocsparseL18bsrxmvn_4x4_kernelILj128ELj8Efll18rocsparse_bfloat16S1_fEEvT3_20rocsparse_direction_NS_24const_host_device_scalarIT1_EES2_PKS2_PKT2_SB_S8_PKT4_PKT5_S6_PT6_21rocsparse_index_base_b,comdat
	.globl	_ZN9rocsparseL18bsrxmvn_4x4_kernelILj128ELj8Efll18rocsparse_bfloat16S1_fEEvT3_20rocsparse_direction_NS_24const_host_device_scalarIT1_EES2_PKS2_PKT2_SB_S8_PKT4_PKT5_S6_PT6_21rocsparse_index_base_b ; -- Begin function _ZN9rocsparseL18bsrxmvn_4x4_kernelILj128ELj8Efll18rocsparse_bfloat16S1_fEEvT3_20rocsparse_direction_NS_24const_host_device_scalarIT1_EES2_PKS2_PKT2_SB_S8_PKT4_PKT5_S6_PT6_21rocsparse_index_base_b
	.p2align	8
	.type	_ZN9rocsparseL18bsrxmvn_4x4_kernelILj128ELj8Efll18rocsparse_bfloat16S1_fEEvT3_20rocsparse_direction_NS_24const_host_device_scalarIT1_EES2_PKS2_PKT2_SB_S8_PKT4_PKT5_S6_PT6_21rocsparse_index_base_b,@function
_ZN9rocsparseL18bsrxmvn_4x4_kernelILj128ELj8Efll18rocsparse_bfloat16S1_fEEvT3_20rocsparse_direction_NS_24const_host_device_scalarIT1_EES2_PKS2_PKT2_SB_S8_PKT4_PKT5_S6_PT6_21rocsparse_index_base_b: ; @_ZN9rocsparseL18bsrxmvn_4x4_kernelILj128ELj8Efll18rocsparse_bfloat16S1_fEEvT3_20rocsparse_direction_NS_24const_host_device_scalarIT1_EES2_PKS2_PKT2_SB_S8_PKT4_PKT5_S6_PT6_21rocsparse_index_base_b
; %bb.0:
	s_clause 0x2
	s_load_b64 s[20:21], s[0:1], 0x60
	s_load_b128 s[16:19], s[0:1], 0x10
	s_load_b64 s[12:13], s[0:1], 0x50
	s_waitcnt lgkmcnt(0)
	s_bitcmp1_b32 s21, 0
	s_cselect_b32 s2, -1, 0
	s_delay_alu instid0(SALU_CYCLE_1)
	s_and_b32 vcc_lo, exec_lo, s2
	s_xor_b32 s2, s2, -1
	s_cbranch_vccnz .LBB116_2
; %bb.1:
	s_load_b32 s16, s[16:17], 0x0
.LBB116_2:
	s_and_not1_b32 vcc_lo, exec_lo, s2
	s_cbranch_vccnz .LBB116_4
; %bb.3:
	s_load_b32 s12, s[12:13], 0x0
.LBB116_4:
	s_waitcnt lgkmcnt(0)
	v_cmp_neq_f32_e64 s2, s16, 0
	v_cmp_neq_f32_e64 s3, s12, 1.0
	s_mov_b32 s4, 0
	s_delay_alu instid0(VALU_DEP_1) | instskip(NEXT) | instid1(SALU_CYCLE_1)
	s_or_b32 s2, s2, s3
	s_and_not1_b32 vcc_lo, exec_lo, s2
	s_cbranch_vccnz .LBB116_10
; %bb.5:
	s_load_b64 s[2:3], s[0:1], 0x20
	v_lshrrev_b32_e32 v1, 3, v0
	v_mov_b32_e32 v2, 0
	s_delay_alu instid0(VALU_DEP_2)
	v_lshl_or_b32 v1, s15, 4, v1
	s_waitcnt lgkmcnt(0)
	s_cmp_lg_u64 s[2:3], 0
	s_cbranch_scc0 .LBB116_11
; %bb.6:
	s_mov_b32 s5, 0
	s_mov_b32 s6, exec_lo
                                        ; implicit-def: $vgpr3_vgpr4
	v_cmpx_gt_i64_e64 s[18:19], v[1:2]
	s_xor_b32 s6, exec_lo, s6
                                        ; implicit-def: $sgpr14_sgpr15
	s_cbranch_execz .LBB116_8
; %bb.7:
	v_lshlrev_b64 v[3:4], 3, v[1:2]
	s_mov_b32 s4, exec_lo
	s_mov_b32 s15, 0
	s_delay_alu instid0(VALU_DEP_1) | instskip(NEXT) | instid1(VALU_DEP_2)
	v_add_co_u32 v3, vcc_lo, s2, v3
	v_add_co_ci_u32_e32 v4, vcc_lo, s3, v4, vcc_lo
	global_load_b64 v[3:4], v[3:4], off
	s_waitcnt vmcnt(0)
	v_sub_co_u32 v3, vcc_lo, v3, s20
	v_subrev_co_ci_u32_e32 v4, vcc_lo, 0, v4, vcc_lo
.LBB116_8:
	s_or_b32 exec_lo, exec_lo, s6
	s_delay_alu instid0(SALU_CYCLE_1)
	s_and_b32 vcc_lo, exec_lo, s5
	s_cbranch_vccnz .LBB116_12
.LBB116_9:
	s_and_saveexec_b32 s2, s4
	s_cbranch_execnz .LBB116_15
.LBB116_10:
	s_nop 0
	s_sendmsg sendmsg(MSG_DEALLOC_VGPRS)
	s_endpgm
.LBB116_11:
                                        ; implicit-def: $vgpr3_vgpr4
                                        ; implicit-def: $sgpr14_sgpr15
	s_cbranch_execz .LBB116_9
.LBB116_12:
	s_load_b64 s[2:3], s[0:1], 0x0
                                        ; implicit-def: $vgpr3_vgpr4
	s_waitcnt lgkmcnt(0)
	v_cmp_gt_i64_e32 vcc_lo, s[2:3], v[1:2]
	s_and_saveexec_b32 s2, vcc_lo
                                        ; implicit-def: $sgpr14_sgpr15
; %bb.13:
	v_dual_mov_b32 v4, v2 :: v_dual_mov_b32 v3, v1
	s_mov_b32 s15, 0
	s_or_b32 s4, s4, exec_lo
; %bb.14:
	s_or_b32 exec_lo, exec_lo, s2
	s_and_saveexec_b32 s2, s4
	s_cbranch_execz .LBB116_10
.LBB116_15:
	s_load_b256 s[4:11], s[0:1], 0x28
	v_lshlrev_b64 v[1:2], 3, v[3:4]
	s_load_b32 s3, s[0:1], 0x8
	v_mov_b32_e32 v21, 0
	s_waitcnt lgkmcnt(0)
	s_delay_alu instid0(VALU_DEP_2) | instskip(NEXT) | instid1(VALU_DEP_3)
	v_add_co_u32 v5, vcc_lo, s4, v1
	v_add_co_ci_u32_e32 v6, vcc_lo, s5, v2, vcc_lo
	v_add_co_u32 v1, vcc_lo, s6, v1
	v_add_co_ci_u32_e32 v2, vcc_lo, s7, v2, vcc_lo
	s_delay_alu instid0(VALU_DEP_4)
	v_add_co_u32 v7, vcc_lo, v5, 8
	global_load_b64 v[9:10], v[5:6], off
	v_add_co_ci_u32_e32 v8, vcc_lo, 0, v6, vcc_lo
	s_cmp_eq_u64 s[6:7], 0
	s_load_b64 s[4:5], s[0:1], 0x48
	s_cselect_b32 vcc_lo, -1, 0
	s_cmp_eq_u32 s3, 1
	v_dual_cndmask_b32 v2, v2, v8 :: v_dual_cndmask_b32 v1, v1, v7
	global_load_b64 v[5:6], v[1:2], off
	v_and_b32_e32 v2, 7, v0
	s_waitcnt vmcnt(1)
	v_sub_co_u32 v0, vcc_lo, v9, s20
	v_subrev_co_ci_u32_e32 v1, vcc_lo, s15, v10, vcc_lo
	s_delay_alu instid0(VALU_DEP_2) | instskip(NEXT) | instid1(VALU_DEP_2)
	v_add_co_u32 v0, vcc_lo, v0, v2
	v_add_co_ci_u32_e32 v1, vcc_lo, 0, v1, vcc_lo
	s_delay_alu instid0(VALU_DEP_1) | instskip(SKIP_3) | instid1(VALU_DEP_3)
	v_lshlrev_b64 v[7:8], 5, v[0:1]
	s_waitcnt vmcnt(0)
	v_sub_co_u32 v5, vcc_lo, v5, s20
	v_subrev_co_ci_u32_e32 v6, vcc_lo, s15, v6, vcc_lo
	v_add_co_u32 v7, vcc_lo, s10, v7
	s_delay_alu instid0(VALU_DEP_2)
	v_cmp_lt_i64_e64 s2, v[0:1], v[5:6]
	v_add_co_ci_u32_e32 v8, vcc_lo, s11, v8, vcc_lo
	s_cbranch_scc1 .LBB116_27
; %bb.16:
	v_dual_mov_b32 v23, 0 :: v_dual_mov_b32 v24, 0
	v_mov_b32_e32 v22, 0
	s_mov_b32 s6, 0
	s_and_saveexec_b32 s7, s2
	s_cbranch_execz .LBB116_26
; %bb.17:
	v_or_b32_e32 v11, 8, v2
	v_not_b32_e32 v14, v9
	v_not_b32_e32 v13, v10
	v_mov_b32_e32 v23, 0
	v_mov_b32_e32 v21, 0
	v_sub_co_u32 v11, s3, v11, s20
	s_delay_alu instid0(VALU_DEP_1) | instskip(SKIP_1) | instid1(VALU_DEP_3)
	v_sub_co_ci_u32_e64 v12, null, 0, s15, s3
	v_sub_co_u32 v15, s3, s20, v2
	v_add_co_u32 v11, vcc_lo, v11, v9
	s_delay_alu instid0(VALU_DEP_3) | instskip(SKIP_2) | instid1(VALU_DEP_2)
	v_add_co_ci_u32_e32 v12, vcc_lo, v12, v10, vcc_lo
	v_sub_co_ci_u32_e64 v16, null, s15, 0, s3
	s_mov_b32 s3, exec_lo
	v_cmp_gt_i64_e32 vcc_lo, v[11:12], v[5:6]
	v_mov_b32_e32 v22, 0
	v_mov_b32_e32 v24, 0
	v_dual_cndmask_b32 v12, v6, v12 :: v_dual_cndmask_b32 v11, v5, v11
	v_add_co_u32 v14, vcc_lo, v15, v14
	v_add_co_ci_u32_e32 v13, vcc_lo, v16, v13, vcc_lo
	s_delay_alu instid0(VALU_DEP_2) | instskip(NEXT) | instid1(VALU_DEP_2)
	v_add_co_u32 v15, vcc_lo, v14, v11
	v_add_co_ci_u32_e32 v16, vcc_lo, v13, v12, vcc_lo
	v_mov_b32_e32 v14, v8
	s_delay_alu instid0(VALU_DEP_3) | instskip(SKIP_1) | instid1(VALU_DEP_2)
	v_lshrrev_b32_e32 v11, 3, v15
	v_mov_b32_e32 v13, v7
	v_add_nc_u32_e32 v11, 1, v11
	s_delay_alu instid0(VALU_DEP_1) | instskip(SKIP_1) | instid1(VALU_DEP_2)
	v_dual_mov_b32 v12, v1 :: v_dual_and_b32 v17, 3, v11
	v_mov_b32_e32 v11, v0
	v_cmpx_ne_u32_e32 0, v17
	s_cbranch_execz .LBB116_21
; %bb.18:
	v_lshlrev_b64 v[11:12], 3, v[0:1]
	v_dual_mov_b32 v18, 0 :: v_dual_lshlrev_b32 v17, 2, v17
	v_dual_mov_b32 v14, v8 :: v_dual_mov_b32 v13, v7
	s_mov_b32 s10, 0
	s_delay_alu instid0(VALU_DEP_3) | instskip(NEXT) | instid1(VALU_DEP_4)
	v_add_co_u32 v19, vcc_lo, s8, v11
	v_add_co_ci_u32_e32 v20, vcc_lo, s9, v12, vcc_lo
	v_dual_mov_b32 v12, v1 :: v_dual_mov_b32 v11, v0
	v_mov_b32_e32 v21, v18
	v_mov_b32_e32 v23, v18
	;; [unrolled: 1-line block ×4, first 2 shown]
.LBB116_19:                             ; =>This Inner Loop Header: Depth=1
	global_load_b64 v[29:30], v[19:20], off
	global_load_b128 v[25:28], v[13:14], off
	s_waitcnt vmcnt(1)
	v_sub_co_u32 v29, vcc_lo, v29, s20
	v_subrev_co_ci_u32_e32 v30, vcc_lo, s15, v30, vcc_lo
	s_delay_alu instid0(VALU_DEP_1) | instskip(SKIP_1) | instid1(VALU_DEP_1)
	v_lshlrev_b64 v[29:30], 3, v[29:30]
	s_waitcnt lgkmcnt(0)
	v_add_co_u32 v33, vcc_lo, s4, v29
	s_delay_alu instid0(VALU_DEP_2)
	v_add_co_ci_u32_e32 v34, vcc_lo, s5, v30, vcc_lo
	global_load_b128 v[29:32], v[13:14], off offset:16
	global_load_b64 v[33:34], v[33:34], off
	v_add_co_u32 v13, vcc_lo, 0x100, v13
	v_add_co_ci_u32_e32 v14, vcc_lo, 0, v14, vcc_lo
	v_add_co_u32 v11, vcc_lo, v11, 8
	v_add_co_ci_u32_e32 v12, vcc_lo, 0, v12, vcc_lo
	v_add_co_u32 v19, vcc_lo, v19, 64
	v_add_co_ci_u32_e32 v20, vcc_lo, 0, v20, vcc_lo
	v_add_co_u32 v17, vcc_lo, v17, -4
	v_add_co_ci_u32_e32 v18, vcc_lo, -1, v18, vcc_lo
	s_delay_alu instid0(VALU_DEP_1)
	v_cmp_eq_u64_e32 vcc_lo, 0, v[17:18]
	s_or_b32 s10, vcc_lo, s10
	s_waitcnt vmcnt(0)
	v_lshlrev_b32_e32 v43, 16, v33
	v_and_b32_e32 v33, 0xffff0000, v33
	v_lshlrev_b32_e32 v37, 16, v27
	s_delay_alu instid0(VALU_DEP_1) | instskip(NEXT) | instid1(VALU_DEP_1)
	v_dual_fmac_f32 v24, v37, v43 :: v_dual_lshlrev_b32 v35, 16, v25
	v_dual_fmac_f32 v22, v35, v43 :: v_dual_and_b32 v25, 0xffff0000, v25
	v_lshlrev_b32_e32 v41, 16, v31
	s_delay_alu instid0(VALU_DEP_2) | instskip(SKIP_2) | instid1(VALU_DEP_4)
	v_dual_fmac_f32 v22, v25, v33 :: v_dual_lshlrev_b32 v35, 16, v34
	v_lshlrev_b32_e32 v39, 16, v29
	v_lshlrev_b32_e32 v36, 16, v26
	v_dual_fmac_f32 v21, v41, v43 :: v_dual_and_b32 v26, 0xffff0000, v26
	v_and_b32_e32 v25, 0xffff0000, v34
	s_delay_alu instid0(VALU_DEP_4) | instskip(NEXT) | instid1(VALU_DEP_4)
	v_fmac_f32_e32 v23, v39, v43
	v_fmac_f32_e32 v22, v36, v35
	v_and_b32_e32 v27, 0xffff0000, v27
	v_lshlrev_b32_e32 v42, 16, v32
	v_and_b32_e32 v32, 0xffff0000, v32
	s_delay_alu instid0(VALU_DEP_4) | instskip(NEXT) | instid1(VALU_DEP_4)
	v_fmac_f32_e32 v22, v26, v25
	v_fmac_f32_e32 v24, v27, v33
	v_and_b32_e32 v29, 0xffff0000, v29
	s_delay_alu instid0(VALU_DEP_1) | instskip(NEXT) | instid1(VALU_DEP_1)
	v_dual_fmac_f32 v23, v29, v33 :: v_dual_lshlrev_b32 v38, 16, v28
	v_fmac_f32_e32 v24, v38, v35
	v_and_b32_e32 v31, 0xffff0000, v31
	s_delay_alu instid0(VALU_DEP_1) | instskip(SKIP_1) | instid1(VALU_DEP_2)
	v_dual_fmac_f32 v21, v31, v33 :: v_dual_and_b32 v28, 0xffff0000, v28
	v_lshlrev_b32_e32 v40, 16, v30
	v_dual_fmac_f32 v24, v28, v25 :: v_dual_fmac_f32 v21, v42, v35
	s_delay_alu instid0(VALU_DEP_2) | instskip(NEXT) | instid1(VALU_DEP_2)
	v_dual_fmac_f32 v23, v40, v35 :: v_dual_and_b32 v30, 0xffff0000, v30
	v_fmac_f32_e32 v21, v32, v25
	s_delay_alu instid0(VALU_DEP_2)
	v_fmac_f32_e32 v23, v30, v25
	s_and_not1_b32 exec_lo, exec_lo, s10
	s_cbranch_execnz .LBB116_19
; %bb.20:
	s_or_b32 exec_lo, exec_lo, s10
.LBB116_21:
	s_delay_alu instid0(SALU_CYCLE_1) | instskip(NEXT) | instid1(SALU_CYCLE_1)
	s_or_b32 exec_lo, exec_lo, s3
	s_mov_b32 s10, exec_lo
	v_cmpx_lt_u64_e32 23, v[15:16]
	s_cbranch_execz .LBB116_25
; %bb.22:
	v_lshlrev_b64 v[15:16], 3, v[11:12]
	s_mov_b32 s11, 0
	s_delay_alu instid0(VALU_DEP_1) | instskip(NEXT) | instid1(VALU_DEP_2)
	v_add_co_u32 v15, vcc_lo, v15, s8
	v_add_co_ci_u32_e32 v16, vcc_lo, s9, v16, vcc_lo
	s_delay_alu instid0(VALU_DEP_2) | instskip(NEXT) | instid1(VALU_DEP_2)
	v_add_co_u32 v15, vcc_lo, 0x80, v15
	v_add_co_ci_u32_e32 v16, vcc_lo, 0, v16, vcc_lo
.LBB116_23:                             ; =>This Inner Loop Header: Depth=1
	s_clause 0x3
	global_load_b64 v[53:54], v[15:16], off offset:-128
	global_load_b64 v[55:56], v[15:16], off offset:-64
	global_load_b64 v[57:58], v[15:16], off
	global_load_b64 v[59:60], v[15:16], off offset:64
	s_clause 0x7
	global_load_b128 v[17:20], v[13:14], off
	global_load_b128 v[25:28], v[13:14], off offset:16
	global_load_b128 v[29:32], v[13:14], off offset:256
	;; [unrolled: 1-line block ×7, first 2 shown]
	s_waitcnt vmcnt(11)
	v_sub_co_u32 v53, vcc_lo, v53, s20
	v_subrev_co_ci_u32_e32 v54, vcc_lo, s15, v54, vcc_lo
	s_waitcnt vmcnt(10)
	v_sub_co_u32 v55, vcc_lo, v55, s20
	v_subrev_co_ci_u32_e32 v56, vcc_lo, s15, v56, vcc_lo
	s_delay_alu instid0(VALU_DEP_3) | instskip(SKIP_2) | instid1(VALU_DEP_3)
	v_lshlrev_b64 v[53:54], 3, v[53:54]
	s_waitcnt vmcnt(1)
	v_lshlrev_b32_e32 v85, 16, v45
	v_lshlrev_b64 v[55:56], 3, v[55:56]
	v_lshlrev_b32_e32 v77, 16, v37
	v_lshlrev_b32_e32 v69, 16, v29
	s_waitcnt lgkmcnt(0)
	v_add_co_u32 v53, vcc_lo, s4, v53
	v_add_co_ci_u32_e32 v54, vcc_lo, s5, v54, vcc_lo
	v_sub_co_u32 v57, vcc_lo, v57, s20
	v_subrev_co_ci_u32_e32 v58, vcc_lo, s15, v58, vcc_lo
	global_load_b64 v[53:54], v[53:54], off
	v_add_co_u32 v55, vcc_lo, s4, v55
	v_add_co_ci_u32_e32 v56, vcc_lo, s5, v56, vcc_lo
	v_lshlrev_b64 v[57:58], 3, v[57:58]
	v_sub_co_u32 v59, vcc_lo, v59, s20
	global_load_b64 v[55:56], v[55:56], off
	v_subrev_co_ci_u32_e32 v60, vcc_lo, s15, v60, vcc_lo
	v_add_co_u32 v57, s3, s4, v57
	s_delay_alu instid0(VALU_DEP_1) | instskip(NEXT) | instid1(VALU_DEP_3)
	v_add_co_ci_u32_e64 v58, s3, s5, v58, s3
	v_lshlrev_b64 v[59:60], 3, v[59:60]
	v_and_b32_e32 v45, 0xffff0000, v45
	s_waitcnt vmcnt(2)
	v_lshlrev_b32_e32 v89, 16, v49
	global_load_b64 v[57:58], v[57:58], off
	v_lshlrev_b32_e32 v88, 16, v48
	v_and_b32_e32 v49, 0xffff0000, v49
	v_add_co_u32 v59, vcc_lo, s4, v59
	v_add_co_ci_u32_e32 v60, vcc_lo, s5, v60, vcc_lo
	v_lshlrev_b32_e32 v86, 16, v46
	v_lshlrev_b32_e32 v81, 16, v41
	v_lshlrev_b32_e32 v80, 16, v40
	global_load_b64 v[59:60], v[59:60], off
	v_and_b32_e32 v41, 0xffff0000, v41
	v_lshlrev_b32_e32 v78, 16, v38
	v_lshlrev_b32_e32 v73, 16, v33
	v_and_b32_e32 v33, 0xffff0000, v33
	v_lshlrev_b32_e32 v72, 16, v32
	v_add_co_u32 v13, vcc_lo, 0x400, v13
	v_add_co_ci_u32_e32 v14, vcc_lo, 0, v14, vcc_lo
	v_add_co_u32 v11, vcc_lo, v11, 32
	v_add_co_ci_u32_e32 v12, vcc_lo, 0, v12, vcc_lo
	;; [unrolled: 2-line block ×3, first 2 shown]
	s_delay_alu instid0(VALU_DEP_3)
	v_cmp_ge_i64_e32 vcc_lo, v[11:12], v[5:6]
	s_or_b32 s11, vcc_lo, s11
	s_waitcnt vmcnt(3)
	v_lshlrev_b32_e32 v93, 16, v53
	v_lshlrev_b32_e32 v63, 16, v19
	v_and_b32_e32 v19, 0xffff0000, v19
	v_and_b32_e32 v53, 0xffff0000, v53
	s_delay_alu instid0(VALU_DEP_3) | instskip(SKIP_1) | instid1(VALU_DEP_1)
	v_dual_fmac_f32 v24, v63, v93 :: v_dual_lshlrev_b32 v71, 16, v31
	s_waitcnt vmcnt(2)
	v_dual_fmac_f32 v24, v19, v53 :: v_dual_lshlrev_b32 v19, 16, v55
	v_lshlrev_b32_e32 v61, 16, v17
	v_and_b32_e32 v17, 0xffff0000, v17
	s_delay_alu instid0(VALU_DEP_2) | instskip(NEXT) | instid1(VALU_DEP_1)
	v_dual_fmac_f32 v22, v61, v93 :: v_dual_lshlrev_b32 v67, 16, v27
	v_dual_fmac_f32 v22, v17, v53 :: v_dual_lshlrev_b32 v61, 16, v54
	v_and_b32_e32 v17, 0xffff0000, v54
	v_lshlrev_b32_e32 v70, 16, v30
	v_lshlrev_b32_e32 v65, 16, v25
	;; [unrolled: 1-line block ×3, first 2 shown]
	v_dual_fmac_f32 v21, v67, v93 :: v_dual_and_b32 v18, 0xffff0000, v18
	s_delay_alu instid0(VALU_DEP_3) | instskip(NEXT) | instid1(VALU_DEP_3)
	v_dual_fmac_f32 v23, v65, v93 :: v_dual_lshlrev_b32 v68, 16, v28
	v_dual_fmac_f32 v22, v62, v61 :: v_dual_and_b32 v27, 0xffff0000, v27
	v_lshlrev_b32_e32 v75, 16, v35
	s_delay_alu instid0(VALU_DEP_2) | instskip(NEXT) | instid1(VALU_DEP_3)
	v_fmac_f32_e32 v21, v27, v53
	v_fmac_f32_e32 v22, v18, v17
	v_lshlrev_b32_e32 v18, 16, v56
	v_and_b32_e32 v25, 0xffff0000, v25
	v_lshlrev_b32_e32 v64, 16, v20
	v_and_b32_e32 v20, 0xffff0000, v20
	v_dual_fmac_f32 v21, v68, v61 :: v_dual_lshlrev_b32 v66, 16, v26
	s_delay_alu instid0(VALU_DEP_4) | instskip(NEXT) | instid1(VALU_DEP_4)
	v_dual_fmac_f32 v23, v25, v53 :: v_dual_and_b32 v26, 0xffff0000, v26
	v_dual_fmac_f32 v24, v64, v61 :: v_dual_and_b32 v31, 0xffff0000, v31
	v_and_b32_e32 v35, 0xffff0000, v35
	s_delay_alu instid0(VALU_DEP_3) | instskip(NEXT) | instid1(VALU_DEP_3)
	v_dual_fmac_f32 v23, v66, v61 :: v_dual_fmac_f32 v22, v69, v19
	v_fmac_f32_e32 v24, v20, v17
	s_delay_alu instid0(VALU_DEP_2) | instskip(NEXT) | instid1(VALU_DEP_2)
	v_dual_fmac_f32 v23, v26, v17 :: v_dual_and_b32 v28, 0xffff0000, v28
	v_fmac_f32_e32 v24, v71, v19
	s_delay_alu instid0(VALU_DEP_2) | instskip(NEXT) | instid1(VALU_DEP_3)
	v_fmac_f32_e32 v23, v73, v19
	v_dual_fmac_f32 v21, v28, v17 :: v_dual_and_b32 v30, 0xffff0000, v30
	v_and_b32_e32 v17, 0xffff0000, v55
	v_lshlrev_b32_e32 v79, 16, v39
	v_and_b32_e32 v29, 0xffff0000, v29
	s_delay_alu instid0(VALU_DEP_4) | instskip(NEXT) | instid1(VALU_DEP_4)
	v_dual_fmac_f32 v21, v75, v19 :: v_dual_and_b32 v32, 0xffff0000, v32
	v_dual_fmac_f32 v24, v31, v17 :: v_dual_and_b32 v39, 0xffff0000, v39
	s_delay_alu instid0(VALU_DEP_3) | instskip(SKIP_1) | instid1(VALU_DEP_4)
	v_fmac_f32_e32 v22, v29, v17
	v_fmac_f32_e32 v23, v33, v17
	;; [unrolled: 1-line block ×3, first 2 shown]
	v_and_b32_e32 v17, 0xffff0000, v56
	v_lshlrev_b32_e32 v74, 16, v34
	v_lshlrev_b32_e32 v76, 16, v36
	v_fmac_f32_e32 v22, v70, v18
	v_dual_fmac_f32 v24, v72, v18 :: v_dual_lshlrev_b32 v83, 16, v43
	s_delay_alu instid0(VALU_DEP_4) | instskip(NEXT) | instid1(VALU_DEP_4)
	v_dual_fmac_f32 v23, v74, v18 :: v_dual_and_b32 v36, 0xffff0000, v36
	v_fmac_f32_e32 v21, v76, v18
	v_and_b32_e32 v34, 0xffff0000, v34
	s_delay_alu instid0(VALU_DEP_4)
	v_dual_fmac_f32 v24, v32, v17 :: v_dual_and_b32 v43, 0xffff0000, v43
	s_waitcnt vmcnt(1)
	v_lshlrev_b32_e32 v18, 16, v57
	v_fmac_f32_e32 v22, v30, v17
	v_fmac_f32_e32 v21, v36, v17
	v_dual_fmac_f32 v23, v34, v17 :: v_dual_and_b32 v40, 0xffff0000, v40
	s_delay_alu instid0(VALU_DEP_3) | instskip(NEXT) | instid1(VALU_DEP_3)
	v_dual_fmac_f32 v22, v77, v18 :: v_dual_and_b32 v17, 0xffff0000, v57
	v_fmac_f32_e32 v21, v83, v18
	v_lshlrev_b32_e32 v87, 16, v47
	v_dual_fmac_f32 v24, v79, v18 :: v_dual_and_b32 v37, 0xffff0000, v37
	v_fmac_f32_e32 v23, v81, v18
	s_delay_alu instid0(VALU_DEP_4) | instskip(NEXT) | instid1(VALU_DEP_3)
	v_dual_fmac_f32 v21, v43, v17 :: v_dual_and_b32 v38, 0xffff0000, v38
	v_dual_fmac_f32 v24, v39, v17 :: v_dual_and_b32 v47, 0xffff0000, v47
	v_lshlrev_b32_e32 v18, 16, v58
	v_fmac_f32_e32 v22, v37, v17
	v_fmac_f32_e32 v23, v41, v17
	v_and_b32_e32 v17, 0xffff0000, v58
	v_lshlrev_b32_e32 v82, 16, v42
	v_lshlrev_b32_e32 v84, 16, v44
	v_fmac_f32_e32 v22, v78, v18
	v_dual_fmac_f32 v24, v80, v18 :: v_dual_lshlrev_b32 v91, 16, v51
	s_delay_alu instid0(VALU_DEP_4) | instskip(NEXT) | instid1(VALU_DEP_4)
	v_dual_fmac_f32 v23, v82, v18 :: v_dual_and_b32 v44, 0xffff0000, v44
	v_fmac_f32_e32 v21, v84, v18
	v_and_b32_e32 v42, 0xffff0000, v42
	s_delay_alu instid0(VALU_DEP_4)
	v_dual_fmac_f32 v24, v40, v17 :: v_dual_and_b32 v51, 0xffff0000, v51
	s_waitcnt vmcnt(0)
	v_lshlrev_b32_e32 v18, 16, v59
	v_fmac_f32_e32 v22, v38, v17
	v_fmac_f32_e32 v21, v44, v17
	v_dual_fmac_f32 v23, v42, v17 :: v_dual_and_b32 v48, 0xffff0000, v48
	s_delay_alu instid0(VALU_DEP_3) | instskip(NEXT) | instid1(VALU_DEP_3)
	v_dual_fmac_f32 v22, v85, v18 :: v_dual_and_b32 v17, 0xffff0000, v59
	v_fmac_f32_e32 v21, v91, v18
	v_fmac_f32_e32 v24, v87, v18
	s_delay_alu instid0(VALU_DEP_4) | instskip(SKIP_1) | instid1(VALU_DEP_4)
	v_fmac_f32_e32 v23, v89, v18
	v_and_b32_e32 v46, 0xffff0000, v46
	v_dual_fmac_f32 v21, v51, v17 :: v_dual_lshlrev_b32 v18, 16, v60
	v_fmac_f32_e32 v22, v45, v17
	v_fmac_f32_e32 v24, v47, v17
	;; [unrolled: 1-line block ×3, first 2 shown]
	v_and_b32_e32 v17, 0xffff0000, v60
	v_lshlrev_b32_e32 v90, 16, v50
	v_lshlrev_b32_e32 v92, 16, v52
	v_fmac_f32_e32 v22, v86, v18
	v_fmac_f32_e32 v24, v88, v18
	s_delay_alu instid0(VALU_DEP_4) | instskip(NEXT) | instid1(VALU_DEP_4)
	v_dual_fmac_f32 v23, v90, v18 :: v_dual_and_b32 v52, 0xffff0000, v52
	v_fmac_f32_e32 v21, v92, v18
	v_and_b32_e32 v50, 0xffff0000, v50
	v_fmac_f32_e32 v22, v46, v17
	v_fmac_f32_e32 v24, v48, v17
	s_delay_alu instid0(VALU_DEP_4) | instskip(NEXT) | instid1(VALU_DEP_4)
	v_fmac_f32_e32 v21, v52, v17
	v_fmac_f32_e32 v23, v50, v17
	s_and_not1_b32 exec_lo, exec_lo, s11
	s_cbranch_execnz .LBB116_23
; %bb.24:
	s_or_b32 exec_lo, exec_lo, s11
.LBB116_25:
	s_delay_alu instid0(SALU_CYCLE_1)
	s_or_b32 exec_lo, exec_lo, s10
.LBB116_26:
	s_delay_alu instid0(SALU_CYCLE_1) | instskip(NEXT) | instid1(SALU_CYCLE_1)
	s_or_b32 exec_lo, exec_lo, s7
	s_and_not1_b32 vcc_lo, exec_lo, s6
	s_cbranch_vccz .LBB116_28
	s_branch .LBB116_39
.LBB116_27:
                                        ; implicit-def: $vgpr21
                                        ; implicit-def: $vgpr23
                                        ; implicit-def: $vgpr24
                                        ; implicit-def: $vgpr22
.LBB116_28:
	v_dual_mov_b32 v21, 0 :: v_dual_mov_b32 v24, 0
	v_dual_mov_b32 v23, 0 :: v_dual_mov_b32 v22, 0
	s_delay_alu instid0(VALU_DEP_4)
	s_and_saveexec_b32 s3, s2
	s_cbranch_execz .LBB116_38
; %bb.29:
	v_or_b32_e32 v11, 8, v2
	v_mov_b32_e32 v23, 0
	v_dual_mov_b32 v21, 0 :: v_dual_mov_b32 v22, 0
	v_mov_b32_e32 v24, 0
	s_delay_alu instid0(VALU_DEP_4) | instskip(NEXT) | instid1(VALU_DEP_1)
	v_sub_co_u32 v11, s2, v11, s20
	v_sub_co_ci_u32_e64 v12, null, 0, s15, s2
	v_sub_co_u32 v13, s2, s20, v2
	s_delay_alu instid0(VALU_DEP_3) | instskip(NEXT) | instid1(VALU_DEP_3)
	v_add_co_u32 v11, vcc_lo, v11, v9
	v_add_co_ci_u32_e32 v12, vcc_lo, v12, v10, vcc_lo
	v_not_b32_e32 v9, v9
	v_not_b32_e32 v10, v10
	v_sub_co_ci_u32_e64 v14, null, s15, 0, s2
	s_delay_alu instid0(VALU_DEP_4) | instskip(SKIP_4) | instid1(VALU_DEP_2)
	v_cmp_gt_i64_e32 vcc_lo, v[11:12], v[5:6]
	s_mov_b32 s2, exec_lo
	v_dual_cndmask_b32 v12, v6, v12 :: v_dual_cndmask_b32 v11, v5, v11
	v_add_co_u32 v9, vcc_lo, v13, v9
	v_add_co_ci_u32_e32 v10, vcc_lo, v14, v10, vcc_lo
	v_add_co_u32 v9, vcc_lo, v9, v11
	s_delay_alu instid0(VALU_DEP_2) | instskip(NEXT) | instid1(VALU_DEP_2)
	v_add_co_ci_u32_e32 v10, vcc_lo, v10, v12, vcc_lo
	v_lshrrev_b32_e32 v11, 3, v9
	s_delay_alu instid0(VALU_DEP_1) | instskip(NEXT) | instid1(VALU_DEP_1)
	v_add_nc_u32_e32 v11, 1, v11
	v_and_b32_e32 v11, 3, v11
	s_delay_alu instid0(VALU_DEP_1)
	v_cmpx_ne_u32_e32 0, v11
	s_cbranch_execz .LBB116_33
; %bb.30:
	v_lshlrev_b64 v[13:14], 3, v[0:1]
	v_dual_mov_b32 v12, 0 :: v_dual_lshlrev_b32 v11, 2, v11
	s_mov_b32 s6, 0
	s_delay_alu instid0(VALU_DEP_1) | instskip(NEXT) | instid1(VALU_DEP_3)
	v_mov_b32_e32 v21, v12
	v_add_co_u32 v13, vcc_lo, s8, v13
	s_delay_alu instid0(VALU_DEP_4)
	v_add_co_ci_u32_e32 v14, vcc_lo, s9, v14, vcc_lo
	v_mov_b32_e32 v23, v12
	v_mov_b32_e32 v24, v12
	;; [unrolled: 1-line block ×3, first 2 shown]
.LBB116_31:                             ; =>This Inner Loop Header: Depth=1
	global_load_b64 v[19:20], v[13:14], off
	global_load_b128 v[15:18], v[7:8], off
	s_waitcnt vmcnt(1)
	v_sub_co_u32 v19, vcc_lo, v19, s20
	v_subrev_co_ci_u32_e32 v20, vcc_lo, s15, v20, vcc_lo
	s_delay_alu instid0(VALU_DEP_1) | instskip(SKIP_1) | instid1(VALU_DEP_1)
	v_lshlrev_b64 v[19:20], 3, v[19:20]
	s_waitcnt lgkmcnt(0)
	v_add_co_u32 v19, vcc_lo, s4, v19
	s_delay_alu instid0(VALU_DEP_2)
	v_add_co_ci_u32_e32 v20, vcc_lo, s5, v20, vcc_lo
	global_load_b64 v[19:20], v[19:20], off
	global_load_b128 v[25:28], v[7:8], off offset:16
	v_add_co_u32 v7, vcc_lo, 0x100, v7
	v_add_co_ci_u32_e32 v8, vcc_lo, 0, v8, vcc_lo
	v_add_co_u32 v0, vcc_lo, v0, 8
	v_add_co_ci_u32_e32 v1, vcc_lo, 0, v1, vcc_lo
	;; [unrolled: 2-line block ×3, first 2 shown]
	v_add_co_u32 v11, vcc_lo, v11, -4
	v_add_co_ci_u32_e32 v12, vcc_lo, -1, v12, vcc_lo
	s_delay_alu instid0(VALU_DEP_1)
	v_cmp_eq_u64_e32 vcc_lo, 0, v[11:12]
	s_or_b32 s6, vcc_lo, s6
	s_waitcnt vmcnt(1)
	v_lshlrev_b32_e32 v37, 16, v19
	v_lshlrev_b32_e32 v29, 16, v15
	v_and_b32_e32 v15, 0xffff0000, v15
	v_lshlrev_b32_e32 v30, 16, v16
	v_and_b32_e32 v16, 0xffff0000, v16
	v_and_b32_e32 v19, 0xffff0000, v19
	s_waitcnt vmcnt(0)
	v_lshlrev_b32_e32 v36, 16, v28
	v_fmac_f32_e32 v24, v15, v37
	v_lshlrev_b32_e32 v31, 16, v17
	v_fmac_f32_e32 v22, v29, v37
	v_and_b32_e32 v17, 0xffff0000, v17
	v_dual_fmac_f32 v21, v16, v37 :: v_dual_lshlrev_b32 v32, 16, v18
	v_dual_fmac_f32 v23, v30, v37 :: v_dual_and_b32 v18, 0xffff0000, v18
	s_delay_alu instid0(VALU_DEP_3) | instskip(SKIP_2) | instid1(VALU_DEP_4)
	v_dual_fmac_f32 v24, v17, v19 :: v_dual_lshlrev_b32 v15, 16, v20
	v_dual_fmac_f32 v22, v31, v19 :: v_dual_lshlrev_b32 v33, 16, v25
	v_and_b32_e32 v25, 0xffff0000, v25
	v_dual_fmac_f32 v21, v18, v19 :: v_dual_lshlrev_b32 v34, 16, v26
	v_dual_fmac_f32 v23, v32, v19 :: v_dual_and_b32 v26, 0xffff0000, v26
	v_and_b32_e32 v28, 0xffff0000, v28
	v_and_b32_e32 v16, 0xffff0000, v20
	v_fmac_f32_e32 v24, v25, v15
	v_lshlrev_b32_e32 v35, 16, v27
	v_fmac_f32_e32 v22, v33, v15
	v_and_b32_e32 v27, 0xffff0000, v27
	v_fmac_f32_e32 v21, v26, v15
	s_delay_alu instid0(VALU_DEP_2) | instskip(NEXT) | instid1(VALU_DEP_4)
	v_dual_fmac_f32 v23, v34, v15 :: v_dual_fmac_f32 v24, v27, v16
	v_fmac_f32_e32 v22, v35, v16
	s_delay_alu instid0(VALU_DEP_2) | instskip(NEXT) | instid1(VALU_DEP_4)
	v_fmac_f32_e32 v23, v36, v16
	v_fmac_f32_e32 v21, v28, v16
	s_and_not1_b32 exec_lo, exec_lo, s6
	s_cbranch_execnz .LBB116_31
; %bb.32:
	s_or_b32 exec_lo, exec_lo, s6
.LBB116_33:
	s_delay_alu instid0(SALU_CYCLE_1) | instskip(NEXT) | instid1(SALU_CYCLE_1)
	s_or_b32 exec_lo, exec_lo, s2
	s_mov_b32 s2, exec_lo
	v_cmpx_lt_u64_e32 23, v[9:10]
	s_cbranch_execz .LBB116_37
; %bb.34:
	v_lshlrev_b64 v[9:10], 3, v[0:1]
	s_mov_b32 s6, 0
	s_delay_alu instid0(VALU_DEP_1) | instskip(NEXT) | instid1(VALU_DEP_2)
	v_add_co_u32 v9, vcc_lo, v9, s8
	v_add_co_ci_u32_e32 v10, vcc_lo, s9, v10, vcc_lo
	s_delay_alu instid0(VALU_DEP_2) | instskip(NEXT) | instid1(VALU_DEP_2)
	v_add_co_u32 v9, vcc_lo, 0x80, v9
	v_add_co_ci_u32_e32 v10, vcc_lo, 0, v10, vcc_lo
.LBB116_35:                             ; =>This Inner Loop Header: Depth=1
	s_clause 0x3
	global_load_b64 v[19:20], v[9:10], off offset:-128
	global_load_b64 v[45:46], v[9:10], off offset:-64
	global_load_b64 v[47:48], v[9:10], off
	global_load_b64 v[49:50], v[9:10], off offset:64
	s_clause 0x6
	global_load_b128 v[11:14], v[7:8], off
	global_load_b128 v[15:18], v[7:8], off offset:16
	global_load_b128 v[25:28], v[7:8], off offset:256
	;; [unrolled: 1-line block ×6, first 2 shown]
	s_waitcnt vmcnt(10)
	v_sub_co_u32 v19, vcc_lo, v19, s20
	v_subrev_co_ci_u32_e32 v20, vcc_lo, s15, v20, vcc_lo
	s_waitcnt vmcnt(9)
	v_sub_co_u32 v45, vcc_lo, v45, s20
	v_subrev_co_ci_u32_e32 v46, vcc_lo, s15, v46, vcc_lo
	s_waitcnt vmcnt(8)
	v_sub_co_u32 v47, vcc_lo, v47, s20
	v_lshlrev_b64 v[19:20], 3, v[19:20]
	v_subrev_co_ci_u32_e32 v48, vcc_lo, s15, v48, vcc_lo
	s_waitcnt vmcnt(7)
	v_sub_co_u32 v49, vcc_lo, v49, s20
	v_lshlrev_b64 v[45:46], 3, v[45:46]
	v_subrev_co_ci_u32_e32 v50, vcc_lo, s15, v50, vcc_lo
	v_lshlrev_b64 v[47:48], 3, v[47:48]
	s_waitcnt lgkmcnt(0)
	v_add_co_u32 v19, vcc_lo, s4, v19
	v_add_co_ci_u32_e32 v20, vcc_lo, s5, v20, vcc_lo
	v_lshlrev_b64 v[49:50], 3, v[49:50]
	v_add_co_u32 v45, vcc_lo, s4, v45
	v_add_co_ci_u32_e32 v46, vcc_lo, s5, v46, vcc_lo
	v_add_co_u32 v47, vcc_lo, s4, v47
	v_add_co_ci_u32_e32 v48, vcc_lo, s5, v48, vcc_lo
	;; [unrolled: 2-line block ×3, first 2 shown]
	s_clause 0x3
	global_load_b64 v[19:20], v[19:20], off
	global_load_b64 v[51:52], v[45:46], off
	;; [unrolled: 1-line block ×4, first 2 shown]
	global_load_b128 v[45:48], v[7:8], off offset:784
	v_add_co_u32 v7, vcc_lo, 0x400, v7
	v_add_co_ci_u32_e32 v8, vcc_lo, 0, v8, vcc_lo
	v_add_co_u32 v0, vcc_lo, v0, 32
	v_add_co_ci_u32_e32 v1, vcc_lo, 0, v1, vcc_lo
	;; [unrolled: 2-line block ×3, first 2 shown]
	s_delay_alu instid0(VALU_DEP_3)
	v_cmp_ge_i64_e32 vcc_lo, v[0:1], v[5:6]
	s_or_b32 s6, vcc_lo, s6
	s_waitcnt vmcnt(4)
	v_lshlrev_b32_e32 v87, 16, v19
	v_lshlrev_b32_e32 v56, 16, v12
	v_and_b32_e32 v12, 0xffff0000, v12
	v_and_b32_e32 v19, 0xffff0000, v19
	v_lshlrev_b32_e32 v61, 16, v17
	v_and_b32_e32 v17, 0xffff0000, v17
	s_waitcnt vmcnt(0)
	v_lshlrev_b32_e32 v85, 16, v47
	v_dual_fmac_f32 v21, v12, v87 :: v_dual_and_b32 v12, 0xffff0000, v20
	v_lshlrev_b32_e32 v55, 16, v11
	v_and_b32_e32 v11, 0xffff0000, v11
	v_lshlrev_b32_e32 v57, 16, v13
	v_and_b32_e32 v13, 0xffff0000, v13
	v_lshlrev_b32_e32 v58, 16, v14
	v_fmac_f32_e32 v22, v55, v87
	v_fmac_f32_e32 v24, v11, v87
	v_dual_fmac_f32 v23, v56, v87 :: v_dual_and_b32 v14, 0xffff0000, v14
	v_lshlrev_b32_e32 v81, 16, v43
	v_lshlrev_b32_e32 v77, 16, v39
	;; [unrolled: 1-line block ×6, first 2 shown]
	v_and_b32_e32 v47, 0xffff0000, v47
	v_and_b32_e32 v43, 0xffff0000, v43
	;; [unrolled: 1-line block ×7, first 2 shown]
	v_dual_fmac_f32 v22, v57, v19 :: v_dual_lshlrev_b32 v11, 16, v20
	v_fmac_f32_e32 v24, v13, v19
	v_dual_fmac_f32 v21, v14, v19 :: v_dual_lshlrev_b32 v60, 16, v16
	v_dual_fmac_f32 v23, v58, v19 :: v_dual_and_b32 v16, 0xffff0000, v16
	s_delay_alu instid0(VALU_DEP_4) | instskip(NEXT) | instid1(VALU_DEP_4)
	v_dual_fmac_f32 v22, v59, v11 :: v_dual_lshlrev_b32 v63, 16, v25
	v_dual_fmac_f32 v24, v15, v11 :: v_dual_and_b32 v25, 0xffff0000, v25
	s_delay_alu instid0(VALU_DEP_3) | instskip(NEXT) | instid1(VALU_DEP_4)
	v_dual_fmac_f32 v21, v16, v11 :: v_dual_lshlrev_b32 v62, 16, v18
	v_dual_fmac_f32 v23, v60, v11 :: v_dual_and_b32 v18, 0xffff0000, v18
	s_delay_alu instid0(VALU_DEP_4) | instskip(NEXT) | instid1(VALU_DEP_4)
	v_dual_fmac_f32 v22, v61, v12 :: v_dual_lshlrev_b32 v11, 16, v51
	v_dual_fmac_f32 v24, v17, v12 :: v_dual_lshlrev_b32 v67, 16, v29
	s_delay_alu instid0(VALU_DEP_3) | instskip(NEXT) | instid1(VALU_DEP_4)
	v_dual_fmac_f32 v21, v18, v12 :: v_dual_lshlrev_b32 v64, 16, v26
	v_dual_fmac_f32 v23, v62, v12 :: v_dual_and_b32 v26, 0xffff0000, v26
	s_delay_alu instid0(VALU_DEP_3) | instskip(SKIP_2) | instid1(VALU_DEP_4)
	v_dual_fmac_f32 v24, v25, v11 :: v_dual_and_b32 v29, 0xffff0000, v29
	v_and_b32_e32 v12, 0xffff0000, v51
	v_fmac_f32_e32 v22, v63, v11
	v_fmac_f32_e32 v21, v26, v11
	v_dual_fmac_f32 v23, v64, v11 :: v_dual_lshlrev_b32 v68, 16, v30
	v_and_b32_e32 v30, 0xffff0000, v30
	v_lshlrev_b32_e32 v11, 16, v52
	v_lshlrev_b32_e32 v66, 16, v28
	v_and_b32_e32 v28, 0xffff0000, v28
	v_fmac_f32_e32 v22, v65, v12
	v_dual_fmac_f32 v24, v27, v12 :: v_dual_lshlrev_b32 v71, 16, v33
	s_delay_alu instid0(VALU_DEP_4) | instskip(NEXT) | instid1(VALU_DEP_3)
	v_fmac_f32_e32 v23, v66, v12
	v_dual_fmac_f32 v21, v28, v12 :: v_dual_fmac_f32 v22, v67, v11
	s_delay_alu instid0(VALU_DEP_3) | instskip(NEXT) | instid1(VALU_DEP_3)
	v_dual_fmac_f32 v24, v29, v11 :: v_dual_and_b32 v33, 0xffff0000, v33
	v_dual_fmac_f32 v23, v68, v11 :: v_dual_and_b32 v12, 0xffff0000, v52
	s_delay_alu instid0(VALU_DEP_3)
	v_dual_fmac_f32 v21, v30, v11 :: v_dual_lshlrev_b32 v72, 16, v34
	v_and_b32_e32 v34, 0xffff0000, v34
	v_lshlrev_b32_e32 v11, 16, v53
	v_lshlrev_b32_e32 v70, 16, v32
	v_and_b32_e32 v32, 0xffff0000, v32
	v_fmac_f32_e32 v22, v69, v12
	v_dual_fmac_f32 v24, v31, v12 :: v_dual_lshlrev_b32 v75, 16, v37
	s_delay_alu instid0(VALU_DEP_4) | instskip(NEXT) | instid1(VALU_DEP_3)
	v_fmac_f32_e32 v23, v70, v12
	v_dual_fmac_f32 v21, v32, v12 :: v_dual_fmac_f32 v22, v71, v11
	s_delay_alu instid0(VALU_DEP_3) | instskip(NEXT) | instid1(VALU_DEP_3)
	v_dual_fmac_f32 v24, v33, v11 :: v_dual_and_b32 v37, 0xffff0000, v37
	v_dual_fmac_f32 v23, v72, v11 :: v_dual_and_b32 v12, 0xffff0000, v53
	s_delay_alu instid0(VALU_DEP_3)
	;; [unrolled: 14-line block ×4, first 2 shown]
	v_dual_fmac_f32 v21, v42, v11 :: v_dual_lshlrev_b32 v84, 16, v46
	v_and_b32_e32 v46, 0xffff0000, v46
	v_lshlrev_b32_e32 v11, 16, v50
	v_lshlrev_b32_e32 v82, 16, v44
	v_and_b32_e32 v44, 0xffff0000, v44
	v_fmac_f32_e32 v22, v81, v12
	v_fmac_f32_e32 v24, v43, v12
	v_lshlrev_b32_e32 v86, 16, v48
	v_fmac_f32_e32 v23, v82, v12
	v_fmac_f32_e32 v21, v44, v12
	v_and_b32_e32 v48, 0xffff0000, v48
	s_delay_alu instid0(VALU_DEP_3) | instskip(NEXT) | instid1(VALU_DEP_3)
	v_dual_fmac_f32 v23, v84, v11 :: v_dual_and_b32 v12, 0xffff0000, v50
	v_fmac_f32_e32 v21, v46, v11
	v_fmac_f32_e32 v22, v83, v11
	s_delay_alu instid0(VALU_DEP_3) | instskip(NEXT) | instid1(VALU_DEP_3)
	v_dual_fmac_f32 v24, v45, v11 :: v_dual_fmac_f32 v23, v86, v12
	v_fmac_f32_e32 v21, v48, v12
	s_delay_alu instid0(VALU_DEP_3) | instskip(NEXT) | instid1(VALU_DEP_3)
	v_fmac_f32_e32 v22, v85, v12
	v_fmac_f32_e32 v24, v47, v12
	s_and_not1_b32 exec_lo, exec_lo, s6
	s_cbranch_execnz .LBB116_35
; %bb.36:
	s_or_b32 exec_lo, exec_lo, s6
.LBB116_37:
	s_delay_alu instid0(SALU_CYCLE_1)
	s_or_b32 exec_lo, exec_lo, s2
.LBB116_38:
	s_delay_alu instid0(SALU_CYCLE_1)
	s_or_b32 exec_lo, exec_lo, s3
.LBB116_39:
	v_mbcnt_lo_u32_b32 v0, -1, 0
	s_mov_b32 s2, -1
	s_delay_alu instid0(VALU_DEP_1) | instskip(SKIP_2) | instid1(VALU_DEP_3)
	v_xor_b32_e32 v1, 4, v0
	v_xor_b32_e32 v8, 2, v0
	;; [unrolled: 1-line block ×3, first 2 shown]
	v_cmp_gt_i32_e32 vcc_lo, 32, v1
	v_cndmask_b32_e32 v1, v0, v1, vcc_lo
	s_delay_alu instid0(VALU_DEP_4) | instskip(SKIP_2) | instid1(VALU_DEP_2)
	v_cmp_gt_i32_e32 vcc_lo, 32, v8
	v_cndmask_b32_e32 v8, v0, v8, vcc_lo
	v_cmp_gt_i32_e32 vcc_lo, 32, v12
	v_lshlrev_b32_e32 v8, 2, v8
	v_dual_cndmask_b32 v0, v0, v12 :: v_dual_lshlrev_b32 v1, 2, v1
	v_cmp_eq_u32_e32 vcc_lo, 7, v2
	ds_bpermute_b32 v6, v1, v24
	v_lshlrev_b32_e32 v12, 2, v0
	s_waitcnt lgkmcnt(0)
	v_add_f32_e32 v6, v24, v6
	ds_bpermute_b32 v5, v1, v22
	ds_bpermute_b32 v7, v1, v23
	;; [unrolled: 1-line block ×4, first 2 shown]
	s_waitcnt lgkmcnt(3)
	v_add_f32_e32 v5, v22, v5
	s_waitcnt lgkmcnt(2)
	v_add_f32_e32 v7, v23, v7
	;; [unrolled: 2-line block ×3, first 2 shown]
	ds_bpermute_b32 v1, v8, v5
	ds_bpermute_b32 v11, v8, v7
	;; [unrolled: 1-line block ×3, first 2 shown]
	s_waitcnt lgkmcnt(2)
	v_dual_add_f32 v0, v5, v1 :: v_dual_add_f32 v1, v6, v10
	s_waitcnt lgkmcnt(0)
	v_dual_add_f32 v5, v7, v11 :: v_dual_add_f32 v6, v9, v8
	ds_bpermute_b32 v7, v12, v0
	ds_bpermute_b32 v8, v12, v1
	;; [unrolled: 1-line block ×4, first 2 shown]
	s_and_b32 exec_lo, exec_lo, vcc_lo
	s_cbranch_execz .LBB116_10
; %bb.40:
	s_load_b64 s[0:1], s[0:1], 0x58
	s_waitcnt lgkmcnt(0)
	v_dual_add_f32 v0, v0, v7 :: v_dual_add_f32 v1, v1, v8
	v_add_f32_e32 v6, v6, v10
	v_cmp_eq_f32_e64 s3, s12, 0
	s_delay_alu instid0(VALU_DEP_3) | instskip(SKIP_4) | instid1(VALU_DEP_3)
	v_dual_mul_f32 v0, s16, v0 :: v_dual_mul_f32 v1, s16, v1
	v_add_f32_e32 v2, v5, v9
	v_lshlrev_b64 v[4:5], 4, v[3:4]
	v_mul_f32_e32 v3, s16, v6
	s_and_b32 vcc_lo, exec_lo, s3
	v_mul_f32_e32 v2, s16, v2
	s_cbranch_vccz .LBB116_42
; %bb.41:
	s_delay_alu instid0(VALU_DEP_3)
	v_add_co_u32 v6, vcc_lo, s0, v4
	v_add_co_ci_u32_e32 v7, vcc_lo, s1, v5, vcc_lo
	s_mov_b32 s2, 0
	global_store_b128 v[6:7], v[0:3], off
.LBB116_42:
	s_and_not1_b32 vcc_lo, exec_lo, s2
	s_cbranch_vccnz .LBB116_10
; %bb.43:
	v_add_co_u32 v8, vcc_lo, s0, v4
	v_add_co_ci_u32_e32 v9, vcc_lo, s1, v5, vcc_lo
	global_load_b128 v[4:7], v[8:9], off
	s_waitcnt vmcnt(0)
	v_dual_fmac_f32 v0, s12, v4 :: v_dual_fmac_f32 v1, s12, v5
	v_dual_fmac_f32 v2, s12, v6 :: v_dual_fmac_f32 v3, s12, v7
	global_store_b128 v[8:9], v[0:3], off
	s_nop 0
	s_sendmsg sendmsg(MSG_DEALLOC_VGPRS)
	s_endpgm
	.section	.rodata,"a",@progbits
	.p2align	6, 0x0
	.amdhsa_kernel _ZN9rocsparseL18bsrxmvn_4x4_kernelILj128ELj8Efll18rocsparse_bfloat16S1_fEEvT3_20rocsparse_direction_NS_24const_host_device_scalarIT1_EES2_PKS2_PKT2_SB_S8_PKT4_PKT5_S6_PT6_21rocsparse_index_base_b
		.amdhsa_group_segment_fixed_size 0
		.amdhsa_private_segment_fixed_size 0
		.amdhsa_kernarg_size 104
		.amdhsa_user_sgpr_count 15
		.amdhsa_user_sgpr_dispatch_ptr 0
		.amdhsa_user_sgpr_queue_ptr 0
		.amdhsa_user_sgpr_kernarg_segment_ptr 1
		.amdhsa_user_sgpr_dispatch_id 0
		.amdhsa_user_sgpr_private_segment_size 0
		.amdhsa_wavefront_size32 1
		.amdhsa_uses_dynamic_stack 0
		.amdhsa_enable_private_segment 0
		.amdhsa_system_sgpr_workgroup_id_x 1
		.amdhsa_system_sgpr_workgroup_id_y 0
		.amdhsa_system_sgpr_workgroup_id_z 0
		.amdhsa_system_sgpr_workgroup_info 0
		.amdhsa_system_vgpr_workitem_id 0
		.amdhsa_next_free_vgpr 94
		.amdhsa_next_free_sgpr 22
		.amdhsa_reserve_vcc 1
		.amdhsa_float_round_mode_32 0
		.amdhsa_float_round_mode_16_64 0
		.amdhsa_float_denorm_mode_32 3
		.amdhsa_float_denorm_mode_16_64 3
		.amdhsa_dx10_clamp 1
		.amdhsa_ieee_mode 1
		.amdhsa_fp16_overflow 0
		.amdhsa_workgroup_processor_mode 1
		.amdhsa_memory_ordered 1
		.amdhsa_forward_progress 0
		.amdhsa_shared_vgpr_count 0
		.amdhsa_exception_fp_ieee_invalid_op 0
		.amdhsa_exception_fp_denorm_src 0
		.amdhsa_exception_fp_ieee_div_zero 0
		.amdhsa_exception_fp_ieee_overflow 0
		.amdhsa_exception_fp_ieee_underflow 0
		.amdhsa_exception_fp_ieee_inexact 0
		.amdhsa_exception_int_div_zero 0
	.end_amdhsa_kernel
	.section	.text._ZN9rocsparseL18bsrxmvn_4x4_kernelILj128ELj8Efll18rocsparse_bfloat16S1_fEEvT3_20rocsparse_direction_NS_24const_host_device_scalarIT1_EES2_PKS2_PKT2_SB_S8_PKT4_PKT5_S6_PT6_21rocsparse_index_base_b,"axG",@progbits,_ZN9rocsparseL18bsrxmvn_4x4_kernelILj128ELj8Efll18rocsparse_bfloat16S1_fEEvT3_20rocsparse_direction_NS_24const_host_device_scalarIT1_EES2_PKS2_PKT2_SB_S8_PKT4_PKT5_S6_PT6_21rocsparse_index_base_b,comdat
.Lfunc_end116:
	.size	_ZN9rocsparseL18bsrxmvn_4x4_kernelILj128ELj8Efll18rocsparse_bfloat16S1_fEEvT3_20rocsparse_direction_NS_24const_host_device_scalarIT1_EES2_PKS2_PKT2_SB_S8_PKT4_PKT5_S6_PT6_21rocsparse_index_base_b, .Lfunc_end116-_ZN9rocsparseL18bsrxmvn_4x4_kernelILj128ELj8Efll18rocsparse_bfloat16S1_fEEvT3_20rocsparse_direction_NS_24const_host_device_scalarIT1_EES2_PKS2_PKT2_SB_S8_PKT4_PKT5_S6_PT6_21rocsparse_index_base_b
                                        ; -- End function
	.section	.AMDGPU.csdata,"",@progbits
; Kernel info:
; codeLenInByte = 4732
; NumSgprs: 24
; NumVgprs: 94
; ScratchSize: 0
; MemoryBound: 0
; FloatMode: 240
; IeeeMode: 1
; LDSByteSize: 0 bytes/workgroup (compile time only)
; SGPRBlocks: 2
; VGPRBlocks: 11
; NumSGPRsForWavesPerEU: 24
; NumVGPRsForWavesPerEU: 94
; Occupancy: 16
; WaveLimiterHint : 1
; COMPUTE_PGM_RSRC2:SCRATCH_EN: 0
; COMPUTE_PGM_RSRC2:USER_SGPR: 15
; COMPUTE_PGM_RSRC2:TRAP_HANDLER: 0
; COMPUTE_PGM_RSRC2:TGID_X_EN: 1
; COMPUTE_PGM_RSRC2:TGID_Y_EN: 0
; COMPUTE_PGM_RSRC2:TGID_Z_EN: 0
; COMPUTE_PGM_RSRC2:TIDIG_COMP_CNT: 0
	.section	.text._ZN9rocsparseL18bsrxmvn_4x4_kernelILj128ELj16Efll18rocsparse_bfloat16S1_fEEvT3_20rocsparse_direction_NS_24const_host_device_scalarIT1_EES2_PKS2_PKT2_SB_S8_PKT4_PKT5_S6_PT6_21rocsparse_index_base_b,"axG",@progbits,_ZN9rocsparseL18bsrxmvn_4x4_kernelILj128ELj16Efll18rocsparse_bfloat16S1_fEEvT3_20rocsparse_direction_NS_24const_host_device_scalarIT1_EES2_PKS2_PKT2_SB_S8_PKT4_PKT5_S6_PT6_21rocsparse_index_base_b,comdat
	.globl	_ZN9rocsparseL18bsrxmvn_4x4_kernelILj128ELj16Efll18rocsparse_bfloat16S1_fEEvT3_20rocsparse_direction_NS_24const_host_device_scalarIT1_EES2_PKS2_PKT2_SB_S8_PKT4_PKT5_S6_PT6_21rocsparse_index_base_b ; -- Begin function _ZN9rocsparseL18bsrxmvn_4x4_kernelILj128ELj16Efll18rocsparse_bfloat16S1_fEEvT3_20rocsparse_direction_NS_24const_host_device_scalarIT1_EES2_PKS2_PKT2_SB_S8_PKT4_PKT5_S6_PT6_21rocsparse_index_base_b
	.p2align	8
	.type	_ZN9rocsparseL18bsrxmvn_4x4_kernelILj128ELj16Efll18rocsparse_bfloat16S1_fEEvT3_20rocsparse_direction_NS_24const_host_device_scalarIT1_EES2_PKS2_PKT2_SB_S8_PKT4_PKT5_S6_PT6_21rocsparse_index_base_b,@function
_ZN9rocsparseL18bsrxmvn_4x4_kernelILj128ELj16Efll18rocsparse_bfloat16S1_fEEvT3_20rocsparse_direction_NS_24const_host_device_scalarIT1_EES2_PKS2_PKT2_SB_S8_PKT4_PKT5_S6_PT6_21rocsparse_index_base_b: ; @_ZN9rocsparseL18bsrxmvn_4x4_kernelILj128ELj16Efll18rocsparse_bfloat16S1_fEEvT3_20rocsparse_direction_NS_24const_host_device_scalarIT1_EES2_PKS2_PKT2_SB_S8_PKT4_PKT5_S6_PT6_21rocsparse_index_base_b
; %bb.0:
	s_clause 0x2
	s_load_b64 s[20:21], s[0:1], 0x60
	s_load_b128 s[16:19], s[0:1], 0x10
	s_load_b64 s[12:13], s[0:1], 0x50
	s_waitcnt lgkmcnt(0)
	s_bitcmp1_b32 s21, 0
	s_cselect_b32 s2, -1, 0
	s_delay_alu instid0(SALU_CYCLE_1)
	s_and_b32 vcc_lo, exec_lo, s2
	s_xor_b32 s2, s2, -1
	s_cbranch_vccnz .LBB117_2
; %bb.1:
	s_load_b32 s16, s[16:17], 0x0
.LBB117_2:
	s_and_not1_b32 vcc_lo, exec_lo, s2
	s_cbranch_vccnz .LBB117_4
; %bb.3:
	s_load_b32 s12, s[12:13], 0x0
.LBB117_4:
	s_waitcnt lgkmcnt(0)
	v_cmp_neq_f32_e64 s2, s16, 0
	v_cmp_neq_f32_e64 s3, s12, 1.0
	s_mov_b32 s4, 0
	s_delay_alu instid0(VALU_DEP_1) | instskip(NEXT) | instid1(SALU_CYCLE_1)
	s_or_b32 s2, s2, s3
	s_and_not1_b32 vcc_lo, exec_lo, s2
	s_cbranch_vccnz .LBB117_10
; %bb.5:
	s_load_b64 s[2:3], s[0:1], 0x20
	v_lshrrev_b32_e32 v1, 4, v0
	v_mov_b32_e32 v2, 0
	s_delay_alu instid0(VALU_DEP_2)
	v_lshl_or_b32 v1, s15, 3, v1
	s_waitcnt lgkmcnt(0)
	s_cmp_lg_u64 s[2:3], 0
	s_cbranch_scc0 .LBB117_11
; %bb.6:
	s_mov_b32 s5, 0
	s_mov_b32 s6, exec_lo
                                        ; implicit-def: $vgpr3_vgpr4
	v_cmpx_gt_i64_e64 s[18:19], v[1:2]
	s_xor_b32 s6, exec_lo, s6
                                        ; implicit-def: $sgpr14_sgpr15
	s_cbranch_execz .LBB117_8
; %bb.7:
	v_lshlrev_b64 v[3:4], 3, v[1:2]
	s_mov_b32 s4, exec_lo
	s_mov_b32 s15, 0
	s_delay_alu instid0(VALU_DEP_1) | instskip(NEXT) | instid1(VALU_DEP_2)
	v_add_co_u32 v3, vcc_lo, s2, v3
	v_add_co_ci_u32_e32 v4, vcc_lo, s3, v4, vcc_lo
	global_load_b64 v[3:4], v[3:4], off
	s_waitcnt vmcnt(0)
	v_sub_co_u32 v3, vcc_lo, v3, s20
	v_subrev_co_ci_u32_e32 v4, vcc_lo, 0, v4, vcc_lo
.LBB117_8:
	s_or_b32 exec_lo, exec_lo, s6
	s_delay_alu instid0(SALU_CYCLE_1)
	s_and_b32 vcc_lo, exec_lo, s5
	s_cbranch_vccnz .LBB117_12
.LBB117_9:
	s_and_saveexec_b32 s2, s4
	s_cbranch_execnz .LBB117_15
.LBB117_10:
	s_nop 0
	s_sendmsg sendmsg(MSG_DEALLOC_VGPRS)
	s_endpgm
.LBB117_11:
                                        ; implicit-def: $vgpr3_vgpr4
                                        ; implicit-def: $sgpr14_sgpr15
	s_cbranch_execz .LBB117_9
.LBB117_12:
	s_load_b64 s[2:3], s[0:1], 0x0
                                        ; implicit-def: $vgpr3_vgpr4
	s_waitcnt lgkmcnt(0)
	v_cmp_gt_i64_e32 vcc_lo, s[2:3], v[1:2]
	s_and_saveexec_b32 s2, vcc_lo
                                        ; implicit-def: $sgpr14_sgpr15
; %bb.13:
	v_dual_mov_b32 v4, v2 :: v_dual_mov_b32 v3, v1
	s_mov_b32 s15, 0
	s_or_b32 s4, s4, exec_lo
; %bb.14:
	s_or_b32 exec_lo, exec_lo, s2
	s_and_saveexec_b32 s2, s4
	s_cbranch_execz .LBB117_10
.LBB117_15:
	s_load_b256 s[4:11], s[0:1], 0x28
	v_lshlrev_b64 v[1:2], 3, v[3:4]
	s_load_b32 s3, s[0:1], 0x8
	v_mov_b32_e32 v21, 0
	s_waitcnt lgkmcnt(0)
	s_delay_alu instid0(VALU_DEP_2) | instskip(NEXT) | instid1(VALU_DEP_3)
	v_add_co_u32 v5, vcc_lo, s4, v1
	v_add_co_ci_u32_e32 v6, vcc_lo, s5, v2, vcc_lo
	v_add_co_u32 v1, vcc_lo, s6, v1
	v_add_co_ci_u32_e32 v2, vcc_lo, s7, v2, vcc_lo
	s_delay_alu instid0(VALU_DEP_4)
	v_add_co_u32 v7, vcc_lo, v5, 8
	global_load_b64 v[9:10], v[5:6], off
	v_add_co_ci_u32_e32 v8, vcc_lo, 0, v6, vcc_lo
	s_cmp_eq_u64 s[6:7], 0
	s_load_b64 s[4:5], s[0:1], 0x48
	s_cselect_b32 vcc_lo, -1, 0
	s_cmp_eq_u32 s3, 1
	v_dual_cndmask_b32 v2, v2, v8 :: v_dual_cndmask_b32 v1, v1, v7
	global_load_b64 v[5:6], v[1:2], off
	v_and_b32_e32 v2, 15, v0
	s_waitcnt vmcnt(1)
	v_sub_co_u32 v0, vcc_lo, v9, s20
	v_subrev_co_ci_u32_e32 v1, vcc_lo, s15, v10, vcc_lo
	s_delay_alu instid0(VALU_DEP_2) | instskip(NEXT) | instid1(VALU_DEP_2)
	v_add_co_u32 v0, vcc_lo, v0, v2
	v_add_co_ci_u32_e32 v1, vcc_lo, 0, v1, vcc_lo
	s_delay_alu instid0(VALU_DEP_1) | instskip(SKIP_3) | instid1(VALU_DEP_3)
	v_lshlrev_b64 v[7:8], 5, v[0:1]
	s_waitcnt vmcnt(0)
	v_sub_co_u32 v5, vcc_lo, v5, s20
	v_subrev_co_ci_u32_e32 v6, vcc_lo, s15, v6, vcc_lo
	v_add_co_u32 v7, vcc_lo, s10, v7
	s_delay_alu instid0(VALU_DEP_2)
	v_cmp_lt_i64_e64 s2, v[0:1], v[5:6]
	v_add_co_ci_u32_e32 v8, vcc_lo, s11, v8, vcc_lo
	s_cbranch_scc1 .LBB117_27
; %bb.16:
	v_dual_mov_b32 v23, 0 :: v_dual_mov_b32 v24, 0
	v_mov_b32_e32 v22, 0
	s_mov_b32 s6, 0
	s_and_saveexec_b32 s7, s2
	s_cbranch_execz .LBB117_26
; %bb.17:
	v_or_b32_e32 v11, 16, v2
	v_not_b32_e32 v14, v9
	v_not_b32_e32 v13, v10
	v_mov_b32_e32 v23, 0
	v_mov_b32_e32 v21, 0
	v_sub_co_u32 v11, s3, v11, s20
	s_delay_alu instid0(VALU_DEP_1) | instskip(SKIP_1) | instid1(VALU_DEP_3)
	v_sub_co_ci_u32_e64 v12, null, 0, s15, s3
	v_sub_co_u32 v15, s3, s20, v2
	v_add_co_u32 v11, vcc_lo, v11, v9
	s_delay_alu instid0(VALU_DEP_3) | instskip(SKIP_2) | instid1(VALU_DEP_2)
	v_add_co_ci_u32_e32 v12, vcc_lo, v12, v10, vcc_lo
	v_sub_co_ci_u32_e64 v16, null, s15, 0, s3
	s_mov_b32 s3, exec_lo
	v_cmp_gt_i64_e32 vcc_lo, v[11:12], v[5:6]
	v_mov_b32_e32 v22, 0
	v_mov_b32_e32 v24, 0
	v_dual_cndmask_b32 v12, v6, v12 :: v_dual_cndmask_b32 v11, v5, v11
	v_add_co_u32 v14, vcc_lo, v15, v14
	v_add_co_ci_u32_e32 v13, vcc_lo, v16, v13, vcc_lo
	s_delay_alu instid0(VALU_DEP_2) | instskip(NEXT) | instid1(VALU_DEP_2)
	v_add_co_u32 v15, vcc_lo, v14, v11
	v_add_co_ci_u32_e32 v16, vcc_lo, v13, v12, vcc_lo
	v_mov_b32_e32 v14, v8
	s_delay_alu instid0(VALU_DEP_3) | instskip(SKIP_1) | instid1(VALU_DEP_2)
	v_lshrrev_b32_e32 v11, 4, v15
	v_mov_b32_e32 v13, v7
	v_add_nc_u32_e32 v11, 1, v11
	s_delay_alu instid0(VALU_DEP_1) | instskip(SKIP_1) | instid1(VALU_DEP_2)
	v_dual_mov_b32 v12, v1 :: v_dual_and_b32 v17, 3, v11
	v_mov_b32_e32 v11, v0
	v_cmpx_ne_u32_e32 0, v17
	s_cbranch_execz .LBB117_21
; %bb.18:
	v_lshlrev_b64 v[11:12], 3, v[0:1]
	v_dual_mov_b32 v18, 0 :: v_dual_lshlrev_b32 v17, 2, v17
	v_dual_mov_b32 v14, v8 :: v_dual_mov_b32 v13, v7
	s_mov_b32 s10, 0
	s_delay_alu instid0(VALU_DEP_3) | instskip(NEXT) | instid1(VALU_DEP_4)
	v_add_co_u32 v19, vcc_lo, s8, v11
	v_add_co_ci_u32_e32 v20, vcc_lo, s9, v12, vcc_lo
	v_dual_mov_b32 v12, v1 :: v_dual_mov_b32 v11, v0
	v_mov_b32_e32 v21, v18
	v_mov_b32_e32 v23, v18
	;; [unrolled: 1-line block ×4, first 2 shown]
.LBB117_19:                             ; =>This Inner Loop Header: Depth=1
	global_load_b64 v[29:30], v[19:20], off
	global_load_b128 v[25:28], v[13:14], off
	s_waitcnt vmcnt(1)
	v_sub_co_u32 v29, vcc_lo, v29, s20
	v_subrev_co_ci_u32_e32 v30, vcc_lo, s15, v30, vcc_lo
	s_delay_alu instid0(VALU_DEP_1) | instskip(SKIP_1) | instid1(VALU_DEP_1)
	v_lshlrev_b64 v[29:30], 3, v[29:30]
	s_waitcnt lgkmcnt(0)
	v_add_co_u32 v33, vcc_lo, s4, v29
	s_delay_alu instid0(VALU_DEP_2)
	v_add_co_ci_u32_e32 v34, vcc_lo, s5, v30, vcc_lo
	global_load_b128 v[29:32], v[13:14], off offset:16
	global_load_b64 v[33:34], v[33:34], off
	v_add_co_u32 v13, vcc_lo, 0x200, v13
	v_add_co_ci_u32_e32 v14, vcc_lo, 0, v14, vcc_lo
	v_add_co_u32 v11, vcc_lo, v11, 16
	v_add_co_ci_u32_e32 v12, vcc_lo, 0, v12, vcc_lo
	;; [unrolled: 2-line block ×3, first 2 shown]
	v_add_co_u32 v17, vcc_lo, v17, -4
	v_add_co_ci_u32_e32 v18, vcc_lo, -1, v18, vcc_lo
	s_delay_alu instid0(VALU_DEP_1)
	v_cmp_eq_u64_e32 vcc_lo, 0, v[17:18]
	s_or_b32 s10, vcc_lo, s10
	s_waitcnt vmcnt(0)
	v_lshlrev_b32_e32 v43, 16, v33
	v_and_b32_e32 v33, 0xffff0000, v33
	v_lshlrev_b32_e32 v37, 16, v27
	s_delay_alu instid0(VALU_DEP_1) | instskip(NEXT) | instid1(VALU_DEP_1)
	v_dual_fmac_f32 v24, v37, v43 :: v_dual_lshlrev_b32 v35, 16, v25
	v_dual_fmac_f32 v22, v35, v43 :: v_dual_and_b32 v25, 0xffff0000, v25
	v_lshlrev_b32_e32 v41, 16, v31
	s_delay_alu instid0(VALU_DEP_2) | instskip(SKIP_2) | instid1(VALU_DEP_4)
	v_dual_fmac_f32 v22, v25, v33 :: v_dual_lshlrev_b32 v35, 16, v34
	v_lshlrev_b32_e32 v39, 16, v29
	v_lshlrev_b32_e32 v36, 16, v26
	v_dual_fmac_f32 v21, v41, v43 :: v_dual_and_b32 v26, 0xffff0000, v26
	v_and_b32_e32 v25, 0xffff0000, v34
	s_delay_alu instid0(VALU_DEP_4) | instskip(NEXT) | instid1(VALU_DEP_4)
	v_fmac_f32_e32 v23, v39, v43
	v_fmac_f32_e32 v22, v36, v35
	v_and_b32_e32 v27, 0xffff0000, v27
	v_lshlrev_b32_e32 v42, 16, v32
	v_and_b32_e32 v32, 0xffff0000, v32
	s_delay_alu instid0(VALU_DEP_4) | instskip(NEXT) | instid1(VALU_DEP_4)
	v_fmac_f32_e32 v22, v26, v25
	v_fmac_f32_e32 v24, v27, v33
	v_and_b32_e32 v29, 0xffff0000, v29
	s_delay_alu instid0(VALU_DEP_1) | instskip(NEXT) | instid1(VALU_DEP_1)
	v_dual_fmac_f32 v23, v29, v33 :: v_dual_lshlrev_b32 v38, 16, v28
	v_fmac_f32_e32 v24, v38, v35
	v_and_b32_e32 v31, 0xffff0000, v31
	s_delay_alu instid0(VALU_DEP_1) | instskip(SKIP_1) | instid1(VALU_DEP_2)
	v_dual_fmac_f32 v21, v31, v33 :: v_dual_and_b32 v28, 0xffff0000, v28
	v_lshlrev_b32_e32 v40, 16, v30
	v_dual_fmac_f32 v24, v28, v25 :: v_dual_fmac_f32 v21, v42, v35
	s_delay_alu instid0(VALU_DEP_2) | instskip(NEXT) | instid1(VALU_DEP_2)
	v_dual_fmac_f32 v23, v40, v35 :: v_dual_and_b32 v30, 0xffff0000, v30
	v_fmac_f32_e32 v21, v32, v25
	s_delay_alu instid0(VALU_DEP_2)
	v_fmac_f32_e32 v23, v30, v25
	s_and_not1_b32 exec_lo, exec_lo, s10
	s_cbranch_execnz .LBB117_19
; %bb.20:
	s_or_b32 exec_lo, exec_lo, s10
.LBB117_21:
	s_delay_alu instid0(SALU_CYCLE_1) | instskip(NEXT) | instid1(SALU_CYCLE_1)
	s_or_b32 exec_lo, exec_lo, s3
	s_mov_b32 s10, exec_lo
	v_cmpx_lt_u64_e32 47, v[15:16]
	s_cbranch_execz .LBB117_25
; %bb.22:
	v_lshlrev_b64 v[15:16], 3, v[11:12]
	s_mov_b32 s11, 0
	s_delay_alu instid0(VALU_DEP_1) | instskip(NEXT) | instid1(VALU_DEP_2)
	v_add_co_u32 v15, vcc_lo, v15, s8
	v_add_co_ci_u32_e32 v16, vcc_lo, s9, v16, vcc_lo
	s_delay_alu instid0(VALU_DEP_2) | instskip(NEXT) | instid1(VALU_DEP_2)
	v_add_co_u32 v15, vcc_lo, 0x100, v15
	v_add_co_ci_u32_e32 v16, vcc_lo, 0, v16, vcc_lo
.LBB117_23:                             ; =>This Inner Loop Header: Depth=1
	s_clause 0x3
	global_load_b64 v[53:54], v[15:16], off offset:-256
	global_load_b64 v[55:56], v[15:16], off offset:-128
	global_load_b64 v[57:58], v[15:16], off
	global_load_b64 v[59:60], v[15:16], off offset:128
	s_clause 0x7
	global_load_b128 v[17:20], v[13:14], off
	global_load_b128 v[25:28], v[13:14], off offset:16
	global_load_b128 v[29:32], v[13:14], off offset:512
	;; [unrolled: 1-line block ×7, first 2 shown]
	s_waitcnt vmcnt(11)
	v_sub_co_u32 v53, vcc_lo, v53, s20
	v_subrev_co_ci_u32_e32 v54, vcc_lo, s15, v54, vcc_lo
	s_waitcnt vmcnt(10)
	v_sub_co_u32 v55, vcc_lo, v55, s20
	v_subrev_co_ci_u32_e32 v56, vcc_lo, s15, v56, vcc_lo
	s_delay_alu instid0(VALU_DEP_3) | instskip(SKIP_2) | instid1(VALU_DEP_3)
	v_lshlrev_b64 v[53:54], 3, v[53:54]
	s_waitcnt vmcnt(1)
	v_lshlrev_b32_e32 v85, 16, v45
	v_lshlrev_b64 v[55:56], 3, v[55:56]
	v_lshlrev_b32_e32 v77, 16, v37
	v_lshlrev_b32_e32 v69, 16, v29
	s_waitcnt lgkmcnt(0)
	v_add_co_u32 v53, vcc_lo, s4, v53
	v_add_co_ci_u32_e32 v54, vcc_lo, s5, v54, vcc_lo
	v_sub_co_u32 v57, vcc_lo, v57, s20
	v_subrev_co_ci_u32_e32 v58, vcc_lo, s15, v58, vcc_lo
	global_load_b64 v[53:54], v[53:54], off
	v_add_co_u32 v55, vcc_lo, s4, v55
	v_add_co_ci_u32_e32 v56, vcc_lo, s5, v56, vcc_lo
	v_lshlrev_b64 v[57:58], 3, v[57:58]
	v_sub_co_u32 v59, vcc_lo, v59, s20
	global_load_b64 v[55:56], v[55:56], off
	v_subrev_co_ci_u32_e32 v60, vcc_lo, s15, v60, vcc_lo
	v_add_co_u32 v57, s3, s4, v57
	s_delay_alu instid0(VALU_DEP_1) | instskip(NEXT) | instid1(VALU_DEP_3)
	v_add_co_ci_u32_e64 v58, s3, s5, v58, s3
	v_lshlrev_b64 v[59:60], 3, v[59:60]
	v_and_b32_e32 v45, 0xffff0000, v45
	s_waitcnt vmcnt(2)
	v_lshlrev_b32_e32 v89, 16, v49
	global_load_b64 v[57:58], v[57:58], off
	v_lshlrev_b32_e32 v88, 16, v48
	v_and_b32_e32 v49, 0xffff0000, v49
	v_add_co_u32 v59, vcc_lo, s4, v59
	v_add_co_ci_u32_e32 v60, vcc_lo, s5, v60, vcc_lo
	v_lshlrev_b32_e32 v86, 16, v46
	v_lshlrev_b32_e32 v81, 16, v41
	;; [unrolled: 1-line block ×3, first 2 shown]
	global_load_b64 v[59:60], v[59:60], off
	v_and_b32_e32 v41, 0xffff0000, v41
	v_lshlrev_b32_e32 v78, 16, v38
	v_lshlrev_b32_e32 v73, 16, v33
	v_and_b32_e32 v33, 0xffff0000, v33
	v_lshlrev_b32_e32 v72, 16, v32
	v_add_co_u32 v13, vcc_lo, 0x800, v13
	v_add_co_ci_u32_e32 v14, vcc_lo, 0, v14, vcc_lo
	v_add_co_u32 v11, vcc_lo, v11, 64
	v_add_co_ci_u32_e32 v12, vcc_lo, 0, v12, vcc_lo
	;; [unrolled: 2-line block ×3, first 2 shown]
	s_delay_alu instid0(VALU_DEP_3)
	v_cmp_ge_i64_e32 vcc_lo, v[11:12], v[5:6]
	s_or_b32 s11, vcc_lo, s11
	s_waitcnt vmcnt(3)
	v_lshlrev_b32_e32 v93, 16, v53
	v_lshlrev_b32_e32 v63, 16, v19
	v_and_b32_e32 v19, 0xffff0000, v19
	v_and_b32_e32 v53, 0xffff0000, v53
	s_delay_alu instid0(VALU_DEP_3) | instskip(SKIP_1) | instid1(VALU_DEP_1)
	v_dual_fmac_f32 v24, v63, v93 :: v_dual_lshlrev_b32 v71, 16, v31
	s_waitcnt vmcnt(2)
	v_dual_fmac_f32 v24, v19, v53 :: v_dual_lshlrev_b32 v19, 16, v55
	v_lshlrev_b32_e32 v61, 16, v17
	v_and_b32_e32 v17, 0xffff0000, v17
	s_delay_alu instid0(VALU_DEP_2) | instskip(NEXT) | instid1(VALU_DEP_1)
	v_dual_fmac_f32 v22, v61, v93 :: v_dual_lshlrev_b32 v67, 16, v27
	v_dual_fmac_f32 v22, v17, v53 :: v_dual_lshlrev_b32 v61, 16, v54
	v_and_b32_e32 v17, 0xffff0000, v54
	v_lshlrev_b32_e32 v70, 16, v30
	v_lshlrev_b32_e32 v65, 16, v25
	;; [unrolled: 1-line block ×3, first 2 shown]
	v_dual_fmac_f32 v21, v67, v93 :: v_dual_and_b32 v18, 0xffff0000, v18
	s_delay_alu instid0(VALU_DEP_3) | instskip(NEXT) | instid1(VALU_DEP_3)
	v_dual_fmac_f32 v23, v65, v93 :: v_dual_lshlrev_b32 v68, 16, v28
	v_dual_fmac_f32 v22, v62, v61 :: v_dual_and_b32 v27, 0xffff0000, v27
	v_lshlrev_b32_e32 v75, 16, v35
	s_delay_alu instid0(VALU_DEP_2) | instskip(NEXT) | instid1(VALU_DEP_3)
	v_fmac_f32_e32 v21, v27, v53
	v_fmac_f32_e32 v22, v18, v17
	v_lshlrev_b32_e32 v18, 16, v56
	v_and_b32_e32 v25, 0xffff0000, v25
	v_lshlrev_b32_e32 v64, 16, v20
	v_and_b32_e32 v20, 0xffff0000, v20
	v_dual_fmac_f32 v21, v68, v61 :: v_dual_lshlrev_b32 v66, 16, v26
	s_delay_alu instid0(VALU_DEP_4) | instskip(NEXT) | instid1(VALU_DEP_4)
	v_dual_fmac_f32 v23, v25, v53 :: v_dual_and_b32 v26, 0xffff0000, v26
	v_dual_fmac_f32 v24, v64, v61 :: v_dual_and_b32 v31, 0xffff0000, v31
	v_and_b32_e32 v35, 0xffff0000, v35
	s_delay_alu instid0(VALU_DEP_3) | instskip(NEXT) | instid1(VALU_DEP_3)
	v_dual_fmac_f32 v23, v66, v61 :: v_dual_fmac_f32 v22, v69, v19
	v_fmac_f32_e32 v24, v20, v17
	s_delay_alu instid0(VALU_DEP_2) | instskip(NEXT) | instid1(VALU_DEP_2)
	v_dual_fmac_f32 v23, v26, v17 :: v_dual_and_b32 v28, 0xffff0000, v28
	v_fmac_f32_e32 v24, v71, v19
	s_delay_alu instid0(VALU_DEP_2) | instskip(NEXT) | instid1(VALU_DEP_3)
	v_fmac_f32_e32 v23, v73, v19
	v_dual_fmac_f32 v21, v28, v17 :: v_dual_and_b32 v30, 0xffff0000, v30
	v_and_b32_e32 v17, 0xffff0000, v55
	v_lshlrev_b32_e32 v79, 16, v39
	v_and_b32_e32 v29, 0xffff0000, v29
	s_delay_alu instid0(VALU_DEP_4) | instskip(NEXT) | instid1(VALU_DEP_4)
	v_dual_fmac_f32 v21, v75, v19 :: v_dual_and_b32 v32, 0xffff0000, v32
	v_dual_fmac_f32 v24, v31, v17 :: v_dual_and_b32 v39, 0xffff0000, v39
	s_delay_alu instid0(VALU_DEP_3) | instskip(SKIP_1) | instid1(VALU_DEP_4)
	v_fmac_f32_e32 v22, v29, v17
	v_fmac_f32_e32 v23, v33, v17
	;; [unrolled: 1-line block ×3, first 2 shown]
	v_and_b32_e32 v17, 0xffff0000, v56
	v_lshlrev_b32_e32 v74, 16, v34
	v_lshlrev_b32_e32 v76, 16, v36
	v_fmac_f32_e32 v22, v70, v18
	v_dual_fmac_f32 v24, v72, v18 :: v_dual_lshlrev_b32 v83, 16, v43
	s_delay_alu instid0(VALU_DEP_4) | instskip(NEXT) | instid1(VALU_DEP_4)
	v_dual_fmac_f32 v23, v74, v18 :: v_dual_and_b32 v36, 0xffff0000, v36
	v_fmac_f32_e32 v21, v76, v18
	v_and_b32_e32 v34, 0xffff0000, v34
	s_delay_alu instid0(VALU_DEP_4)
	v_dual_fmac_f32 v24, v32, v17 :: v_dual_and_b32 v43, 0xffff0000, v43
	s_waitcnt vmcnt(1)
	v_lshlrev_b32_e32 v18, 16, v57
	v_fmac_f32_e32 v22, v30, v17
	v_fmac_f32_e32 v21, v36, v17
	v_dual_fmac_f32 v23, v34, v17 :: v_dual_and_b32 v40, 0xffff0000, v40
	s_delay_alu instid0(VALU_DEP_3) | instskip(NEXT) | instid1(VALU_DEP_3)
	v_dual_fmac_f32 v22, v77, v18 :: v_dual_and_b32 v17, 0xffff0000, v57
	v_fmac_f32_e32 v21, v83, v18
	v_lshlrev_b32_e32 v87, 16, v47
	v_dual_fmac_f32 v24, v79, v18 :: v_dual_and_b32 v37, 0xffff0000, v37
	v_fmac_f32_e32 v23, v81, v18
	s_delay_alu instid0(VALU_DEP_4) | instskip(NEXT) | instid1(VALU_DEP_3)
	v_dual_fmac_f32 v21, v43, v17 :: v_dual_and_b32 v38, 0xffff0000, v38
	v_dual_fmac_f32 v24, v39, v17 :: v_dual_and_b32 v47, 0xffff0000, v47
	v_lshlrev_b32_e32 v18, 16, v58
	v_fmac_f32_e32 v22, v37, v17
	v_fmac_f32_e32 v23, v41, v17
	v_and_b32_e32 v17, 0xffff0000, v58
	v_lshlrev_b32_e32 v82, 16, v42
	v_lshlrev_b32_e32 v84, 16, v44
	v_fmac_f32_e32 v22, v78, v18
	v_dual_fmac_f32 v24, v80, v18 :: v_dual_lshlrev_b32 v91, 16, v51
	s_delay_alu instid0(VALU_DEP_4) | instskip(NEXT) | instid1(VALU_DEP_4)
	v_dual_fmac_f32 v23, v82, v18 :: v_dual_and_b32 v44, 0xffff0000, v44
	v_fmac_f32_e32 v21, v84, v18
	v_and_b32_e32 v42, 0xffff0000, v42
	s_delay_alu instid0(VALU_DEP_4)
	v_dual_fmac_f32 v24, v40, v17 :: v_dual_and_b32 v51, 0xffff0000, v51
	s_waitcnt vmcnt(0)
	v_lshlrev_b32_e32 v18, 16, v59
	v_fmac_f32_e32 v22, v38, v17
	v_fmac_f32_e32 v21, v44, v17
	v_dual_fmac_f32 v23, v42, v17 :: v_dual_and_b32 v48, 0xffff0000, v48
	s_delay_alu instid0(VALU_DEP_3) | instskip(NEXT) | instid1(VALU_DEP_3)
	v_dual_fmac_f32 v22, v85, v18 :: v_dual_and_b32 v17, 0xffff0000, v59
	v_fmac_f32_e32 v21, v91, v18
	v_fmac_f32_e32 v24, v87, v18
	s_delay_alu instid0(VALU_DEP_4) | instskip(SKIP_1) | instid1(VALU_DEP_4)
	v_fmac_f32_e32 v23, v89, v18
	v_and_b32_e32 v46, 0xffff0000, v46
	v_dual_fmac_f32 v21, v51, v17 :: v_dual_lshlrev_b32 v18, 16, v60
	v_fmac_f32_e32 v22, v45, v17
	v_fmac_f32_e32 v24, v47, v17
	;; [unrolled: 1-line block ×3, first 2 shown]
	v_and_b32_e32 v17, 0xffff0000, v60
	v_lshlrev_b32_e32 v90, 16, v50
	v_lshlrev_b32_e32 v92, 16, v52
	v_fmac_f32_e32 v22, v86, v18
	v_fmac_f32_e32 v24, v88, v18
	s_delay_alu instid0(VALU_DEP_4) | instskip(NEXT) | instid1(VALU_DEP_4)
	v_dual_fmac_f32 v23, v90, v18 :: v_dual_and_b32 v52, 0xffff0000, v52
	v_fmac_f32_e32 v21, v92, v18
	v_and_b32_e32 v50, 0xffff0000, v50
	v_fmac_f32_e32 v22, v46, v17
	v_fmac_f32_e32 v24, v48, v17
	s_delay_alu instid0(VALU_DEP_4) | instskip(NEXT) | instid1(VALU_DEP_4)
	v_fmac_f32_e32 v21, v52, v17
	v_fmac_f32_e32 v23, v50, v17
	s_and_not1_b32 exec_lo, exec_lo, s11
	s_cbranch_execnz .LBB117_23
; %bb.24:
	s_or_b32 exec_lo, exec_lo, s11
.LBB117_25:
	s_delay_alu instid0(SALU_CYCLE_1)
	s_or_b32 exec_lo, exec_lo, s10
.LBB117_26:
	s_delay_alu instid0(SALU_CYCLE_1) | instskip(NEXT) | instid1(SALU_CYCLE_1)
	s_or_b32 exec_lo, exec_lo, s7
	s_and_not1_b32 vcc_lo, exec_lo, s6
	s_cbranch_vccz .LBB117_28
	s_branch .LBB117_39
.LBB117_27:
                                        ; implicit-def: $vgpr21
                                        ; implicit-def: $vgpr23
                                        ; implicit-def: $vgpr24
                                        ; implicit-def: $vgpr22
.LBB117_28:
	v_dual_mov_b32 v21, 0 :: v_dual_mov_b32 v24, 0
	v_dual_mov_b32 v23, 0 :: v_dual_mov_b32 v22, 0
	s_delay_alu instid0(VALU_DEP_4)
	s_and_saveexec_b32 s3, s2
	s_cbranch_execz .LBB117_38
; %bb.29:
	v_or_b32_e32 v11, 16, v2
	v_mov_b32_e32 v23, 0
	v_dual_mov_b32 v21, 0 :: v_dual_mov_b32 v22, 0
	v_mov_b32_e32 v24, 0
	s_delay_alu instid0(VALU_DEP_4) | instskip(NEXT) | instid1(VALU_DEP_1)
	v_sub_co_u32 v11, s2, v11, s20
	v_sub_co_ci_u32_e64 v12, null, 0, s15, s2
	v_sub_co_u32 v13, s2, s20, v2
	s_delay_alu instid0(VALU_DEP_3) | instskip(NEXT) | instid1(VALU_DEP_3)
	v_add_co_u32 v11, vcc_lo, v11, v9
	v_add_co_ci_u32_e32 v12, vcc_lo, v12, v10, vcc_lo
	v_not_b32_e32 v9, v9
	v_not_b32_e32 v10, v10
	v_sub_co_ci_u32_e64 v14, null, s15, 0, s2
	s_delay_alu instid0(VALU_DEP_4) | instskip(SKIP_4) | instid1(VALU_DEP_2)
	v_cmp_gt_i64_e32 vcc_lo, v[11:12], v[5:6]
	s_mov_b32 s2, exec_lo
	v_dual_cndmask_b32 v12, v6, v12 :: v_dual_cndmask_b32 v11, v5, v11
	v_add_co_u32 v9, vcc_lo, v13, v9
	v_add_co_ci_u32_e32 v10, vcc_lo, v14, v10, vcc_lo
	v_add_co_u32 v9, vcc_lo, v9, v11
	s_delay_alu instid0(VALU_DEP_2) | instskip(NEXT) | instid1(VALU_DEP_2)
	v_add_co_ci_u32_e32 v10, vcc_lo, v10, v12, vcc_lo
	v_lshrrev_b32_e32 v11, 4, v9
	s_delay_alu instid0(VALU_DEP_1) | instskip(NEXT) | instid1(VALU_DEP_1)
	v_add_nc_u32_e32 v11, 1, v11
	v_and_b32_e32 v11, 3, v11
	s_delay_alu instid0(VALU_DEP_1)
	v_cmpx_ne_u32_e32 0, v11
	s_cbranch_execz .LBB117_33
; %bb.30:
	v_lshlrev_b64 v[13:14], 3, v[0:1]
	v_dual_mov_b32 v12, 0 :: v_dual_lshlrev_b32 v11, 2, v11
	s_mov_b32 s6, 0
	s_delay_alu instid0(VALU_DEP_1) | instskip(NEXT) | instid1(VALU_DEP_3)
	v_mov_b32_e32 v21, v12
	v_add_co_u32 v13, vcc_lo, s8, v13
	s_delay_alu instid0(VALU_DEP_4)
	v_add_co_ci_u32_e32 v14, vcc_lo, s9, v14, vcc_lo
	v_mov_b32_e32 v23, v12
	v_mov_b32_e32 v24, v12
	;; [unrolled: 1-line block ×3, first 2 shown]
.LBB117_31:                             ; =>This Inner Loop Header: Depth=1
	global_load_b64 v[19:20], v[13:14], off
	global_load_b128 v[15:18], v[7:8], off
	s_waitcnt vmcnt(1)
	v_sub_co_u32 v19, vcc_lo, v19, s20
	v_subrev_co_ci_u32_e32 v20, vcc_lo, s15, v20, vcc_lo
	s_delay_alu instid0(VALU_DEP_1) | instskip(SKIP_1) | instid1(VALU_DEP_1)
	v_lshlrev_b64 v[19:20], 3, v[19:20]
	s_waitcnt lgkmcnt(0)
	v_add_co_u32 v19, vcc_lo, s4, v19
	s_delay_alu instid0(VALU_DEP_2)
	v_add_co_ci_u32_e32 v20, vcc_lo, s5, v20, vcc_lo
	global_load_b64 v[19:20], v[19:20], off
	global_load_b128 v[25:28], v[7:8], off offset:16
	v_add_co_u32 v7, vcc_lo, 0x200, v7
	v_add_co_ci_u32_e32 v8, vcc_lo, 0, v8, vcc_lo
	v_add_co_u32 v0, vcc_lo, v0, 16
	v_add_co_ci_u32_e32 v1, vcc_lo, 0, v1, vcc_lo
	;; [unrolled: 2-line block ×3, first 2 shown]
	v_add_co_u32 v11, vcc_lo, v11, -4
	v_add_co_ci_u32_e32 v12, vcc_lo, -1, v12, vcc_lo
	s_delay_alu instid0(VALU_DEP_1)
	v_cmp_eq_u64_e32 vcc_lo, 0, v[11:12]
	s_or_b32 s6, vcc_lo, s6
	s_waitcnt vmcnt(1)
	v_lshlrev_b32_e32 v37, 16, v19
	v_lshlrev_b32_e32 v29, 16, v15
	v_and_b32_e32 v15, 0xffff0000, v15
	v_lshlrev_b32_e32 v30, 16, v16
	v_and_b32_e32 v16, 0xffff0000, v16
	v_and_b32_e32 v19, 0xffff0000, v19
	s_waitcnt vmcnt(0)
	v_lshlrev_b32_e32 v36, 16, v28
	v_fmac_f32_e32 v24, v15, v37
	v_lshlrev_b32_e32 v31, 16, v17
	v_fmac_f32_e32 v22, v29, v37
	v_and_b32_e32 v17, 0xffff0000, v17
	v_dual_fmac_f32 v21, v16, v37 :: v_dual_lshlrev_b32 v32, 16, v18
	v_dual_fmac_f32 v23, v30, v37 :: v_dual_and_b32 v18, 0xffff0000, v18
	s_delay_alu instid0(VALU_DEP_3) | instskip(SKIP_2) | instid1(VALU_DEP_4)
	v_dual_fmac_f32 v24, v17, v19 :: v_dual_lshlrev_b32 v15, 16, v20
	v_dual_fmac_f32 v22, v31, v19 :: v_dual_lshlrev_b32 v33, 16, v25
	v_and_b32_e32 v25, 0xffff0000, v25
	v_dual_fmac_f32 v21, v18, v19 :: v_dual_lshlrev_b32 v34, 16, v26
	v_dual_fmac_f32 v23, v32, v19 :: v_dual_and_b32 v26, 0xffff0000, v26
	v_and_b32_e32 v28, 0xffff0000, v28
	v_and_b32_e32 v16, 0xffff0000, v20
	v_fmac_f32_e32 v24, v25, v15
	v_lshlrev_b32_e32 v35, 16, v27
	v_fmac_f32_e32 v22, v33, v15
	v_and_b32_e32 v27, 0xffff0000, v27
	v_fmac_f32_e32 v21, v26, v15
	s_delay_alu instid0(VALU_DEP_2) | instskip(NEXT) | instid1(VALU_DEP_4)
	v_dual_fmac_f32 v23, v34, v15 :: v_dual_fmac_f32 v24, v27, v16
	v_fmac_f32_e32 v22, v35, v16
	s_delay_alu instid0(VALU_DEP_2) | instskip(NEXT) | instid1(VALU_DEP_4)
	v_fmac_f32_e32 v23, v36, v16
	v_fmac_f32_e32 v21, v28, v16
	s_and_not1_b32 exec_lo, exec_lo, s6
	s_cbranch_execnz .LBB117_31
; %bb.32:
	s_or_b32 exec_lo, exec_lo, s6
.LBB117_33:
	s_delay_alu instid0(SALU_CYCLE_1) | instskip(NEXT) | instid1(SALU_CYCLE_1)
	s_or_b32 exec_lo, exec_lo, s2
	s_mov_b32 s2, exec_lo
	v_cmpx_lt_u64_e32 47, v[9:10]
	s_cbranch_execz .LBB117_37
; %bb.34:
	v_lshlrev_b64 v[9:10], 3, v[0:1]
	s_mov_b32 s6, 0
	s_delay_alu instid0(VALU_DEP_1) | instskip(NEXT) | instid1(VALU_DEP_2)
	v_add_co_u32 v9, vcc_lo, v9, s8
	v_add_co_ci_u32_e32 v10, vcc_lo, s9, v10, vcc_lo
	s_delay_alu instid0(VALU_DEP_2) | instskip(NEXT) | instid1(VALU_DEP_2)
	v_add_co_u32 v9, vcc_lo, 0x100, v9
	v_add_co_ci_u32_e32 v10, vcc_lo, 0, v10, vcc_lo
.LBB117_35:                             ; =>This Inner Loop Header: Depth=1
	s_clause 0x3
	global_load_b64 v[19:20], v[9:10], off offset:-256
	global_load_b64 v[45:46], v[9:10], off offset:-128
	global_load_b64 v[47:48], v[9:10], off
	global_load_b64 v[49:50], v[9:10], off offset:128
	s_clause 0x6
	global_load_b128 v[11:14], v[7:8], off
	global_load_b128 v[15:18], v[7:8], off offset:16
	global_load_b128 v[25:28], v[7:8], off offset:512
	;; [unrolled: 1-line block ×6, first 2 shown]
	s_waitcnt vmcnt(10)
	v_sub_co_u32 v19, vcc_lo, v19, s20
	v_subrev_co_ci_u32_e32 v20, vcc_lo, s15, v20, vcc_lo
	s_waitcnt vmcnt(9)
	v_sub_co_u32 v45, vcc_lo, v45, s20
	v_subrev_co_ci_u32_e32 v46, vcc_lo, s15, v46, vcc_lo
	s_waitcnt vmcnt(8)
	v_sub_co_u32 v47, vcc_lo, v47, s20
	v_lshlrev_b64 v[19:20], 3, v[19:20]
	v_subrev_co_ci_u32_e32 v48, vcc_lo, s15, v48, vcc_lo
	s_waitcnt vmcnt(7)
	v_sub_co_u32 v49, vcc_lo, v49, s20
	v_lshlrev_b64 v[45:46], 3, v[45:46]
	v_subrev_co_ci_u32_e32 v50, vcc_lo, s15, v50, vcc_lo
	v_lshlrev_b64 v[47:48], 3, v[47:48]
	s_waitcnt lgkmcnt(0)
	v_add_co_u32 v19, vcc_lo, s4, v19
	v_add_co_ci_u32_e32 v20, vcc_lo, s5, v20, vcc_lo
	v_lshlrev_b64 v[49:50], 3, v[49:50]
	v_add_co_u32 v45, vcc_lo, s4, v45
	v_add_co_ci_u32_e32 v46, vcc_lo, s5, v46, vcc_lo
	v_add_co_u32 v47, vcc_lo, s4, v47
	v_add_co_ci_u32_e32 v48, vcc_lo, s5, v48, vcc_lo
	;; [unrolled: 2-line block ×3, first 2 shown]
	s_clause 0x3
	global_load_b64 v[19:20], v[19:20], off
	global_load_b64 v[51:52], v[45:46], off
	;; [unrolled: 1-line block ×4, first 2 shown]
	global_load_b128 v[45:48], v[7:8], off offset:1552
	v_add_co_u32 v7, vcc_lo, 0x800, v7
	v_add_co_ci_u32_e32 v8, vcc_lo, 0, v8, vcc_lo
	v_add_co_u32 v0, vcc_lo, v0, 64
	v_add_co_ci_u32_e32 v1, vcc_lo, 0, v1, vcc_lo
	;; [unrolled: 2-line block ×3, first 2 shown]
	s_delay_alu instid0(VALU_DEP_3)
	v_cmp_ge_i64_e32 vcc_lo, v[0:1], v[5:6]
	s_or_b32 s6, vcc_lo, s6
	s_waitcnt vmcnt(4)
	v_lshlrev_b32_e32 v87, 16, v19
	v_lshlrev_b32_e32 v56, 16, v12
	v_and_b32_e32 v12, 0xffff0000, v12
	v_and_b32_e32 v19, 0xffff0000, v19
	v_lshlrev_b32_e32 v61, 16, v17
	v_and_b32_e32 v17, 0xffff0000, v17
	s_waitcnt vmcnt(0)
	v_lshlrev_b32_e32 v85, 16, v47
	v_dual_fmac_f32 v21, v12, v87 :: v_dual_and_b32 v12, 0xffff0000, v20
	v_lshlrev_b32_e32 v55, 16, v11
	v_and_b32_e32 v11, 0xffff0000, v11
	v_lshlrev_b32_e32 v57, 16, v13
	v_and_b32_e32 v13, 0xffff0000, v13
	v_lshlrev_b32_e32 v58, 16, v14
	v_fmac_f32_e32 v22, v55, v87
	v_fmac_f32_e32 v24, v11, v87
	v_dual_fmac_f32 v23, v56, v87 :: v_dual_and_b32 v14, 0xffff0000, v14
	v_lshlrev_b32_e32 v81, 16, v43
	v_lshlrev_b32_e32 v77, 16, v39
	;; [unrolled: 1-line block ×6, first 2 shown]
	v_and_b32_e32 v47, 0xffff0000, v47
	v_and_b32_e32 v43, 0xffff0000, v43
	;; [unrolled: 1-line block ×7, first 2 shown]
	v_dual_fmac_f32 v22, v57, v19 :: v_dual_lshlrev_b32 v11, 16, v20
	v_fmac_f32_e32 v24, v13, v19
	v_dual_fmac_f32 v21, v14, v19 :: v_dual_lshlrev_b32 v60, 16, v16
	v_dual_fmac_f32 v23, v58, v19 :: v_dual_and_b32 v16, 0xffff0000, v16
	s_delay_alu instid0(VALU_DEP_4) | instskip(NEXT) | instid1(VALU_DEP_4)
	v_dual_fmac_f32 v22, v59, v11 :: v_dual_lshlrev_b32 v63, 16, v25
	v_dual_fmac_f32 v24, v15, v11 :: v_dual_and_b32 v25, 0xffff0000, v25
	s_delay_alu instid0(VALU_DEP_3) | instskip(NEXT) | instid1(VALU_DEP_4)
	v_dual_fmac_f32 v21, v16, v11 :: v_dual_lshlrev_b32 v62, 16, v18
	v_dual_fmac_f32 v23, v60, v11 :: v_dual_and_b32 v18, 0xffff0000, v18
	s_delay_alu instid0(VALU_DEP_4) | instskip(NEXT) | instid1(VALU_DEP_4)
	v_dual_fmac_f32 v22, v61, v12 :: v_dual_lshlrev_b32 v11, 16, v51
	v_dual_fmac_f32 v24, v17, v12 :: v_dual_lshlrev_b32 v67, 16, v29
	s_delay_alu instid0(VALU_DEP_3) | instskip(NEXT) | instid1(VALU_DEP_4)
	v_dual_fmac_f32 v21, v18, v12 :: v_dual_lshlrev_b32 v64, 16, v26
	v_dual_fmac_f32 v23, v62, v12 :: v_dual_and_b32 v26, 0xffff0000, v26
	s_delay_alu instid0(VALU_DEP_3) | instskip(SKIP_2) | instid1(VALU_DEP_4)
	v_dual_fmac_f32 v24, v25, v11 :: v_dual_and_b32 v29, 0xffff0000, v29
	v_and_b32_e32 v12, 0xffff0000, v51
	v_fmac_f32_e32 v22, v63, v11
	v_fmac_f32_e32 v21, v26, v11
	v_dual_fmac_f32 v23, v64, v11 :: v_dual_lshlrev_b32 v68, 16, v30
	v_and_b32_e32 v30, 0xffff0000, v30
	v_lshlrev_b32_e32 v11, 16, v52
	v_lshlrev_b32_e32 v66, 16, v28
	v_and_b32_e32 v28, 0xffff0000, v28
	v_fmac_f32_e32 v22, v65, v12
	v_dual_fmac_f32 v24, v27, v12 :: v_dual_lshlrev_b32 v71, 16, v33
	s_delay_alu instid0(VALU_DEP_4) | instskip(NEXT) | instid1(VALU_DEP_3)
	v_fmac_f32_e32 v23, v66, v12
	v_dual_fmac_f32 v21, v28, v12 :: v_dual_fmac_f32 v22, v67, v11
	s_delay_alu instid0(VALU_DEP_3) | instskip(NEXT) | instid1(VALU_DEP_3)
	v_dual_fmac_f32 v24, v29, v11 :: v_dual_and_b32 v33, 0xffff0000, v33
	v_dual_fmac_f32 v23, v68, v11 :: v_dual_and_b32 v12, 0xffff0000, v52
	s_delay_alu instid0(VALU_DEP_3)
	v_dual_fmac_f32 v21, v30, v11 :: v_dual_lshlrev_b32 v72, 16, v34
	v_and_b32_e32 v34, 0xffff0000, v34
	v_lshlrev_b32_e32 v11, 16, v53
	v_lshlrev_b32_e32 v70, 16, v32
	v_and_b32_e32 v32, 0xffff0000, v32
	v_fmac_f32_e32 v22, v69, v12
	v_dual_fmac_f32 v24, v31, v12 :: v_dual_lshlrev_b32 v75, 16, v37
	s_delay_alu instid0(VALU_DEP_4) | instskip(NEXT) | instid1(VALU_DEP_3)
	v_fmac_f32_e32 v23, v70, v12
	v_dual_fmac_f32 v21, v32, v12 :: v_dual_fmac_f32 v22, v71, v11
	s_delay_alu instid0(VALU_DEP_3) | instskip(NEXT) | instid1(VALU_DEP_3)
	v_dual_fmac_f32 v24, v33, v11 :: v_dual_and_b32 v37, 0xffff0000, v37
	v_dual_fmac_f32 v23, v72, v11 :: v_dual_and_b32 v12, 0xffff0000, v53
	s_delay_alu instid0(VALU_DEP_3)
	;; [unrolled: 14-line block ×4, first 2 shown]
	v_dual_fmac_f32 v21, v42, v11 :: v_dual_lshlrev_b32 v84, 16, v46
	v_and_b32_e32 v46, 0xffff0000, v46
	v_lshlrev_b32_e32 v11, 16, v50
	v_lshlrev_b32_e32 v82, 16, v44
	v_and_b32_e32 v44, 0xffff0000, v44
	v_fmac_f32_e32 v22, v81, v12
	v_fmac_f32_e32 v24, v43, v12
	v_lshlrev_b32_e32 v86, 16, v48
	v_fmac_f32_e32 v23, v82, v12
	v_fmac_f32_e32 v21, v44, v12
	v_and_b32_e32 v48, 0xffff0000, v48
	s_delay_alu instid0(VALU_DEP_3) | instskip(NEXT) | instid1(VALU_DEP_3)
	v_dual_fmac_f32 v23, v84, v11 :: v_dual_and_b32 v12, 0xffff0000, v50
	v_fmac_f32_e32 v21, v46, v11
	v_fmac_f32_e32 v22, v83, v11
	s_delay_alu instid0(VALU_DEP_3) | instskip(NEXT) | instid1(VALU_DEP_3)
	v_dual_fmac_f32 v24, v45, v11 :: v_dual_fmac_f32 v23, v86, v12
	v_fmac_f32_e32 v21, v48, v12
	s_delay_alu instid0(VALU_DEP_3) | instskip(NEXT) | instid1(VALU_DEP_3)
	v_fmac_f32_e32 v22, v85, v12
	v_fmac_f32_e32 v24, v47, v12
	s_and_not1_b32 exec_lo, exec_lo, s6
	s_cbranch_execnz .LBB117_35
; %bb.36:
	s_or_b32 exec_lo, exec_lo, s6
.LBB117_37:
	s_delay_alu instid0(SALU_CYCLE_1)
	s_or_b32 exec_lo, exec_lo, s2
.LBB117_38:
	s_delay_alu instid0(SALU_CYCLE_1)
	s_or_b32 exec_lo, exec_lo, s3
.LBB117_39:
	v_mbcnt_lo_u32_b32 v0, -1, 0
	s_mov_b32 s2, -1
	s_delay_alu instid0(VALU_DEP_1) | instskip(SKIP_2) | instid1(VALU_DEP_3)
	v_xor_b32_e32 v1, 8, v0
	v_xor_b32_e32 v8, 4, v0
	;; [unrolled: 1-line block ×3, first 2 shown]
	v_cmp_gt_i32_e32 vcc_lo, 32, v1
	v_cndmask_b32_e32 v1, v0, v1, vcc_lo
	s_delay_alu instid0(VALU_DEP_4) | instskip(SKIP_2) | instid1(VALU_DEP_2)
	v_cmp_gt_i32_e32 vcc_lo, 32, v8
	v_cndmask_b32_e32 v8, v0, v8, vcc_lo
	v_cmp_gt_i32_e32 vcc_lo, 32, v12
	v_lshlrev_b32_e32 v8, 2, v8
	v_dual_cndmask_b32 v12, v0, v12 :: v_dual_lshlrev_b32 v1, 2, v1
	ds_bpermute_b32 v6, v1, v24
	v_lshlrev_b32_e32 v12, 2, v12
	s_waitcnt lgkmcnt(0)
	v_add_f32_e32 v6, v24, v6
	ds_bpermute_b32 v5, v1, v22
	ds_bpermute_b32 v7, v1, v23
	;; [unrolled: 1-line block ×4, first 2 shown]
	s_waitcnt lgkmcnt(3)
	v_add_f32_e32 v5, v22, v5
	s_waitcnt lgkmcnt(2)
	v_add_f32_e32 v7, v23, v7
	s_waitcnt lgkmcnt(0)
	v_dual_add_f32 v1, v21, v1 :: v_dual_add_f32 v6, v6, v10
	ds_bpermute_b32 v9, v8, v5
	ds_bpermute_b32 v11, v8, v7
	ds_bpermute_b32 v8, v8, v1
	s_waitcnt lgkmcnt(2)
	v_add_f32_e32 v5, v5, v9
	s_waitcnt lgkmcnt(0)
	v_dual_add_f32 v7, v7, v11 :: v_dual_add_f32 v8, v1, v8
	ds_bpermute_b32 v9, v12, v6
	ds_bpermute_b32 v1, v12, v5
	ds_bpermute_b32 v10, v12, v7
	ds_bpermute_b32 v11, v12, v8
	v_xor_b32_e32 v12, 1, v0
	s_delay_alu instid0(VALU_DEP_1) | instskip(SKIP_2) | instid1(VALU_DEP_2)
	v_cmp_gt_i32_e32 vcc_lo, 32, v12
	v_cndmask_b32_e32 v0, v0, v12, vcc_lo
	v_cmp_eq_u32_e32 vcc_lo, 15, v2
	v_lshlrev_b32_e32 v12, 2, v0
	s_waitcnt lgkmcnt(1)
	v_dual_add_f32 v0, v5, v1 :: v_dual_add_f32 v5, v7, v10
	s_waitcnt lgkmcnt(0)
	v_dual_add_f32 v1, v6, v9 :: v_dual_add_f32 v6, v8, v11
	ds_bpermute_b32 v7, v12, v0
	ds_bpermute_b32 v9, v12, v5
	;; [unrolled: 1-line block ×4, first 2 shown]
	s_and_b32 exec_lo, exec_lo, vcc_lo
	s_cbranch_execz .LBB117_10
; %bb.40:
	s_load_b64 s[0:1], s[0:1], 0x58
	s_waitcnt lgkmcnt(0)
	v_dual_add_f32 v0, v0, v7 :: v_dual_add_f32 v1, v1, v8
	v_add_f32_e32 v6, v6, v10
	v_cmp_eq_f32_e64 s3, s12, 0
	s_delay_alu instid0(VALU_DEP_3) | instskip(SKIP_4) | instid1(VALU_DEP_3)
	v_dual_mul_f32 v0, s16, v0 :: v_dual_mul_f32 v1, s16, v1
	v_add_f32_e32 v2, v5, v9
	v_lshlrev_b64 v[4:5], 4, v[3:4]
	v_mul_f32_e32 v3, s16, v6
	s_and_b32 vcc_lo, exec_lo, s3
	v_mul_f32_e32 v2, s16, v2
	s_cbranch_vccz .LBB117_42
; %bb.41:
	s_delay_alu instid0(VALU_DEP_3)
	v_add_co_u32 v6, vcc_lo, s0, v4
	v_add_co_ci_u32_e32 v7, vcc_lo, s1, v5, vcc_lo
	s_mov_b32 s2, 0
	global_store_b128 v[6:7], v[0:3], off
.LBB117_42:
	s_and_not1_b32 vcc_lo, exec_lo, s2
	s_cbranch_vccnz .LBB117_10
; %bb.43:
	v_add_co_u32 v8, vcc_lo, s0, v4
	v_add_co_ci_u32_e32 v9, vcc_lo, s1, v5, vcc_lo
	global_load_b128 v[4:7], v[8:9], off
	s_waitcnt vmcnt(0)
	v_dual_fmac_f32 v0, s12, v4 :: v_dual_fmac_f32 v1, s12, v5
	v_dual_fmac_f32 v2, s12, v6 :: v_dual_fmac_f32 v3, s12, v7
	global_store_b128 v[8:9], v[0:3], off
	s_nop 0
	s_sendmsg sendmsg(MSG_DEALLOC_VGPRS)
	s_endpgm
	.section	.rodata,"a",@progbits
	.p2align	6, 0x0
	.amdhsa_kernel _ZN9rocsparseL18bsrxmvn_4x4_kernelILj128ELj16Efll18rocsparse_bfloat16S1_fEEvT3_20rocsparse_direction_NS_24const_host_device_scalarIT1_EES2_PKS2_PKT2_SB_S8_PKT4_PKT5_S6_PT6_21rocsparse_index_base_b
		.amdhsa_group_segment_fixed_size 0
		.amdhsa_private_segment_fixed_size 0
		.amdhsa_kernarg_size 104
		.amdhsa_user_sgpr_count 15
		.amdhsa_user_sgpr_dispatch_ptr 0
		.amdhsa_user_sgpr_queue_ptr 0
		.amdhsa_user_sgpr_kernarg_segment_ptr 1
		.amdhsa_user_sgpr_dispatch_id 0
		.amdhsa_user_sgpr_private_segment_size 0
		.amdhsa_wavefront_size32 1
		.amdhsa_uses_dynamic_stack 0
		.amdhsa_enable_private_segment 0
		.amdhsa_system_sgpr_workgroup_id_x 1
		.amdhsa_system_sgpr_workgroup_id_y 0
		.amdhsa_system_sgpr_workgroup_id_z 0
		.amdhsa_system_sgpr_workgroup_info 0
		.amdhsa_system_vgpr_workitem_id 0
		.amdhsa_next_free_vgpr 94
		.amdhsa_next_free_sgpr 22
		.amdhsa_reserve_vcc 1
		.amdhsa_float_round_mode_32 0
		.amdhsa_float_round_mode_16_64 0
		.amdhsa_float_denorm_mode_32 3
		.amdhsa_float_denorm_mode_16_64 3
		.amdhsa_dx10_clamp 1
		.amdhsa_ieee_mode 1
		.amdhsa_fp16_overflow 0
		.amdhsa_workgroup_processor_mode 1
		.amdhsa_memory_ordered 1
		.amdhsa_forward_progress 0
		.amdhsa_shared_vgpr_count 0
		.amdhsa_exception_fp_ieee_invalid_op 0
		.amdhsa_exception_fp_denorm_src 0
		.amdhsa_exception_fp_ieee_div_zero 0
		.amdhsa_exception_fp_ieee_overflow 0
		.amdhsa_exception_fp_ieee_underflow 0
		.amdhsa_exception_fp_ieee_inexact 0
		.amdhsa_exception_int_div_zero 0
	.end_amdhsa_kernel
	.section	.text._ZN9rocsparseL18bsrxmvn_4x4_kernelILj128ELj16Efll18rocsparse_bfloat16S1_fEEvT3_20rocsparse_direction_NS_24const_host_device_scalarIT1_EES2_PKS2_PKT2_SB_S8_PKT4_PKT5_S6_PT6_21rocsparse_index_base_b,"axG",@progbits,_ZN9rocsparseL18bsrxmvn_4x4_kernelILj128ELj16Efll18rocsparse_bfloat16S1_fEEvT3_20rocsparse_direction_NS_24const_host_device_scalarIT1_EES2_PKS2_PKT2_SB_S8_PKT4_PKT5_S6_PT6_21rocsparse_index_base_b,comdat
.Lfunc_end117:
	.size	_ZN9rocsparseL18bsrxmvn_4x4_kernelILj128ELj16Efll18rocsparse_bfloat16S1_fEEvT3_20rocsparse_direction_NS_24const_host_device_scalarIT1_EES2_PKS2_PKT2_SB_S8_PKT4_PKT5_S6_PT6_21rocsparse_index_base_b, .Lfunc_end117-_ZN9rocsparseL18bsrxmvn_4x4_kernelILj128ELj16Efll18rocsparse_bfloat16S1_fEEvT3_20rocsparse_direction_NS_24const_host_device_scalarIT1_EES2_PKS2_PKT2_SB_S8_PKT4_PKT5_S6_PT6_21rocsparse_index_base_b
                                        ; -- End function
	.section	.AMDGPU.csdata,"",@progbits
; Kernel info:
; codeLenInByte = 4816
; NumSgprs: 24
; NumVgprs: 94
; ScratchSize: 0
; MemoryBound: 0
; FloatMode: 240
; IeeeMode: 1
; LDSByteSize: 0 bytes/workgroup (compile time only)
; SGPRBlocks: 2
; VGPRBlocks: 11
; NumSGPRsForWavesPerEU: 24
; NumVGPRsForWavesPerEU: 94
; Occupancy: 16
; WaveLimiterHint : 1
; COMPUTE_PGM_RSRC2:SCRATCH_EN: 0
; COMPUTE_PGM_RSRC2:USER_SGPR: 15
; COMPUTE_PGM_RSRC2:TRAP_HANDLER: 0
; COMPUTE_PGM_RSRC2:TGID_X_EN: 1
; COMPUTE_PGM_RSRC2:TGID_Y_EN: 0
; COMPUTE_PGM_RSRC2:TGID_Z_EN: 0
; COMPUTE_PGM_RSRC2:TIDIG_COMP_CNT: 0
	.section	.text._ZN9rocsparseL18bsrxmvn_4x4_kernelILj128ELj32Efll18rocsparse_bfloat16S1_fEEvT3_20rocsparse_direction_NS_24const_host_device_scalarIT1_EES2_PKS2_PKT2_SB_S8_PKT4_PKT5_S6_PT6_21rocsparse_index_base_b,"axG",@progbits,_ZN9rocsparseL18bsrxmvn_4x4_kernelILj128ELj32Efll18rocsparse_bfloat16S1_fEEvT3_20rocsparse_direction_NS_24const_host_device_scalarIT1_EES2_PKS2_PKT2_SB_S8_PKT4_PKT5_S6_PT6_21rocsparse_index_base_b,comdat
	.globl	_ZN9rocsparseL18bsrxmvn_4x4_kernelILj128ELj32Efll18rocsparse_bfloat16S1_fEEvT3_20rocsparse_direction_NS_24const_host_device_scalarIT1_EES2_PKS2_PKT2_SB_S8_PKT4_PKT5_S6_PT6_21rocsparse_index_base_b ; -- Begin function _ZN9rocsparseL18bsrxmvn_4x4_kernelILj128ELj32Efll18rocsparse_bfloat16S1_fEEvT3_20rocsparse_direction_NS_24const_host_device_scalarIT1_EES2_PKS2_PKT2_SB_S8_PKT4_PKT5_S6_PT6_21rocsparse_index_base_b
	.p2align	8
	.type	_ZN9rocsparseL18bsrxmvn_4x4_kernelILj128ELj32Efll18rocsparse_bfloat16S1_fEEvT3_20rocsparse_direction_NS_24const_host_device_scalarIT1_EES2_PKS2_PKT2_SB_S8_PKT4_PKT5_S6_PT6_21rocsparse_index_base_b,@function
_ZN9rocsparseL18bsrxmvn_4x4_kernelILj128ELj32Efll18rocsparse_bfloat16S1_fEEvT3_20rocsparse_direction_NS_24const_host_device_scalarIT1_EES2_PKS2_PKT2_SB_S8_PKT4_PKT5_S6_PT6_21rocsparse_index_base_b: ; @_ZN9rocsparseL18bsrxmvn_4x4_kernelILj128ELj32Efll18rocsparse_bfloat16S1_fEEvT3_20rocsparse_direction_NS_24const_host_device_scalarIT1_EES2_PKS2_PKT2_SB_S8_PKT4_PKT5_S6_PT6_21rocsparse_index_base_b
; %bb.0:
	s_clause 0x2
	s_load_b64 s[20:21], s[0:1], 0x60
	s_load_b128 s[16:19], s[0:1], 0x10
	s_load_b64 s[12:13], s[0:1], 0x50
	s_waitcnt lgkmcnt(0)
	s_bitcmp1_b32 s21, 0
	s_cselect_b32 s2, -1, 0
	s_delay_alu instid0(SALU_CYCLE_1)
	s_and_b32 vcc_lo, exec_lo, s2
	s_xor_b32 s2, s2, -1
	s_cbranch_vccnz .LBB118_2
; %bb.1:
	s_load_b32 s16, s[16:17], 0x0
.LBB118_2:
	s_and_not1_b32 vcc_lo, exec_lo, s2
	s_cbranch_vccnz .LBB118_4
; %bb.3:
	s_load_b32 s12, s[12:13], 0x0
.LBB118_4:
	s_waitcnt lgkmcnt(0)
	v_cmp_neq_f32_e64 s2, s16, 0
	v_cmp_neq_f32_e64 s3, s12, 1.0
	s_mov_b32 s4, 0
	s_delay_alu instid0(VALU_DEP_1) | instskip(NEXT) | instid1(SALU_CYCLE_1)
	s_or_b32 s2, s2, s3
	s_and_not1_b32 vcc_lo, exec_lo, s2
	s_cbranch_vccnz .LBB118_10
; %bb.5:
	s_load_b64 s[2:3], s[0:1], 0x20
	v_lshrrev_b32_e32 v1, 5, v0
	v_mov_b32_e32 v2, 0
	s_delay_alu instid0(VALU_DEP_2)
	v_lshl_or_b32 v1, s15, 2, v1
	s_waitcnt lgkmcnt(0)
	s_cmp_lg_u64 s[2:3], 0
	s_cbranch_scc0 .LBB118_11
; %bb.6:
	s_mov_b32 s5, 0
	s_mov_b32 s6, exec_lo
                                        ; implicit-def: $vgpr3_vgpr4
	v_cmpx_gt_i64_e64 s[18:19], v[1:2]
	s_xor_b32 s6, exec_lo, s6
                                        ; implicit-def: $sgpr14_sgpr15
	s_cbranch_execz .LBB118_8
; %bb.7:
	v_lshlrev_b64 v[3:4], 3, v[1:2]
	s_mov_b32 s4, exec_lo
	s_mov_b32 s15, 0
	s_delay_alu instid0(VALU_DEP_1) | instskip(NEXT) | instid1(VALU_DEP_2)
	v_add_co_u32 v3, vcc_lo, s2, v3
	v_add_co_ci_u32_e32 v4, vcc_lo, s3, v4, vcc_lo
	global_load_b64 v[3:4], v[3:4], off
	s_waitcnt vmcnt(0)
	v_sub_co_u32 v3, vcc_lo, v3, s20
	v_subrev_co_ci_u32_e32 v4, vcc_lo, 0, v4, vcc_lo
.LBB118_8:
	s_or_b32 exec_lo, exec_lo, s6
	s_delay_alu instid0(SALU_CYCLE_1)
	s_and_b32 vcc_lo, exec_lo, s5
	s_cbranch_vccnz .LBB118_12
.LBB118_9:
	s_and_saveexec_b32 s2, s4
	s_cbranch_execnz .LBB118_15
.LBB118_10:
	s_nop 0
	s_sendmsg sendmsg(MSG_DEALLOC_VGPRS)
	s_endpgm
.LBB118_11:
                                        ; implicit-def: $vgpr3_vgpr4
                                        ; implicit-def: $sgpr14_sgpr15
	s_cbranch_execz .LBB118_9
.LBB118_12:
	s_load_b64 s[2:3], s[0:1], 0x0
                                        ; implicit-def: $vgpr3_vgpr4
	s_waitcnt lgkmcnt(0)
	v_cmp_gt_i64_e32 vcc_lo, s[2:3], v[1:2]
	s_and_saveexec_b32 s2, vcc_lo
                                        ; implicit-def: $sgpr14_sgpr15
; %bb.13:
	v_dual_mov_b32 v4, v2 :: v_dual_mov_b32 v3, v1
	s_mov_b32 s15, 0
	s_or_b32 s4, s4, exec_lo
; %bb.14:
	s_or_b32 exec_lo, exec_lo, s2
	s_and_saveexec_b32 s2, s4
	s_cbranch_execz .LBB118_10
.LBB118_15:
	s_load_b256 s[4:11], s[0:1], 0x28
	v_lshlrev_b64 v[1:2], 3, v[3:4]
	s_load_b32 s3, s[0:1], 0x8
	v_mov_b32_e32 v21, 0
	s_waitcnt lgkmcnt(0)
	s_delay_alu instid0(VALU_DEP_2) | instskip(NEXT) | instid1(VALU_DEP_3)
	v_add_co_u32 v5, vcc_lo, s4, v1
	v_add_co_ci_u32_e32 v6, vcc_lo, s5, v2, vcc_lo
	v_add_co_u32 v1, vcc_lo, s6, v1
	v_add_co_ci_u32_e32 v2, vcc_lo, s7, v2, vcc_lo
	s_delay_alu instid0(VALU_DEP_4)
	v_add_co_u32 v7, vcc_lo, v5, 8
	global_load_b64 v[9:10], v[5:6], off
	v_add_co_ci_u32_e32 v8, vcc_lo, 0, v6, vcc_lo
	s_cmp_eq_u64 s[6:7], 0
	s_load_b64 s[4:5], s[0:1], 0x48
	s_cselect_b32 vcc_lo, -1, 0
	s_cmp_eq_u32 s3, 1
	v_dual_cndmask_b32 v2, v2, v8 :: v_dual_cndmask_b32 v1, v1, v7
	global_load_b64 v[5:6], v[1:2], off
	v_and_b32_e32 v2, 31, v0
	s_waitcnt vmcnt(1)
	v_sub_co_u32 v0, vcc_lo, v9, s20
	v_subrev_co_ci_u32_e32 v1, vcc_lo, s15, v10, vcc_lo
	s_delay_alu instid0(VALU_DEP_2) | instskip(NEXT) | instid1(VALU_DEP_2)
	v_add_co_u32 v0, vcc_lo, v0, v2
	v_add_co_ci_u32_e32 v1, vcc_lo, 0, v1, vcc_lo
	s_delay_alu instid0(VALU_DEP_1) | instskip(SKIP_3) | instid1(VALU_DEP_3)
	v_lshlrev_b64 v[7:8], 5, v[0:1]
	s_waitcnt vmcnt(0)
	v_sub_co_u32 v5, vcc_lo, v5, s20
	v_subrev_co_ci_u32_e32 v6, vcc_lo, s15, v6, vcc_lo
	v_add_co_u32 v7, vcc_lo, s10, v7
	s_delay_alu instid0(VALU_DEP_2)
	v_cmp_lt_i64_e64 s2, v[0:1], v[5:6]
	v_add_co_ci_u32_e32 v8, vcc_lo, s11, v8, vcc_lo
	s_cbranch_scc1 .LBB118_27
; %bb.16:
	v_dual_mov_b32 v23, 0 :: v_dual_mov_b32 v24, 0
	v_mov_b32_e32 v22, 0
	s_mov_b32 s6, 0
	s_and_saveexec_b32 s7, s2
	s_cbranch_execz .LBB118_26
; %bb.17:
	v_or_b32_e32 v11, 32, v2
	v_not_b32_e32 v14, v9
	v_not_b32_e32 v13, v10
	v_mov_b32_e32 v23, 0
	v_mov_b32_e32 v21, 0
	v_sub_co_u32 v11, s3, v11, s20
	s_delay_alu instid0(VALU_DEP_1) | instskip(SKIP_1) | instid1(VALU_DEP_3)
	v_sub_co_ci_u32_e64 v12, null, 0, s15, s3
	v_sub_co_u32 v15, s3, s20, v2
	v_add_co_u32 v11, vcc_lo, v11, v9
	s_delay_alu instid0(VALU_DEP_3) | instskip(SKIP_2) | instid1(VALU_DEP_2)
	v_add_co_ci_u32_e32 v12, vcc_lo, v12, v10, vcc_lo
	v_sub_co_ci_u32_e64 v16, null, s15, 0, s3
	s_mov_b32 s3, exec_lo
	v_cmp_gt_i64_e32 vcc_lo, v[11:12], v[5:6]
	v_mov_b32_e32 v22, 0
	v_mov_b32_e32 v24, 0
	v_dual_cndmask_b32 v12, v6, v12 :: v_dual_cndmask_b32 v11, v5, v11
	v_add_co_u32 v14, vcc_lo, v15, v14
	v_add_co_ci_u32_e32 v13, vcc_lo, v16, v13, vcc_lo
	s_delay_alu instid0(VALU_DEP_2) | instskip(NEXT) | instid1(VALU_DEP_2)
	v_add_co_u32 v15, vcc_lo, v14, v11
	v_add_co_ci_u32_e32 v16, vcc_lo, v13, v12, vcc_lo
	v_mov_b32_e32 v14, v8
	s_delay_alu instid0(VALU_DEP_3) | instskip(SKIP_1) | instid1(VALU_DEP_2)
	v_lshrrev_b32_e32 v11, 5, v15
	v_mov_b32_e32 v13, v7
	v_add_nc_u32_e32 v11, 1, v11
	s_delay_alu instid0(VALU_DEP_1) | instskip(SKIP_1) | instid1(VALU_DEP_2)
	v_dual_mov_b32 v12, v1 :: v_dual_and_b32 v17, 3, v11
	v_mov_b32_e32 v11, v0
	v_cmpx_ne_u32_e32 0, v17
	s_cbranch_execz .LBB118_21
; %bb.18:
	v_lshlrev_b64 v[11:12], 3, v[0:1]
	v_dual_mov_b32 v18, 0 :: v_dual_lshlrev_b32 v17, 2, v17
	v_dual_mov_b32 v14, v8 :: v_dual_mov_b32 v13, v7
	s_mov_b32 s10, 0
	s_delay_alu instid0(VALU_DEP_3) | instskip(NEXT) | instid1(VALU_DEP_4)
	v_add_co_u32 v19, vcc_lo, s8, v11
	v_add_co_ci_u32_e32 v20, vcc_lo, s9, v12, vcc_lo
	v_dual_mov_b32 v12, v1 :: v_dual_mov_b32 v11, v0
	v_mov_b32_e32 v21, v18
	v_mov_b32_e32 v23, v18
	;; [unrolled: 1-line block ×4, first 2 shown]
.LBB118_19:                             ; =>This Inner Loop Header: Depth=1
	global_load_b64 v[29:30], v[19:20], off
	global_load_b128 v[25:28], v[13:14], off
	s_waitcnt vmcnt(1)
	v_sub_co_u32 v29, vcc_lo, v29, s20
	v_subrev_co_ci_u32_e32 v30, vcc_lo, s15, v30, vcc_lo
	s_delay_alu instid0(VALU_DEP_1) | instskip(SKIP_1) | instid1(VALU_DEP_1)
	v_lshlrev_b64 v[29:30], 3, v[29:30]
	s_waitcnt lgkmcnt(0)
	v_add_co_u32 v33, vcc_lo, s4, v29
	s_delay_alu instid0(VALU_DEP_2)
	v_add_co_ci_u32_e32 v34, vcc_lo, s5, v30, vcc_lo
	global_load_b128 v[29:32], v[13:14], off offset:16
	global_load_b64 v[33:34], v[33:34], off
	v_add_co_u32 v13, vcc_lo, 0x400, v13
	v_add_co_ci_u32_e32 v14, vcc_lo, 0, v14, vcc_lo
	v_add_co_u32 v11, vcc_lo, v11, 32
	v_add_co_ci_u32_e32 v12, vcc_lo, 0, v12, vcc_lo
	;; [unrolled: 2-line block ×3, first 2 shown]
	v_add_co_u32 v17, vcc_lo, v17, -4
	v_add_co_ci_u32_e32 v18, vcc_lo, -1, v18, vcc_lo
	s_delay_alu instid0(VALU_DEP_1)
	v_cmp_eq_u64_e32 vcc_lo, 0, v[17:18]
	s_or_b32 s10, vcc_lo, s10
	s_waitcnt vmcnt(0)
	v_lshlrev_b32_e32 v43, 16, v33
	v_and_b32_e32 v33, 0xffff0000, v33
	v_lshlrev_b32_e32 v37, 16, v27
	s_delay_alu instid0(VALU_DEP_1) | instskip(NEXT) | instid1(VALU_DEP_1)
	v_dual_fmac_f32 v24, v37, v43 :: v_dual_lshlrev_b32 v35, 16, v25
	v_dual_fmac_f32 v22, v35, v43 :: v_dual_and_b32 v25, 0xffff0000, v25
	v_lshlrev_b32_e32 v41, 16, v31
	s_delay_alu instid0(VALU_DEP_2) | instskip(SKIP_2) | instid1(VALU_DEP_4)
	v_dual_fmac_f32 v22, v25, v33 :: v_dual_lshlrev_b32 v35, 16, v34
	v_lshlrev_b32_e32 v39, 16, v29
	v_lshlrev_b32_e32 v36, 16, v26
	v_dual_fmac_f32 v21, v41, v43 :: v_dual_and_b32 v26, 0xffff0000, v26
	v_and_b32_e32 v25, 0xffff0000, v34
	s_delay_alu instid0(VALU_DEP_4) | instskip(NEXT) | instid1(VALU_DEP_4)
	v_fmac_f32_e32 v23, v39, v43
	v_fmac_f32_e32 v22, v36, v35
	v_and_b32_e32 v27, 0xffff0000, v27
	v_lshlrev_b32_e32 v42, 16, v32
	v_and_b32_e32 v32, 0xffff0000, v32
	s_delay_alu instid0(VALU_DEP_4) | instskip(NEXT) | instid1(VALU_DEP_4)
	v_fmac_f32_e32 v22, v26, v25
	v_fmac_f32_e32 v24, v27, v33
	v_and_b32_e32 v29, 0xffff0000, v29
	s_delay_alu instid0(VALU_DEP_1) | instskip(NEXT) | instid1(VALU_DEP_1)
	v_dual_fmac_f32 v23, v29, v33 :: v_dual_lshlrev_b32 v38, 16, v28
	v_fmac_f32_e32 v24, v38, v35
	v_and_b32_e32 v31, 0xffff0000, v31
	s_delay_alu instid0(VALU_DEP_1) | instskip(SKIP_1) | instid1(VALU_DEP_2)
	v_dual_fmac_f32 v21, v31, v33 :: v_dual_and_b32 v28, 0xffff0000, v28
	v_lshlrev_b32_e32 v40, 16, v30
	v_dual_fmac_f32 v24, v28, v25 :: v_dual_fmac_f32 v21, v42, v35
	s_delay_alu instid0(VALU_DEP_2) | instskip(NEXT) | instid1(VALU_DEP_2)
	v_dual_fmac_f32 v23, v40, v35 :: v_dual_and_b32 v30, 0xffff0000, v30
	v_fmac_f32_e32 v21, v32, v25
	s_delay_alu instid0(VALU_DEP_2)
	v_fmac_f32_e32 v23, v30, v25
	s_and_not1_b32 exec_lo, exec_lo, s10
	s_cbranch_execnz .LBB118_19
; %bb.20:
	s_or_b32 exec_lo, exec_lo, s10
.LBB118_21:
	s_delay_alu instid0(SALU_CYCLE_1) | instskip(NEXT) | instid1(SALU_CYCLE_1)
	s_or_b32 exec_lo, exec_lo, s3
	s_mov_b32 s10, exec_lo
	v_cmpx_lt_u64_e32 0x5f, v[15:16]
	s_cbranch_execz .LBB118_25
; %bb.22:
	v_lshlrev_b64 v[15:16], 3, v[11:12]
	s_mov_b32 s11, 0
	s_delay_alu instid0(VALU_DEP_1) | instskip(NEXT) | instid1(VALU_DEP_2)
	v_add_co_u32 v15, vcc_lo, v15, s8
	v_add_co_ci_u32_e32 v16, vcc_lo, s9, v16, vcc_lo
	s_delay_alu instid0(VALU_DEP_2) | instskip(NEXT) | instid1(VALU_DEP_2)
	v_add_co_u32 v15, vcc_lo, 0x200, v15
	v_add_co_ci_u32_e32 v16, vcc_lo, 0, v16, vcc_lo
.LBB118_23:                             ; =>This Inner Loop Header: Depth=1
	s_clause 0x3
	global_load_b64 v[53:54], v[15:16], off offset:-512
	global_load_b64 v[55:56], v[15:16], off offset:-256
	global_load_b64 v[57:58], v[15:16], off
	global_load_b64 v[59:60], v[15:16], off offset:256
	s_clause 0x7
	global_load_b128 v[17:20], v[13:14], off
	global_load_b128 v[25:28], v[13:14], off offset:16
	global_load_b128 v[29:32], v[13:14], off offset:1024
	global_load_b128 v[33:36], v[13:14], off offset:1040
	global_load_b128 v[37:40], v[13:14], off offset:2048
	global_load_b128 v[41:44], v[13:14], off offset:2064
	global_load_b128 v[45:48], v[13:14], off offset:3072
	global_load_b128 v[49:52], v[13:14], off offset:3088
	s_waitcnt vmcnt(11)
	v_sub_co_u32 v53, vcc_lo, v53, s20
	v_subrev_co_ci_u32_e32 v54, vcc_lo, s15, v54, vcc_lo
	s_waitcnt vmcnt(10)
	v_sub_co_u32 v55, vcc_lo, v55, s20
	v_subrev_co_ci_u32_e32 v56, vcc_lo, s15, v56, vcc_lo
	s_delay_alu instid0(VALU_DEP_3) | instskip(SKIP_2) | instid1(VALU_DEP_3)
	v_lshlrev_b64 v[53:54], 3, v[53:54]
	s_waitcnt vmcnt(1)
	v_lshlrev_b32_e32 v85, 16, v45
	v_lshlrev_b64 v[55:56], 3, v[55:56]
	v_lshlrev_b32_e32 v77, 16, v37
	v_lshlrev_b32_e32 v69, 16, v29
	s_waitcnt lgkmcnt(0)
	v_add_co_u32 v53, vcc_lo, s4, v53
	v_add_co_ci_u32_e32 v54, vcc_lo, s5, v54, vcc_lo
	v_sub_co_u32 v57, vcc_lo, v57, s20
	v_subrev_co_ci_u32_e32 v58, vcc_lo, s15, v58, vcc_lo
	global_load_b64 v[53:54], v[53:54], off
	v_add_co_u32 v55, vcc_lo, s4, v55
	v_add_co_ci_u32_e32 v56, vcc_lo, s5, v56, vcc_lo
	v_lshlrev_b64 v[57:58], 3, v[57:58]
	v_sub_co_u32 v59, vcc_lo, v59, s20
	global_load_b64 v[55:56], v[55:56], off
	v_subrev_co_ci_u32_e32 v60, vcc_lo, s15, v60, vcc_lo
	v_add_co_u32 v57, s3, s4, v57
	s_delay_alu instid0(VALU_DEP_1) | instskip(NEXT) | instid1(VALU_DEP_3)
	v_add_co_ci_u32_e64 v58, s3, s5, v58, s3
	v_lshlrev_b64 v[59:60], 3, v[59:60]
	v_and_b32_e32 v45, 0xffff0000, v45
	s_waitcnt vmcnt(2)
	v_lshlrev_b32_e32 v89, 16, v49
	global_load_b64 v[57:58], v[57:58], off
	v_lshlrev_b32_e32 v88, 16, v48
	v_and_b32_e32 v49, 0xffff0000, v49
	v_add_co_u32 v59, vcc_lo, s4, v59
	v_add_co_ci_u32_e32 v60, vcc_lo, s5, v60, vcc_lo
	v_lshlrev_b32_e32 v86, 16, v46
	v_lshlrev_b32_e32 v81, 16, v41
	;; [unrolled: 1-line block ×3, first 2 shown]
	global_load_b64 v[59:60], v[59:60], off
	v_and_b32_e32 v41, 0xffff0000, v41
	v_lshlrev_b32_e32 v78, 16, v38
	v_lshlrev_b32_e32 v73, 16, v33
	v_and_b32_e32 v33, 0xffff0000, v33
	v_lshlrev_b32_e32 v72, 16, v32
	v_add_co_u32 v13, vcc_lo, 0x1000, v13
	v_add_co_ci_u32_e32 v14, vcc_lo, 0, v14, vcc_lo
	v_add_co_u32 v11, vcc_lo, 0x80, v11
	v_add_co_ci_u32_e32 v12, vcc_lo, 0, v12, vcc_lo
	;; [unrolled: 2-line block ×3, first 2 shown]
	s_delay_alu instid0(VALU_DEP_3)
	v_cmp_ge_i64_e32 vcc_lo, v[11:12], v[5:6]
	s_or_b32 s11, vcc_lo, s11
	s_waitcnt vmcnt(3)
	v_lshlrev_b32_e32 v93, 16, v53
	v_lshlrev_b32_e32 v63, 16, v19
	v_and_b32_e32 v19, 0xffff0000, v19
	v_and_b32_e32 v53, 0xffff0000, v53
	s_delay_alu instid0(VALU_DEP_3) | instskip(SKIP_1) | instid1(VALU_DEP_1)
	v_dual_fmac_f32 v24, v63, v93 :: v_dual_lshlrev_b32 v71, 16, v31
	s_waitcnt vmcnt(2)
	v_dual_fmac_f32 v24, v19, v53 :: v_dual_lshlrev_b32 v19, 16, v55
	v_lshlrev_b32_e32 v61, 16, v17
	v_and_b32_e32 v17, 0xffff0000, v17
	s_delay_alu instid0(VALU_DEP_2) | instskip(NEXT) | instid1(VALU_DEP_1)
	v_dual_fmac_f32 v22, v61, v93 :: v_dual_lshlrev_b32 v67, 16, v27
	v_dual_fmac_f32 v22, v17, v53 :: v_dual_lshlrev_b32 v61, 16, v54
	v_and_b32_e32 v17, 0xffff0000, v54
	v_lshlrev_b32_e32 v70, 16, v30
	v_lshlrev_b32_e32 v65, 16, v25
	;; [unrolled: 1-line block ×3, first 2 shown]
	v_dual_fmac_f32 v21, v67, v93 :: v_dual_and_b32 v18, 0xffff0000, v18
	s_delay_alu instid0(VALU_DEP_3) | instskip(NEXT) | instid1(VALU_DEP_3)
	v_dual_fmac_f32 v23, v65, v93 :: v_dual_lshlrev_b32 v68, 16, v28
	v_dual_fmac_f32 v22, v62, v61 :: v_dual_and_b32 v27, 0xffff0000, v27
	v_lshlrev_b32_e32 v75, 16, v35
	s_delay_alu instid0(VALU_DEP_2) | instskip(NEXT) | instid1(VALU_DEP_3)
	v_fmac_f32_e32 v21, v27, v53
	v_fmac_f32_e32 v22, v18, v17
	v_lshlrev_b32_e32 v18, 16, v56
	v_and_b32_e32 v25, 0xffff0000, v25
	v_lshlrev_b32_e32 v64, 16, v20
	v_and_b32_e32 v20, 0xffff0000, v20
	v_dual_fmac_f32 v21, v68, v61 :: v_dual_lshlrev_b32 v66, 16, v26
	s_delay_alu instid0(VALU_DEP_4) | instskip(NEXT) | instid1(VALU_DEP_4)
	v_dual_fmac_f32 v23, v25, v53 :: v_dual_and_b32 v26, 0xffff0000, v26
	v_dual_fmac_f32 v24, v64, v61 :: v_dual_and_b32 v31, 0xffff0000, v31
	v_and_b32_e32 v35, 0xffff0000, v35
	s_delay_alu instid0(VALU_DEP_3) | instskip(NEXT) | instid1(VALU_DEP_3)
	v_dual_fmac_f32 v23, v66, v61 :: v_dual_fmac_f32 v22, v69, v19
	v_fmac_f32_e32 v24, v20, v17
	s_delay_alu instid0(VALU_DEP_2) | instskip(NEXT) | instid1(VALU_DEP_2)
	v_dual_fmac_f32 v23, v26, v17 :: v_dual_and_b32 v28, 0xffff0000, v28
	v_fmac_f32_e32 v24, v71, v19
	s_delay_alu instid0(VALU_DEP_2) | instskip(NEXT) | instid1(VALU_DEP_3)
	v_fmac_f32_e32 v23, v73, v19
	v_dual_fmac_f32 v21, v28, v17 :: v_dual_and_b32 v30, 0xffff0000, v30
	v_and_b32_e32 v17, 0xffff0000, v55
	v_lshlrev_b32_e32 v79, 16, v39
	v_and_b32_e32 v29, 0xffff0000, v29
	s_delay_alu instid0(VALU_DEP_4) | instskip(NEXT) | instid1(VALU_DEP_4)
	v_dual_fmac_f32 v21, v75, v19 :: v_dual_and_b32 v32, 0xffff0000, v32
	v_dual_fmac_f32 v24, v31, v17 :: v_dual_and_b32 v39, 0xffff0000, v39
	s_delay_alu instid0(VALU_DEP_3) | instskip(SKIP_1) | instid1(VALU_DEP_4)
	v_fmac_f32_e32 v22, v29, v17
	v_fmac_f32_e32 v23, v33, v17
	;; [unrolled: 1-line block ×3, first 2 shown]
	v_and_b32_e32 v17, 0xffff0000, v56
	v_lshlrev_b32_e32 v74, 16, v34
	v_lshlrev_b32_e32 v76, 16, v36
	v_fmac_f32_e32 v22, v70, v18
	v_dual_fmac_f32 v24, v72, v18 :: v_dual_lshlrev_b32 v83, 16, v43
	s_delay_alu instid0(VALU_DEP_4) | instskip(NEXT) | instid1(VALU_DEP_4)
	v_dual_fmac_f32 v23, v74, v18 :: v_dual_and_b32 v36, 0xffff0000, v36
	v_fmac_f32_e32 v21, v76, v18
	v_and_b32_e32 v34, 0xffff0000, v34
	s_delay_alu instid0(VALU_DEP_4)
	v_dual_fmac_f32 v24, v32, v17 :: v_dual_and_b32 v43, 0xffff0000, v43
	s_waitcnt vmcnt(1)
	v_lshlrev_b32_e32 v18, 16, v57
	v_fmac_f32_e32 v22, v30, v17
	v_fmac_f32_e32 v21, v36, v17
	v_dual_fmac_f32 v23, v34, v17 :: v_dual_and_b32 v40, 0xffff0000, v40
	s_delay_alu instid0(VALU_DEP_3) | instskip(NEXT) | instid1(VALU_DEP_3)
	v_dual_fmac_f32 v22, v77, v18 :: v_dual_and_b32 v17, 0xffff0000, v57
	v_fmac_f32_e32 v21, v83, v18
	v_lshlrev_b32_e32 v87, 16, v47
	v_dual_fmac_f32 v24, v79, v18 :: v_dual_and_b32 v37, 0xffff0000, v37
	v_fmac_f32_e32 v23, v81, v18
	s_delay_alu instid0(VALU_DEP_4) | instskip(NEXT) | instid1(VALU_DEP_3)
	v_dual_fmac_f32 v21, v43, v17 :: v_dual_and_b32 v38, 0xffff0000, v38
	v_dual_fmac_f32 v24, v39, v17 :: v_dual_and_b32 v47, 0xffff0000, v47
	v_lshlrev_b32_e32 v18, 16, v58
	v_fmac_f32_e32 v22, v37, v17
	v_fmac_f32_e32 v23, v41, v17
	v_and_b32_e32 v17, 0xffff0000, v58
	v_lshlrev_b32_e32 v82, 16, v42
	v_lshlrev_b32_e32 v84, 16, v44
	v_fmac_f32_e32 v22, v78, v18
	v_dual_fmac_f32 v24, v80, v18 :: v_dual_lshlrev_b32 v91, 16, v51
	s_delay_alu instid0(VALU_DEP_4) | instskip(NEXT) | instid1(VALU_DEP_4)
	v_dual_fmac_f32 v23, v82, v18 :: v_dual_and_b32 v44, 0xffff0000, v44
	v_fmac_f32_e32 v21, v84, v18
	v_and_b32_e32 v42, 0xffff0000, v42
	s_delay_alu instid0(VALU_DEP_4)
	v_dual_fmac_f32 v24, v40, v17 :: v_dual_and_b32 v51, 0xffff0000, v51
	s_waitcnt vmcnt(0)
	v_lshlrev_b32_e32 v18, 16, v59
	v_fmac_f32_e32 v22, v38, v17
	v_fmac_f32_e32 v21, v44, v17
	v_dual_fmac_f32 v23, v42, v17 :: v_dual_and_b32 v48, 0xffff0000, v48
	s_delay_alu instid0(VALU_DEP_3) | instskip(NEXT) | instid1(VALU_DEP_3)
	v_dual_fmac_f32 v22, v85, v18 :: v_dual_and_b32 v17, 0xffff0000, v59
	v_fmac_f32_e32 v21, v91, v18
	v_fmac_f32_e32 v24, v87, v18
	s_delay_alu instid0(VALU_DEP_4) | instskip(SKIP_1) | instid1(VALU_DEP_4)
	v_fmac_f32_e32 v23, v89, v18
	v_and_b32_e32 v46, 0xffff0000, v46
	v_dual_fmac_f32 v21, v51, v17 :: v_dual_lshlrev_b32 v18, 16, v60
	v_fmac_f32_e32 v22, v45, v17
	v_fmac_f32_e32 v24, v47, v17
	;; [unrolled: 1-line block ×3, first 2 shown]
	v_and_b32_e32 v17, 0xffff0000, v60
	v_lshlrev_b32_e32 v90, 16, v50
	v_lshlrev_b32_e32 v92, 16, v52
	v_fmac_f32_e32 v22, v86, v18
	v_fmac_f32_e32 v24, v88, v18
	s_delay_alu instid0(VALU_DEP_4) | instskip(NEXT) | instid1(VALU_DEP_4)
	v_dual_fmac_f32 v23, v90, v18 :: v_dual_and_b32 v52, 0xffff0000, v52
	v_fmac_f32_e32 v21, v92, v18
	v_and_b32_e32 v50, 0xffff0000, v50
	v_fmac_f32_e32 v22, v46, v17
	v_fmac_f32_e32 v24, v48, v17
	s_delay_alu instid0(VALU_DEP_4) | instskip(NEXT) | instid1(VALU_DEP_4)
	v_fmac_f32_e32 v21, v52, v17
	v_fmac_f32_e32 v23, v50, v17
	s_and_not1_b32 exec_lo, exec_lo, s11
	s_cbranch_execnz .LBB118_23
; %bb.24:
	s_or_b32 exec_lo, exec_lo, s11
.LBB118_25:
	s_delay_alu instid0(SALU_CYCLE_1)
	s_or_b32 exec_lo, exec_lo, s10
.LBB118_26:
	s_delay_alu instid0(SALU_CYCLE_1) | instskip(NEXT) | instid1(SALU_CYCLE_1)
	s_or_b32 exec_lo, exec_lo, s7
	s_and_not1_b32 vcc_lo, exec_lo, s6
	s_cbranch_vccz .LBB118_28
	s_branch .LBB118_39
.LBB118_27:
                                        ; implicit-def: $vgpr21
                                        ; implicit-def: $vgpr23
                                        ; implicit-def: $vgpr24
                                        ; implicit-def: $vgpr22
.LBB118_28:
	v_dual_mov_b32 v21, 0 :: v_dual_mov_b32 v24, 0
	v_dual_mov_b32 v23, 0 :: v_dual_mov_b32 v22, 0
	s_delay_alu instid0(VALU_DEP_4)
	s_and_saveexec_b32 s3, s2
	s_cbranch_execz .LBB118_38
; %bb.29:
	v_or_b32_e32 v11, 32, v2
	v_mov_b32_e32 v23, 0
	v_dual_mov_b32 v21, 0 :: v_dual_mov_b32 v22, 0
	v_mov_b32_e32 v24, 0
	s_delay_alu instid0(VALU_DEP_4) | instskip(NEXT) | instid1(VALU_DEP_1)
	v_sub_co_u32 v11, s2, v11, s20
	v_sub_co_ci_u32_e64 v12, null, 0, s15, s2
	v_sub_co_u32 v13, s2, s20, v2
	s_delay_alu instid0(VALU_DEP_3) | instskip(NEXT) | instid1(VALU_DEP_3)
	v_add_co_u32 v11, vcc_lo, v11, v9
	v_add_co_ci_u32_e32 v12, vcc_lo, v12, v10, vcc_lo
	v_not_b32_e32 v9, v9
	v_not_b32_e32 v10, v10
	v_sub_co_ci_u32_e64 v14, null, s15, 0, s2
	s_delay_alu instid0(VALU_DEP_4) | instskip(SKIP_4) | instid1(VALU_DEP_2)
	v_cmp_gt_i64_e32 vcc_lo, v[11:12], v[5:6]
	s_mov_b32 s2, exec_lo
	v_dual_cndmask_b32 v12, v6, v12 :: v_dual_cndmask_b32 v11, v5, v11
	v_add_co_u32 v9, vcc_lo, v13, v9
	v_add_co_ci_u32_e32 v10, vcc_lo, v14, v10, vcc_lo
	v_add_co_u32 v9, vcc_lo, v9, v11
	s_delay_alu instid0(VALU_DEP_2) | instskip(NEXT) | instid1(VALU_DEP_2)
	v_add_co_ci_u32_e32 v10, vcc_lo, v10, v12, vcc_lo
	v_lshrrev_b32_e32 v11, 5, v9
	s_delay_alu instid0(VALU_DEP_1) | instskip(NEXT) | instid1(VALU_DEP_1)
	v_add_nc_u32_e32 v11, 1, v11
	v_and_b32_e32 v11, 3, v11
	s_delay_alu instid0(VALU_DEP_1)
	v_cmpx_ne_u32_e32 0, v11
	s_cbranch_execz .LBB118_33
; %bb.30:
	v_lshlrev_b64 v[13:14], 3, v[0:1]
	v_dual_mov_b32 v12, 0 :: v_dual_lshlrev_b32 v11, 2, v11
	s_mov_b32 s6, 0
	s_delay_alu instid0(VALU_DEP_1) | instskip(NEXT) | instid1(VALU_DEP_3)
	v_mov_b32_e32 v21, v12
	v_add_co_u32 v13, vcc_lo, s8, v13
	s_delay_alu instid0(VALU_DEP_4)
	v_add_co_ci_u32_e32 v14, vcc_lo, s9, v14, vcc_lo
	v_mov_b32_e32 v23, v12
	v_mov_b32_e32 v24, v12
	v_mov_b32_e32 v22, v12
.LBB118_31:                             ; =>This Inner Loop Header: Depth=1
	global_load_b64 v[19:20], v[13:14], off
	global_load_b128 v[15:18], v[7:8], off
	s_waitcnt vmcnt(1)
	v_sub_co_u32 v19, vcc_lo, v19, s20
	v_subrev_co_ci_u32_e32 v20, vcc_lo, s15, v20, vcc_lo
	s_delay_alu instid0(VALU_DEP_1) | instskip(SKIP_1) | instid1(VALU_DEP_1)
	v_lshlrev_b64 v[19:20], 3, v[19:20]
	s_waitcnt lgkmcnt(0)
	v_add_co_u32 v19, vcc_lo, s4, v19
	s_delay_alu instid0(VALU_DEP_2)
	v_add_co_ci_u32_e32 v20, vcc_lo, s5, v20, vcc_lo
	global_load_b64 v[19:20], v[19:20], off
	global_load_b128 v[25:28], v[7:8], off offset:16
	v_add_co_u32 v7, vcc_lo, 0x400, v7
	v_add_co_ci_u32_e32 v8, vcc_lo, 0, v8, vcc_lo
	v_add_co_u32 v0, vcc_lo, v0, 32
	v_add_co_ci_u32_e32 v1, vcc_lo, 0, v1, vcc_lo
	;; [unrolled: 2-line block ×3, first 2 shown]
	v_add_co_u32 v11, vcc_lo, v11, -4
	v_add_co_ci_u32_e32 v12, vcc_lo, -1, v12, vcc_lo
	s_delay_alu instid0(VALU_DEP_1)
	v_cmp_eq_u64_e32 vcc_lo, 0, v[11:12]
	s_or_b32 s6, vcc_lo, s6
	s_waitcnt vmcnt(1)
	v_lshlrev_b32_e32 v37, 16, v19
	v_lshlrev_b32_e32 v29, 16, v15
	v_and_b32_e32 v15, 0xffff0000, v15
	v_lshlrev_b32_e32 v30, 16, v16
	v_and_b32_e32 v16, 0xffff0000, v16
	v_and_b32_e32 v19, 0xffff0000, v19
	s_waitcnt vmcnt(0)
	v_lshlrev_b32_e32 v36, 16, v28
	v_fmac_f32_e32 v24, v15, v37
	v_lshlrev_b32_e32 v31, 16, v17
	v_fmac_f32_e32 v22, v29, v37
	v_and_b32_e32 v17, 0xffff0000, v17
	v_dual_fmac_f32 v21, v16, v37 :: v_dual_lshlrev_b32 v32, 16, v18
	v_dual_fmac_f32 v23, v30, v37 :: v_dual_and_b32 v18, 0xffff0000, v18
	s_delay_alu instid0(VALU_DEP_3) | instskip(SKIP_2) | instid1(VALU_DEP_4)
	v_dual_fmac_f32 v24, v17, v19 :: v_dual_lshlrev_b32 v15, 16, v20
	v_dual_fmac_f32 v22, v31, v19 :: v_dual_lshlrev_b32 v33, 16, v25
	v_and_b32_e32 v25, 0xffff0000, v25
	v_dual_fmac_f32 v21, v18, v19 :: v_dual_lshlrev_b32 v34, 16, v26
	v_dual_fmac_f32 v23, v32, v19 :: v_dual_and_b32 v26, 0xffff0000, v26
	v_and_b32_e32 v28, 0xffff0000, v28
	v_and_b32_e32 v16, 0xffff0000, v20
	v_fmac_f32_e32 v24, v25, v15
	v_lshlrev_b32_e32 v35, 16, v27
	v_fmac_f32_e32 v22, v33, v15
	v_and_b32_e32 v27, 0xffff0000, v27
	v_fmac_f32_e32 v21, v26, v15
	s_delay_alu instid0(VALU_DEP_2) | instskip(NEXT) | instid1(VALU_DEP_4)
	v_dual_fmac_f32 v23, v34, v15 :: v_dual_fmac_f32 v24, v27, v16
	v_fmac_f32_e32 v22, v35, v16
	s_delay_alu instid0(VALU_DEP_2) | instskip(NEXT) | instid1(VALU_DEP_4)
	v_fmac_f32_e32 v23, v36, v16
	v_fmac_f32_e32 v21, v28, v16
	s_and_not1_b32 exec_lo, exec_lo, s6
	s_cbranch_execnz .LBB118_31
; %bb.32:
	s_or_b32 exec_lo, exec_lo, s6
.LBB118_33:
	s_delay_alu instid0(SALU_CYCLE_1) | instskip(NEXT) | instid1(SALU_CYCLE_1)
	s_or_b32 exec_lo, exec_lo, s2
	s_mov_b32 s2, exec_lo
	v_cmpx_lt_u64_e32 0x5f, v[9:10]
	s_cbranch_execz .LBB118_37
; %bb.34:
	v_lshlrev_b64 v[9:10], 3, v[0:1]
	s_mov_b32 s6, 0
	s_delay_alu instid0(VALU_DEP_1) | instskip(NEXT) | instid1(VALU_DEP_2)
	v_add_co_u32 v9, vcc_lo, v9, s8
	v_add_co_ci_u32_e32 v10, vcc_lo, s9, v10, vcc_lo
	s_delay_alu instid0(VALU_DEP_2) | instskip(NEXT) | instid1(VALU_DEP_2)
	v_add_co_u32 v9, vcc_lo, 0x200, v9
	v_add_co_ci_u32_e32 v10, vcc_lo, 0, v10, vcc_lo
.LBB118_35:                             ; =>This Inner Loop Header: Depth=1
	s_clause 0x3
	global_load_b64 v[19:20], v[9:10], off offset:-512
	global_load_b64 v[45:46], v[9:10], off offset:-256
	global_load_b64 v[47:48], v[9:10], off
	global_load_b64 v[49:50], v[9:10], off offset:256
	s_clause 0x6
	global_load_b128 v[11:14], v[7:8], off
	global_load_b128 v[15:18], v[7:8], off offset:16
	global_load_b128 v[25:28], v[7:8], off offset:1024
	;; [unrolled: 1-line block ×6, first 2 shown]
	s_waitcnt vmcnt(10)
	v_sub_co_u32 v19, vcc_lo, v19, s20
	v_subrev_co_ci_u32_e32 v20, vcc_lo, s15, v20, vcc_lo
	s_waitcnt vmcnt(9)
	v_sub_co_u32 v45, vcc_lo, v45, s20
	v_subrev_co_ci_u32_e32 v46, vcc_lo, s15, v46, vcc_lo
	s_waitcnt vmcnt(8)
	v_sub_co_u32 v47, vcc_lo, v47, s20
	v_lshlrev_b64 v[19:20], 3, v[19:20]
	v_subrev_co_ci_u32_e32 v48, vcc_lo, s15, v48, vcc_lo
	s_waitcnt vmcnt(7)
	v_sub_co_u32 v49, vcc_lo, v49, s20
	v_lshlrev_b64 v[45:46], 3, v[45:46]
	v_subrev_co_ci_u32_e32 v50, vcc_lo, s15, v50, vcc_lo
	v_lshlrev_b64 v[47:48], 3, v[47:48]
	s_waitcnt lgkmcnt(0)
	v_add_co_u32 v19, vcc_lo, s4, v19
	v_add_co_ci_u32_e32 v20, vcc_lo, s5, v20, vcc_lo
	v_lshlrev_b64 v[49:50], 3, v[49:50]
	v_add_co_u32 v45, vcc_lo, s4, v45
	v_add_co_ci_u32_e32 v46, vcc_lo, s5, v46, vcc_lo
	v_add_co_u32 v47, vcc_lo, s4, v47
	v_add_co_ci_u32_e32 v48, vcc_lo, s5, v48, vcc_lo
	;; [unrolled: 2-line block ×3, first 2 shown]
	s_clause 0x3
	global_load_b64 v[19:20], v[19:20], off
	global_load_b64 v[51:52], v[45:46], off
	;; [unrolled: 1-line block ×4, first 2 shown]
	global_load_b128 v[45:48], v[7:8], off offset:3088
	v_add_co_u32 v7, vcc_lo, 0x1000, v7
	v_add_co_ci_u32_e32 v8, vcc_lo, 0, v8, vcc_lo
	v_add_co_u32 v0, vcc_lo, 0x80, v0
	v_add_co_ci_u32_e32 v1, vcc_lo, 0, v1, vcc_lo
	;; [unrolled: 2-line block ×3, first 2 shown]
	s_delay_alu instid0(VALU_DEP_3)
	v_cmp_ge_i64_e32 vcc_lo, v[0:1], v[5:6]
	s_or_b32 s6, vcc_lo, s6
	s_waitcnt vmcnt(4)
	v_lshlrev_b32_e32 v87, 16, v19
	v_lshlrev_b32_e32 v56, 16, v12
	v_and_b32_e32 v12, 0xffff0000, v12
	v_and_b32_e32 v19, 0xffff0000, v19
	v_lshlrev_b32_e32 v61, 16, v17
	v_and_b32_e32 v17, 0xffff0000, v17
	s_waitcnt vmcnt(0)
	v_lshlrev_b32_e32 v85, 16, v47
	v_dual_fmac_f32 v21, v12, v87 :: v_dual_and_b32 v12, 0xffff0000, v20
	v_lshlrev_b32_e32 v55, 16, v11
	v_and_b32_e32 v11, 0xffff0000, v11
	v_lshlrev_b32_e32 v57, 16, v13
	v_and_b32_e32 v13, 0xffff0000, v13
	v_lshlrev_b32_e32 v58, 16, v14
	v_fmac_f32_e32 v22, v55, v87
	v_fmac_f32_e32 v24, v11, v87
	v_dual_fmac_f32 v23, v56, v87 :: v_dual_and_b32 v14, 0xffff0000, v14
	v_lshlrev_b32_e32 v81, 16, v43
	v_lshlrev_b32_e32 v77, 16, v39
	v_lshlrev_b32_e32 v73, 16, v35
	v_lshlrev_b32_e32 v69, 16, v31
	v_lshlrev_b32_e32 v65, 16, v27
	v_lshlrev_b32_e32 v59, 16, v15
	v_and_b32_e32 v47, 0xffff0000, v47
	v_and_b32_e32 v43, 0xffff0000, v43
	v_and_b32_e32 v39, 0xffff0000, v39
	v_and_b32_e32 v35, 0xffff0000, v35
	v_and_b32_e32 v31, 0xffff0000, v31
	v_and_b32_e32 v27, 0xffff0000, v27
	v_and_b32_e32 v15, 0xffff0000, v15
	v_dual_fmac_f32 v22, v57, v19 :: v_dual_lshlrev_b32 v11, 16, v20
	v_fmac_f32_e32 v24, v13, v19
	v_dual_fmac_f32 v21, v14, v19 :: v_dual_lshlrev_b32 v60, 16, v16
	v_dual_fmac_f32 v23, v58, v19 :: v_dual_and_b32 v16, 0xffff0000, v16
	s_delay_alu instid0(VALU_DEP_4) | instskip(NEXT) | instid1(VALU_DEP_4)
	v_dual_fmac_f32 v22, v59, v11 :: v_dual_lshlrev_b32 v63, 16, v25
	v_dual_fmac_f32 v24, v15, v11 :: v_dual_and_b32 v25, 0xffff0000, v25
	s_delay_alu instid0(VALU_DEP_3) | instskip(NEXT) | instid1(VALU_DEP_4)
	v_dual_fmac_f32 v21, v16, v11 :: v_dual_lshlrev_b32 v62, 16, v18
	v_dual_fmac_f32 v23, v60, v11 :: v_dual_and_b32 v18, 0xffff0000, v18
	s_delay_alu instid0(VALU_DEP_4) | instskip(NEXT) | instid1(VALU_DEP_4)
	v_dual_fmac_f32 v22, v61, v12 :: v_dual_lshlrev_b32 v11, 16, v51
	v_dual_fmac_f32 v24, v17, v12 :: v_dual_lshlrev_b32 v67, 16, v29
	s_delay_alu instid0(VALU_DEP_3) | instskip(NEXT) | instid1(VALU_DEP_4)
	v_dual_fmac_f32 v21, v18, v12 :: v_dual_lshlrev_b32 v64, 16, v26
	v_dual_fmac_f32 v23, v62, v12 :: v_dual_and_b32 v26, 0xffff0000, v26
	s_delay_alu instid0(VALU_DEP_3) | instskip(SKIP_2) | instid1(VALU_DEP_4)
	v_dual_fmac_f32 v24, v25, v11 :: v_dual_and_b32 v29, 0xffff0000, v29
	v_and_b32_e32 v12, 0xffff0000, v51
	v_fmac_f32_e32 v22, v63, v11
	v_fmac_f32_e32 v21, v26, v11
	v_dual_fmac_f32 v23, v64, v11 :: v_dual_lshlrev_b32 v68, 16, v30
	v_and_b32_e32 v30, 0xffff0000, v30
	v_lshlrev_b32_e32 v11, 16, v52
	v_lshlrev_b32_e32 v66, 16, v28
	v_and_b32_e32 v28, 0xffff0000, v28
	v_fmac_f32_e32 v22, v65, v12
	v_dual_fmac_f32 v24, v27, v12 :: v_dual_lshlrev_b32 v71, 16, v33
	s_delay_alu instid0(VALU_DEP_4) | instskip(NEXT) | instid1(VALU_DEP_3)
	v_fmac_f32_e32 v23, v66, v12
	v_dual_fmac_f32 v21, v28, v12 :: v_dual_fmac_f32 v22, v67, v11
	s_delay_alu instid0(VALU_DEP_3) | instskip(NEXT) | instid1(VALU_DEP_3)
	v_dual_fmac_f32 v24, v29, v11 :: v_dual_and_b32 v33, 0xffff0000, v33
	v_dual_fmac_f32 v23, v68, v11 :: v_dual_and_b32 v12, 0xffff0000, v52
	s_delay_alu instid0(VALU_DEP_3)
	v_dual_fmac_f32 v21, v30, v11 :: v_dual_lshlrev_b32 v72, 16, v34
	v_and_b32_e32 v34, 0xffff0000, v34
	v_lshlrev_b32_e32 v11, 16, v53
	v_lshlrev_b32_e32 v70, 16, v32
	v_and_b32_e32 v32, 0xffff0000, v32
	v_fmac_f32_e32 v22, v69, v12
	v_dual_fmac_f32 v24, v31, v12 :: v_dual_lshlrev_b32 v75, 16, v37
	s_delay_alu instid0(VALU_DEP_4) | instskip(NEXT) | instid1(VALU_DEP_3)
	v_fmac_f32_e32 v23, v70, v12
	v_dual_fmac_f32 v21, v32, v12 :: v_dual_fmac_f32 v22, v71, v11
	s_delay_alu instid0(VALU_DEP_3) | instskip(NEXT) | instid1(VALU_DEP_3)
	v_dual_fmac_f32 v24, v33, v11 :: v_dual_and_b32 v37, 0xffff0000, v37
	v_dual_fmac_f32 v23, v72, v11 :: v_dual_and_b32 v12, 0xffff0000, v53
	s_delay_alu instid0(VALU_DEP_3)
	v_dual_fmac_f32 v21, v34, v11 :: v_dual_lshlrev_b32 v76, 16, v38
	v_and_b32_e32 v38, 0xffff0000, v38
	v_lshlrev_b32_e32 v11, 16, v54
	v_lshlrev_b32_e32 v74, 16, v36
	v_and_b32_e32 v36, 0xffff0000, v36
	v_fmac_f32_e32 v22, v73, v12
	v_dual_fmac_f32 v24, v35, v12 :: v_dual_lshlrev_b32 v79, 16, v41
	s_delay_alu instid0(VALU_DEP_4) | instskip(NEXT) | instid1(VALU_DEP_3)
	v_fmac_f32_e32 v23, v74, v12
	v_dual_fmac_f32 v21, v36, v12 :: v_dual_fmac_f32 v22, v75, v11
	s_delay_alu instid0(VALU_DEP_3) | instskip(NEXT) | instid1(VALU_DEP_3)
	v_dual_fmac_f32 v24, v37, v11 :: v_dual_and_b32 v41, 0xffff0000, v41
	v_dual_fmac_f32 v23, v76, v11 :: v_dual_and_b32 v12, 0xffff0000, v54
	s_delay_alu instid0(VALU_DEP_3)
	v_dual_fmac_f32 v21, v38, v11 :: v_dual_lshlrev_b32 v80, 16, v42
	v_and_b32_e32 v42, 0xffff0000, v42
	v_lshlrev_b32_e32 v11, 16, v49
	v_lshlrev_b32_e32 v78, 16, v40
	v_and_b32_e32 v40, 0xffff0000, v40
	v_fmac_f32_e32 v22, v77, v12
	v_dual_fmac_f32 v24, v39, v12 :: v_dual_lshlrev_b32 v83, 16, v45
	s_delay_alu instid0(VALU_DEP_4) | instskip(NEXT) | instid1(VALU_DEP_3)
	v_fmac_f32_e32 v23, v78, v12
	v_dual_fmac_f32 v21, v40, v12 :: v_dual_fmac_f32 v22, v79, v11
	s_delay_alu instid0(VALU_DEP_3) | instskip(NEXT) | instid1(VALU_DEP_3)
	v_dual_fmac_f32 v24, v41, v11 :: v_dual_and_b32 v45, 0xffff0000, v45
	v_dual_fmac_f32 v23, v80, v11 :: v_dual_and_b32 v12, 0xffff0000, v49
	s_delay_alu instid0(VALU_DEP_3)
	v_dual_fmac_f32 v21, v42, v11 :: v_dual_lshlrev_b32 v84, 16, v46
	v_and_b32_e32 v46, 0xffff0000, v46
	v_lshlrev_b32_e32 v11, 16, v50
	v_lshlrev_b32_e32 v82, 16, v44
	v_and_b32_e32 v44, 0xffff0000, v44
	v_fmac_f32_e32 v22, v81, v12
	v_fmac_f32_e32 v24, v43, v12
	v_lshlrev_b32_e32 v86, 16, v48
	v_fmac_f32_e32 v23, v82, v12
	v_fmac_f32_e32 v21, v44, v12
	v_and_b32_e32 v48, 0xffff0000, v48
	s_delay_alu instid0(VALU_DEP_3) | instskip(NEXT) | instid1(VALU_DEP_3)
	v_dual_fmac_f32 v23, v84, v11 :: v_dual_and_b32 v12, 0xffff0000, v50
	v_fmac_f32_e32 v21, v46, v11
	v_fmac_f32_e32 v22, v83, v11
	s_delay_alu instid0(VALU_DEP_3) | instskip(NEXT) | instid1(VALU_DEP_3)
	v_dual_fmac_f32 v24, v45, v11 :: v_dual_fmac_f32 v23, v86, v12
	v_fmac_f32_e32 v21, v48, v12
	s_delay_alu instid0(VALU_DEP_3) | instskip(NEXT) | instid1(VALU_DEP_3)
	v_fmac_f32_e32 v22, v85, v12
	v_fmac_f32_e32 v24, v47, v12
	s_and_not1_b32 exec_lo, exec_lo, s6
	s_cbranch_execnz .LBB118_35
; %bb.36:
	s_or_b32 exec_lo, exec_lo, s6
.LBB118_37:
	s_delay_alu instid0(SALU_CYCLE_1)
	s_or_b32 exec_lo, exec_lo, s2
.LBB118_38:
	s_delay_alu instid0(SALU_CYCLE_1)
	s_or_b32 exec_lo, exec_lo, s3
.LBB118_39:
	v_mbcnt_lo_u32_b32 v0, -1, 0
	s_mov_b32 s2, -1
	s_delay_alu instid0(VALU_DEP_1) | instskip(SKIP_2) | instid1(VALU_DEP_3)
	v_xor_b32_e32 v1, 16, v0
	v_xor_b32_e32 v8, 8, v0
	;; [unrolled: 1-line block ×3, first 2 shown]
	v_cmp_gt_i32_e32 vcc_lo, 32, v1
	v_cndmask_b32_e32 v1, v0, v1, vcc_lo
	s_delay_alu instid0(VALU_DEP_4) | instskip(SKIP_2) | instid1(VALU_DEP_2)
	v_cmp_gt_i32_e32 vcc_lo, 32, v8
	v_cndmask_b32_e32 v8, v0, v8, vcc_lo
	v_cmp_gt_i32_e32 vcc_lo, 32, v12
	v_lshlrev_b32_e32 v8, 2, v8
	v_dual_cndmask_b32 v12, v0, v12 :: v_dual_lshlrev_b32 v1, 2, v1
	ds_bpermute_b32 v6, v1, v24
	v_lshlrev_b32_e32 v12, 2, v12
	s_waitcnt lgkmcnt(0)
	v_add_f32_e32 v6, v24, v6
	ds_bpermute_b32 v5, v1, v22
	ds_bpermute_b32 v7, v1, v23
	;; [unrolled: 1-line block ×4, first 2 shown]
	s_waitcnt lgkmcnt(3)
	v_add_f32_e32 v5, v22, v5
	s_waitcnt lgkmcnt(2)
	v_add_f32_e32 v7, v23, v7
	s_waitcnt lgkmcnt(0)
	v_dual_add_f32 v1, v21, v1 :: v_dual_add_f32 v6, v6, v10
	ds_bpermute_b32 v9, v8, v5
	ds_bpermute_b32 v11, v8, v7
	;; [unrolled: 1-line block ×3, first 2 shown]
	s_waitcnt lgkmcnt(2)
	v_add_f32_e32 v5, v5, v9
	s_waitcnt lgkmcnt(1)
	v_add_f32_e32 v7, v7, v11
	ds_bpermute_b32 v9, v12, v6
	s_waitcnt lgkmcnt(1)
	v_add_f32_e32 v1, v1, v8
	ds_bpermute_b32 v8, v12, v5
	ds_bpermute_b32 v10, v12, v7
	s_waitcnt lgkmcnt(2)
	v_add_f32_e32 v6, v6, v9
	ds_bpermute_b32 v11, v12, v1
	v_xor_b32_e32 v12, 2, v0
	s_waitcnt lgkmcnt(2)
	v_add_f32_e32 v5, v5, v8
	s_delay_alu instid0(VALU_DEP_2) | instskip(SKIP_2) | instid1(VALU_DEP_1)
	v_cmp_gt_i32_e32 vcc_lo, 32, v12
	s_waitcnt lgkmcnt(1)
	v_dual_cndmask_b32 v12, v0, v12 :: v_dual_add_f32 v7, v7, v10
	v_lshlrev_b32_e32 v12, 2, v12
	ds_bpermute_b32 v9, v12, v6
	s_waitcnt lgkmcnt(1)
	v_add_f32_e32 v8, v1, v11
	ds_bpermute_b32 v1, v12, v5
	ds_bpermute_b32 v10, v12, v7
	ds_bpermute_b32 v11, v12, v8
	v_xor_b32_e32 v12, 1, v0
	s_delay_alu instid0(VALU_DEP_1) | instskip(SKIP_2) | instid1(VALU_DEP_2)
	v_cmp_gt_i32_e32 vcc_lo, 32, v12
	v_cndmask_b32_e32 v0, v0, v12, vcc_lo
	v_cmp_eq_u32_e32 vcc_lo, 31, v2
	v_lshlrev_b32_e32 v12, 2, v0
	s_waitcnt lgkmcnt(1)
	v_dual_add_f32 v0, v5, v1 :: v_dual_add_f32 v5, v7, v10
	s_waitcnt lgkmcnt(0)
	v_dual_add_f32 v1, v6, v9 :: v_dual_add_f32 v6, v8, v11
	ds_bpermute_b32 v7, v12, v0
	ds_bpermute_b32 v9, v12, v5
	;; [unrolled: 1-line block ×4, first 2 shown]
	s_and_b32 exec_lo, exec_lo, vcc_lo
	s_cbranch_execz .LBB118_10
; %bb.40:
	s_load_b64 s[0:1], s[0:1], 0x58
	s_waitcnt lgkmcnt(0)
	v_dual_add_f32 v0, v0, v7 :: v_dual_add_f32 v1, v1, v8
	v_add_f32_e32 v6, v6, v10
	v_cmp_eq_f32_e64 s3, s12, 0
	s_delay_alu instid0(VALU_DEP_3) | instskip(SKIP_4) | instid1(VALU_DEP_3)
	v_dual_mul_f32 v0, s16, v0 :: v_dual_mul_f32 v1, s16, v1
	v_add_f32_e32 v2, v5, v9
	v_lshlrev_b64 v[4:5], 4, v[3:4]
	v_mul_f32_e32 v3, s16, v6
	s_and_b32 vcc_lo, exec_lo, s3
	v_mul_f32_e32 v2, s16, v2
	s_cbranch_vccz .LBB118_42
; %bb.41:
	s_delay_alu instid0(VALU_DEP_3)
	v_add_co_u32 v6, vcc_lo, s0, v4
	v_add_co_ci_u32_e32 v7, vcc_lo, s1, v5, vcc_lo
	s_mov_b32 s2, 0
	global_store_b128 v[6:7], v[0:3], off
.LBB118_42:
	s_and_not1_b32 vcc_lo, exec_lo, s2
	s_cbranch_vccnz .LBB118_10
; %bb.43:
	v_add_co_u32 v8, vcc_lo, s0, v4
	v_add_co_ci_u32_e32 v9, vcc_lo, s1, v5, vcc_lo
	global_load_b128 v[4:7], v[8:9], off
	s_waitcnt vmcnt(0)
	v_dual_fmac_f32 v0, s12, v4 :: v_dual_fmac_f32 v1, s12, v5
	v_dual_fmac_f32 v2, s12, v6 :: v_dual_fmac_f32 v3, s12, v7
	global_store_b128 v[8:9], v[0:3], off
	s_nop 0
	s_sendmsg sendmsg(MSG_DEALLOC_VGPRS)
	s_endpgm
	.section	.rodata,"a",@progbits
	.p2align	6, 0x0
	.amdhsa_kernel _ZN9rocsparseL18bsrxmvn_4x4_kernelILj128ELj32Efll18rocsparse_bfloat16S1_fEEvT3_20rocsparse_direction_NS_24const_host_device_scalarIT1_EES2_PKS2_PKT2_SB_S8_PKT4_PKT5_S6_PT6_21rocsparse_index_base_b
		.amdhsa_group_segment_fixed_size 0
		.amdhsa_private_segment_fixed_size 0
		.amdhsa_kernarg_size 104
		.amdhsa_user_sgpr_count 15
		.amdhsa_user_sgpr_dispatch_ptr 0
		.amdhsa_user_sgpr_queue_ptr 0
		.amdhsa_user_sgpr_kernarg_segment_ptr 1
		.amdhsa_user_sgpr_dispatch_id 0
		.amdhsa_user_sgpr_private_segment_size 0
		.amdhsa_wavefront_size32 1
		.amdhsa_uses_dynamic_stack 0
		.amdhsa_enable_private_segment 0
		.amdhsa_system_sgpr_workgroup_id_x 1
		.amdhsa_system_sgpr_workgroup_id_y 0
		.amdhsa_system_sgpr_workgroup_id_z 0
		.amdhsa_system_sgpr_workgroup_info 0
		.amdhsa_system_vgpr_workitem_id 0
		.amdhsa_next_free_vgpr 94
		.amdhsa_next_free_sgpr 22
		.amdhsa_reserve_vcc 1
		.amdhsa_float_round_mode_32 0
		.amdhsa_float_round_mode_16_64 0
		.amdhsa_float_denorm_mode_32 3
		.amdhsa_float_denorm_mode_16_64 3
		.amdhsa_dx10_clamp 1
		.amdhsa_ieee_mode 1
		.amdhsa_fp16_overflow 0
		.amdhsa_workgroup_processor_mode 1
		.amdhsa_memory_ordered 1
		.amdhsa_forward_progress 0
		.amdhsa_shared_vgpr_count 0
		.amdhsa_exception_fp_ieee_invalid_op 0
		.amdhsa_exception_fp_denorm_src 0
		.amdhsa_exception_fp_ieee_div_zero 0
		.amdhsa_exception_fp_ieee_overflow 0
		.amdhsa_exception_fp_ieee_underflow 0
		.amdhsa_exception_fp_ieee_inexact 0
		.amdhsa_exception_int_div_zero 0
	.end_amdhsa_kernel
	.section	.text._ZN9rocsparseL18bsrxmvn_4x4_kernelILj128ELj32Efll18rocsparse_bfloat16S1_fEEvT3_20rocsparse_direction_NS_24const_host_device_scalarIT1_EES2_PKS2_PKT2_SB_S8_PKT4_PKT5_S6_PT6_21rocsparse_index_base_b,"axG",@progbits,_ZN9rocsparseL18bsrxmvn_4x4_kernelILj128ELj32Efll18rocsparse_bfloat16S1_fEEvT3_20rocsparse_direction_NS_24const_host_device_scalarIT1_EES2_PKS2_PKT2_SB_S8_PKT4_PKT5_S6_PT6_21rocsparse_index_base_b,comdat
.Lfunc_end118:
	.size	_ZN9rocsparseL18bsrxmvn_4x4_kernelILj128ELj32Efll18rocsparse_bfloat16S1_fEEvT3_20rocsparse_direction_NS_24const_host_device_scalarIT1_EES2_PKS2_PKT2_SB_S8_PKT4_PKT5_S6_PT6_21rocsparse_index_base_b, .Lfunc_end118-_ZN9rocsparseL18bsrxmvn_4x4_kernelILj128ELj32Efll18rocsparse_bfloat16S1_fEEvT3_20rocsparse_direction_NS_24const_host_device_scalarIT1_EES2_PKS2_PKT2_SB_S8_PKT4_PKT5_S6_PT6_21rocsparse_index_base_b
                                        ; -- End function
	.section	.AMDGPU.csdata,"",@progbits
; Kernel info:
; codeLenInByte = 4920
; NumSgprs: 24
; NumVgprs: 94
; ScratchSize: 0
; MemoryBound: 0
; FloatMode: 240
; IeeeMode: 1
; LDSByteSize: 0 bytes/workgroup (compile time only)
; SGPRBlocks: 2
; VGPRBlocks: 11
; NumSGPRsForWavesPerEU: 24
; NumVGPRsForWavesPerEU: 94
; Occupancy: 16
; WaveLimiterHint : 1
; COMPUTE_PGM_RSRC2:SCRATCH_EN: 0
; COMPUTE_PGM_RSRC2:USER_SGPR: 15
; COMPUTE_PGM_RSRC2:TRAP_HANDLER: 0
; COMPUTE_PGM_RSRC2:TGID_X_EN: 1
; COMPUTE_PGM_RSRC2:TGID_Y_EN: 0
; COMPUTE_PGM_RSRC2:TGID_Z_EN: 0
; COMPUTE_PGM_RSRC2:TIDIG_COMP_CNT: 0
	.section	.text._ZN9rocsparseL18bsrxmvn_4x4_kernelILj128ELj64Efll18rocsparse_bfloat16S1_fEEvT3_20rocsparse_direction_NS_24const_host_device_scalarIT1_EES2_PKS2_PKT2_SB_S8_PKT4_PKT5_S6_PT6_21rocsparse_index_base_b,"axG",@progbits,_ZN9rocsparseL18bsrxmvn_4x4_kernelILj128ELj64Efll18rocsparse_bfloat16S1_fEEvT3_20rocsparse_direction_NS_24const_host_device_scalarIT1_EES2_PKS2_PKT2_SB_S8_PKT4_PKT5_S6_PT6_21rocsparse_index_base_b,comdat
	.globl	_ZN9rocsparseL18bsrxmvn_4x4_kernelILj128ELj64Efll18rocsparse_bfloat16S1_fEEvT3_20rocsparse_direction_NS_24const_host_device_scalarIT1_EES2_PKS2_PKT2_SB_S8_PKT4_PKT5_S6_PT6_21rocsparse_index_base_b ; -- Begin function _ZN9rocsparseL18bsrxmvn_4x4_kernelILj128ELj64Efll18rocsparse_bfloat16S1_fEEvT3_20rocsparse_direction_NS_24const_host_device_scalarIT1_EES2_PKS2_PKT2_SB_S8_PKT4_PKT5_S6_PT6_21rocsparse_index_base_b
	.p2align	8
	.type	_ZN9rocsparseL18bsrxmvn_4x4_kernelILj128ELj64Efll18rocsparse_bfloat16S1_fEEvT3_20rocsparse_direction_NS_24const_host_device_scalarIT1_EES2_PKS2_PKT2_SB_S8_PKT4_PKT5_S6_PT6_21rocsparse_index_base_b,@function
_ZN9rocsparseL18bsrxmvn_4x4_kernelILj128ELj64Efll18rocsparse_bfloat16S1_fEEvT3_20rocsparse_direction_NS_24const_host_device_scalarIT1_EES2_PKS2_PKT2_SB_S8_PKT4_PKT5_S6_PT6_21rocsparse_index_base_b: ; @_ZN9rocsparseL18bsrxmvn_4x4_kernelILj128ELj64Efll18rocsparse_bfloat16S1_fEEvT3_20rocsparse_direction_NS_24const_host_device_scalarIT1_EES2_PKS2_PKT2_SB_S8_PKT4_PKT5_S6_PT6_21rocsparse_index_base_b
; %bb.0:
	s_clause 0x2
	s_load_b64 s[20:21], s[0:1], 0x60
	s_load_b128 s[16:19], s[0:1], 0x10
	s_load_b64 s[12:13], s[0:1], 0x50
	s_waitcnt lgkmcnt(0)
	s_bitcmp1_b32 s21, 0
	s_cselect_b32 s2, -1, 0
	s_delay_alu instid0(SALU_CYCLE_1)
	s_and_b32 vcc_lo, exec_lo, s2
	s_xor_b32 s2, s2, -1
	s_cbranch_vccnz .LBB119_2
; %bb.1:
	s_load_b32 s16, s[16:17], 0x0
.LBB119_2:
	s_and_not1_b32 vcc_lo, exec_lo, s2
	s_cbranch_vccnz .LBB119_4
; %bb.3:
	s_load_b32 s12, s[12:13], 0x0
.LBB119_4:
	s_waitcnt lgkmcnt(0)
	v_cmp_neq_f32_e64 s2, s16, 0
	v_cmp_neq_f32_e64 s3, s12, 1.0
	s_mov_b32 s4, 0
	s_delay_alu instid0(VALU_DEP_1) | instskip(NEXT) | instid1(SALU_CYCLE_1)
	s_or_b32 s2, s2, s3
	s_and_not1_b32 vcc_lo, exec_lo, s2
	s_cbranch_vccnz .LBB119_10
; %bb.5:
	s_load_b64 s[2:3], s[0:1], 0x20
	v_lshrrev_b32_e32 v1, 6, v0
	v_mov_b32_e32 v2, 0
	s_delay_alu instid0(VALU_DEP_2)
	v_lshl_or_b32 v1, s15, 1, v1
	s_waitcnt lgkmcnt(0)
	s_cmp_lg_u64 s[2:3], 0
	s_cbranch_scc0 .LBB119_11
; %bb.6:
	s_mov_b32 s5, 0
	s_mov_b32 s6, exec_lo
                                        ; implicit-def: $vgpr3_vgpr4
	v_cmpx_gt_i64_e64 s[18:19], v[1:2]
	s_xor_b32 s6, exec_lo, s6
                                        ; implicit-def: $sgpr14_sgpr15
	s_cbranch_execz .LBB119_8
; %bb.7:
	v_lshlrev_b64 v[3:4], 3, v[1:2]
	s_mov_b32 s4, exec_lo
	s_mov_b32 s15, 0
	s_delay_alu instid0(VALU_DEP_1) | instskip(NEXT) | instid1(VALU_DEP_2)
	v_add_co_u32 v3, vcc_lo, s2, v3
	v_add_co_ci_u32_e32 v4, vcc_lo, s3, v4, vcc_lo
	global_load_b64 v[3:4], v[3:4], off
	s_waitcnt vmcnt(0)
	v_sub_co_u32 v3, vcc_lo, v3, s20
	v_subrev_co_ci_u32_e32 v4, vcc_lo, 0, v4, vcc_lo
.LBB119_8:
	s_or_b32 exec_lo, exec_lo, s6
	s_delay_alu instid0(SALU_CYCLE_1)
	s_and_b32 vcc_lo, exec_lo, s5
	s_cbranch_vccnz .LBB119_12
.LBB119_9:
	s_and_saveexec_b32 s2, s4
	s_cbranch_execnz .LBB119_15
.LBB119_10:
	s_nop 0
	s_sendmsg sendmsg(MSG_DEALLOC_VGPRS)
	s_endpgm
.LBB119_11:
                                        ; implicit-def: $vgpr3_vgpr4
                                        ; implicit-def: $sgpr14_sgpr15
	s_cbranch_execz .LBB119_9
.LBB119_12:
	s_load_b64 s[2:3], s[0:1], 0x0
                                        ; implicit-def: $vgpr3_vgpr4
	s_waitcnt lgkmcnt(0)
	v_cmp_gt_i64_e32 vcc_lo, s[2:3], v[1:2]
	s_and_saveexec_b32 s2, vcc_lo
                                        ; implicit-def: $sgpr14_sgpr15
; %bb.13:
	v_dual_mov_b32 v4, v2 :: v_dual_mov_b32 v3, v1
	s_mov_b32 s15, 0
	s_or_b32 s4, s4, exec_lo
; %bb.14:
	s_or_b32 exec_lo, exec_lo, s2
	s_and_saveexec_b32 s2, s4
	s_cbranch_execz .LBB119_10
.LBB119_15:
	s_load_b256 s[4:11], s[0:1], 0x28
	v_lshlrev_b64 v[1:2], 3, v[3:4]
	s_load_b32 s3, s[0:1], 0x8
	v_mov_b32_e32 v21, 0
	s_waitcnt lgkmcnt(0)
	s_delay_alu instid0(VALU_DEP_2) | instskip(NEXT) | instid1(VALU_DEP_3)
	v_add_co_u32 v5, vcc_lo, s4, v1
	v_add_co_ci_u32_e32 v6, vcc_lo, s5, v2, vcc_lo
	v_add_co_u32 v1, vcc_lo, s6, v1
	v_add_co_ci_u32_e32 v2, vcc_lo, s7, v2, vcc_lo
	s_delay_alu instid0(VALU_DEP_4)
	v_add_co_u32 v7, vcc_lo, v5, 8
	global_load_b64 v[9:10], v[5:6], off
	v_add_co_ci_u32_e32 v8, vcc_lo, 0, v6, vcc_lo
	s_cmp_eq_u64 s[6:7], 0
	s_load_b64 s[4:5], s[0:1], 0x48
	s_cselect_b32 vcc_lo, -1, 0
	s_cmp_eq_u32 s3, 1
	v_dual_cndmask_b32 v2, v2, v8 :: v_dual_cndmask_b32 v1, v1, v7
	global_load_b64 v[5:6], v[1:2], off
	v_and_b32_e32 v2, 63, v0
	s_waitcnt vmcnt(1)
	v_sub_co_u32 v0, vcc_lo, v9, s20
	v_subrev_co_ci_u32_e32 v1, vcc_lo, s15, v10, vcc_lo
	s_delay_alu instid0(VALU_DEP_2) | instskip(NEXT) | instid1(VALU_DEP_2)
	v_add_co_u32 v0, vcc_lo, v0, v2
	v_add_co_ci_u32_e32 v1, vcc_lo, 0, v1, vcc_lo
	s_delay_alu instid0(VALU_DEP_1) | instskip(SKIP_3) | instid1(VALU_DEP_3)
	v_lshlrev_b64 v[7:8], 5, v[0:1]
	s_waitcnt vmcnt(0)
	v_sub_co_u32 v5, vcc_lo, v5, s20
	v_subrev_co_ci_u32_e32 v6, vcc_lo, s15, v6, vcc_lo
	v_add_co_u32 v7, vcc_lo, s10, v7
	s_delay_alu instid0(VALU_DEP_2)
	v_cmp_lt_i64_e64 s2, v[0:1], v[5:6]
	v_add_co_ci_u32_e32 v8, vcc_lo, s11, v8, vcc_lo
	s_cbranch_scc1 .LBB119_27
; %bb.16:
	v_dual_mov_b32 v23, 0 :: v_dual_mov_b32 v24, 0
	v_mov_b32_e32 v22, 0
	s_mov_b32 s6, 0
	s_and_saveexec_b32 s7, s2
	s_cbranch_execz .LBB119_26
; %bb.17:
	v_or_b32_e32 v11, 64, v2
	v_not_b32_e32 v14, v9
	v_not_b32_e32 v13, v10
	v_mov_b32_e32 v23, 0
	v_mov_b32_e32 v21, 0
	v_sub_co_u32 v11, s3, v11, s20
	s_delay_alu instid0(VALU_DEP_1) | instskip(SKIP_1) | instid1(VALU_DEP_3)
	v_sub_co_ci_u32_e64 v12, null, 0, s15, s3
	v_sub_co_u32 v15, s3, s20, v2
	v_add_co_u32 v11, vcc_lo, v11, v9
	s_delay_alu instid0(VALU_DEP_3) | instskip(SKIP_2) | instid1(VALU_DEP_2)
	v_add_co_ci_u32_e32 v12, vcc_lo, v12, v10, vcc_lo
	v_sub_co_ci_u32_e64 v16, null, s15, 0, s3
	s_mov_b32 s3, exec_lo
	v_cmp_gt_i64_e32 vcc_lo, v[11:12], v[5:6]
	v_mov_b32_e32 v22, 0
	v_mov_b32_e32 v24, 0
	v_dual_cndmask_b32 v12, v6, v12 :: v_dual_cndmask_b32 v11, v5, v11
	v_add_co_u32 v14, vcc_lo, v15, v14
	v_add_co_ci_u32_e32 v13, vcc_lo, v16, v13, vcc_lo
	s_delay_alu instid0(VALU_DEP_2) | instskip(NEXT) | instid1(VALU_DEP_2)
	v_add_co_u32 v15, vcc_lo, v14, v11
	v_add_co_ci_u32_e32 v16, vcc_lo, v13, v12, vcc_lo
	v_mov_b32_e32 v14, v8
	s_delay_alu instid0(VALU_DEP_3) | instskip(SKIP_1) | instid1(VALU_DEP_2)
	v_lshrrev_b32_e32 v11, 6, v15
	v_mov_b32_e32 v13, v7
	v_add_nc_u32_e32 v11, 1, v11
	s_delay_alu instid0(VALU_DEP_1) | instskip(SKIP_1) | instid1(VALU_DEP_2)
	v_dual_mov_b32 v12, v1 :: v_dual_and_b32 v17, 3, v11
	v_mov_b32_e32 v11, v0
	v_cmpx_ne_u32_e32 0, v17
	s_cbranch_execz .LBB119_21
; %bb.18:
	v_lshlrev_b64 v[11:12], 3, v[0:1]
	v_dual_mov_b32 v18, 0 :: v_dual_lshlrev_b32 v17, 2, v17
	v_dual_mov_b32 v14, v8 :: v_dual_mov_b32 v13, v7
	s_mov_b32 s10, 0
	s_delay_alu instid0(VALU_DEP_3) | instskip(NEXT) | instid1(VALU_DEP_4)
	v_add_co_u32 v19, vcc_lo, s8, v11
	v_add_co_ci_u32_e32 v20, vcc_lo, s9, v12, vcc_lo
	v_dual_mov_b32 v12, v1 :: v_dual_mov_b32 v11, v0
	v_mov_b32_e32 v21, v18
	v_mov_b32_e32 v23, v18
	;; [unrolled: 1-line block ×4, first 2 shown]
.LBB119_19:                             ; =>This Inner Loop Header: Depth=1
	global_load_b64 v[29:30], v[19:20], off
	global_load_b128 v[25:28], v[13:14], off
	s_waitcnt vmcnt(1)
	v_sub_co_u32 v29, vcc_lo, v29, s20
	v_subrev_co_ci_u32_e32 v30, vcc_lo, s15, v30, vcc_lo
	s_delay_alu instid0(VALU_DEP_1) | instskip(SKIP_1) | instid1(VALU_DEP_1)
	v_lshlrev_b64 v[29:30], 3, v[29:30]
	s_waitcnt lgkmcnt(0)
	v_add_co_u32 v33, vcc_lo, s4, v29
	s_delay_alu instid0(VALU_DEP_2)
	v_add_co_ci_u32_e32 v34, vcc_lo, s5, v30, vcc_lo
	global_load_b128 v[29:32], v[13:14], off offset:16
	global_load_b64 v[33:34], v[33:34], off
	v_add_co_u32 v13, vcc_lo, 0x800, v13
	v_add_co_ci_u32_e32 v14, vcc_lo, 0, v14, vcc_lo
	v_add_co_u32 v11, vcc_lo, v11, 64
	v_add_co_ci_u32_e32 v12, vcc_lo, 0, v12, vcc_lo
	;; [unrolled: 2-line block ×3, first 2 shown]
	v_add_co_u32 v17, vcc_lo, v17, -4
	v_add_co_ci_u32_e32 v18, vcc_lo, -1, v18, vcc_lo
	s_delay_alu instid0(VALU_DEP_1)
	v_cmp_eq_u64_e32 vcc_lo, 0, v[17:18]
	s_or_b32 s10, vcc_lo, s10
	s_waitcnt vmcnt(0)
	v_lshlrev_b32_e32 v43, 16, v33
	v_and_b32_e32 v33, 0xffff0000, v33
	v_lshlrev_b32_e32 v37, 16, v27
	s_delay_alu instid0(VALU_DEP_1) | instskip(NEXT) | instid1(VALU_DEP_1)
	v_dual_fmac_f32 v24, v37, v43 :: v_dual_lshlrev_b32 v35, 16, v25
	v_dual_fmac_f32 v22, v35, v43 :: v_dual_and_b32 v25, 0xffff0000, v25
	v_lshlrev_b32_e32 v41, 16, v31
	s_delay_alu instid0(VALU_DEP_2) | instskip(SKIP_2) | instid1(VALU_DEP_4)
	v_dual_fmac_f32 v22, v25, v33 :: v_dual_lshlrev_b32 v35, 16, v34
	v_lshlrev_b32_e32 v39, 16, v29
	v_lshlrev_b32_e32 v36, 16, v26
	v_dual_fmac_f32 v21, v41, v43 :: v_dual_and_b32 v26, 0xffff0000, v26
	v_and_b32_e32 v25, 0xffff0000, v34
	s_delay_alu instid0(VALU_DEP_4) | instskip(NEXT) | instid1(VALU_DEP_4)
	v_fmac_f32_e32 v23, v39, v43
	v_fmac_f32_e32 v22, v36, v35
	v_and_b32_e32 v27, 0xffff0000, v27
	v_lshlrev_b32_e32 v42, 16, v32
	v_and_b32_e32 v32, 0xffff0000, v32
	s_delay_alu instid0(VALU_DEP_4) | instskip(NEXT) | instid1(VALU_DEP_4)
	v_fmac_f32_e32 v22, v26, v25
	v_fmac_f32_e32 v24, v27, v33
	v_and_b32_e32 v29, 0xffff0000, v29
	s_delay_alu instid0(VALU_DEP_1) | instskip(NEXT) | instid1(VALU_DEP_1)
	v_dual_fmac_f32 v23, v29, v33 :: v_dual_lshlrev_b32 v38, 16, v28
	v_fmac_f32_e32 v24, v38, v35
	v_and_b32_e32 v31, 0xffff0000, v31
	s_delay_alu instid0(VALU_DEP_1) | instskip(SKIP_1) | instid1(VALU_DEP_2)
	v_dual_fmac_f32 v21, v31, v33 :: v_dual_and_b32 v28, 0xffff0000, v28
	v_lshlrev_b32_e32 v40, 16, v30
	v_dual_fmac_f32 v24, v28, v25 :: v_dual_fmac_f32 v21, v42, v35
	s_delay_alu instid0(VALU_DEP_2) | instskip(NEXT) | instid1(VALU_DEP_2)
	v_dual_fmac_f32 v23, v40, v35 :: v_dual_and_b32 v30, 0xffff0000, v30
	v_fmac_f32_e32 v21, v32, v25
	s_delay_alu instid0(VALU_DEP_2)
	v_fmac_f32_e32 v23, v30, v25
	s_and_not1_b32 exec_lo, exec_lo, s10
	s_cbranch_execnz .LBB119_19
; %bb.20:
	s_or_b32 exec_lo, exec_lo, s10
.LBB119_21:
	s_delay_alu instid0(SALU_CYCLE_1) | instskip(NEXT) | instid1(SALU_CYCLE_1)
	s_or_b32 exec_lo, exec_lo, s3
	s_mov_b32 s10, exec_lo
	v_cmpx_lt_u64_e32 0xbf, v[15:16]
	s_cbranch_execz .LBB119_25
; %bb.22:
	v_lshlrev_b64 v[15:16], 3, v[11:12]
	s_mov_b32 s11, 0
	s_delay_alu instid0(VALU_DEP_1) | instskip(NEXT) | instid1(VALU_DEP_2)
	v_add_co_u32 v15, vcc_lo, v15, s8
	v_add_co_ci_u32_e32 v16, vcc_lo, s9, v16, vcc_lo
	s_delay_alu instid0(VALU_DEP_2) | instskip(NEXT) | instid1(VALU_DEP_2)
	v_add_co_u32 v15, vcc_lo, 0x400, v15
	v_add_co_ci_u32_e32 v16, vcc_lo, 0, v16, vcc_lo
.LBB119_23:                             ; =>This Inner Loop Header: Depth=1
	s_clause 0x3
	global_load_b64 v[53:54], v[15:16], off offset:-1024
	global_load_b64 v[55:56], v[15:16], off offset:-512
	global_load_b64 v[57:58], v[15:16], off
	global_load_b64 v[59:60], v[15:16], off offset:512
	s_clause 0x3
	global_load_b128 v[17:20], v[13:14], off
	global_load_b128 v[25:28], v[13:14], off offset:16
	global_load_b128 v[29:32], v[13:14], off offset:2048
	;; [unrolled: 1-line block ×3, first 2 shown]
	v_add_co_u32 v49, vcc_lo, 0x1000, v13
	v_add_co_ci_u32_e32 v50, vcc_lo, 0, v14, vcc_lo
	s_clause 0x3
	global_load_b128 v[37:40], v[49:50], off
	global_load_b128 v[41:44], v[49:50], off offset:16
	global_load_b128 v[45:48], v[49:50], off offset:2048
	;; [unrolled: 1-line block ×3, first 2 shown]
	s_waitcnt vmcnt(11)
	v_sub_co_u32 v53, vcc_lo, v53, s20
	v_subrev_co_ci_u32_e32 v54, vcc_lo, s15, v54, vcc_lo
	s_waitcnt vmcnt(10)
	v_sub_co_u32 v55, vcc_lo, v55, s20
	v_subrev_co_ci_u32_e32 v56, vcc_lo, s15, v56, vcc_lo
	s_delay_alu instid0(VALU_DEP_3) | instskip(NEXT) | instid1(VALU_DEP_2)
	v_lshlrev_b64 v[53:54], 3, v[53:54]
	v_lshlrev_b64 v[55:56], 3, v[55:56]
	s_waitcnt lgkmcnt(0)
	s_delay_alu instid0(VALU_DEP_2) | instskip(NEXT) | instid1(VALU_DEP_3)
	v_add_co_u32 v53, vcc_lo, s4, v53
	v_add_co_ci_u32_e32 v54, vcc_lo, s5, v54, vcc_lo
	s_waitcnt vmcnt(9)
	v_sub_co_u32 v57, vcc_lo, v57, s20
	v_subrev_co_ci_u32_e32 v58, vcc_lo, s15, v58, vcc_lo
	global_load_b64 v[53:54], v[53:54], off
	v_add_co_u32 v55, vcc_lo, s4, v55
	v_add_co_ci_u32_e32 v56, vcc_lo, s5, v56, vcc_lo
	v_lshlrev_b64 v[57:58], 3, v[57:58]
	s_waitcnt vmcnt(9)
	v_sub_co_u32 v59, vcc_lo, v59, s20
	global_load_b64 v[55:56], v[55:56], off
	v_subrev_co_ci_u32_e32 v60, vcc_lo, s15, v60, vcc_lo
	v_add_co_u32 v57, s3, s4, v57
	s_delay_alu instid0(VALU_DEP_1) | instskip(NEXT) | instid1(VALU_DEP_3)
	v_add_co_ci_u32_e64 v58, s3, s5, v58, s3
	v_lshlrev_b64 v[59:60], 3, v[59:60]
	s_waitcnt vmcnt(3)
	v_lshlrev_b32_e32 v85, 16, v45
	v_lshlrev_b32_e32 v77, 16, v37
	global_load_b64 v[57:58], v[57:58], off
	v_lshlrev_b32_e32 v69, 16, v29
	v_and_b32_e32 v45, 0xffff0000, v45
	v_add_co_u32 v59, vcc_lo, s4, v59
	v_add_co_ci_u32_e32 v60, vcc_lo, s5, v60, vcc_lo
	s_waitcnt vmcnt(3)
	v_lshlrev_b32_e32 v89, 16, v49
	v_lshlrev_b32_e32 v88, 16, v48
	v_and_b32_e32 v49, 0xffff0000, v49
	global_load_b64 v[59:60], v[59:60], off
	v_lshlrev_b32_e32 v86, 16, v46
	v_lshlrev_b32_e32 v81, 16, v41
	;; [unrolled: 1-line block ×3, first 2 shown]
	v_and_b32_e32 v41, 0xffff0000, v41
	v_lshlrev_b32_e32 v78, 16, v38
	v_lshlrev_b32_e32 v73, 16, v33
	v_and_b32_e32 v33, 0xffff0000, v33
	v_lshlrev_b32_e32 v72, 16, v32
	v_add_co_u32 v11, vcc_lo, 0x100, v11
	v_add_co_ci_u32_e32 v12, vcc_lo, 0, v12, vcc_lo
	v_add_co_u32 v15, vcc_lo, 0x800, v15
	v_add_co_ci_u32_e32 v16, vcc_lo, 0, v16, vcc_lo
	;; [unrolled: 2-line block ×3, first 2 shown]
	v_cmp_ge_i64_e32 vcc_lo, v[11:12], v[5:6]
	s_or_b32 s11, vcc_lo, s11
	s_waitcnt vmcnt(3)
	v_lshlrev_b32_e32 v93, 16, v53
	v_lshlrev_b32_e32 v63, 16, v19
	v_and_b32_e32 v19, 0xffff0000, v19
	v_and_b32_e32 v53, 0xffff0000, v53
	s_delay_alu instid0(VALU_DEP_3) | instskip(SKIP_1) | instid1(VALU_DEP_1)
	v_dual_fmac_f32 v24, v63, v93 :: v_dual_lshlrev_b32 v71, 16, v31
	s_waitcnt vmcnt(2)
	v_dual_fmac_f32 v24, v19, v53 :: v_dual_lshlrev_b32 v19, 16, v55
	v_lshlrev_b32_e32 v61, 16, v17
	v_and_b32_e32 v17, 0xffff0000, v17
	s_delay_alu instid0(VALU_DEP_2) | instskip(NEXT) | instid1(VALU_DEP_1)
	v_dual_fmac_f32 v22, v61, v93 :: v_dual_lshlrev_b32 v67, 16, v27
	v_dual_fmac_f32 v22, v17, v53 :: v_dual_lshlrev_b32 v61, 16, v54
	v_and_b32_e32 v17, 0xffff0000, v54
	v_lshlrev_b32_e32 v70, 16, v30
	v_lshlrev_b32_e32 v65, 16, v25
	;; [unrolled: 1-line block ×3, first 2 shown]
	v_dual_fmac_f32 v21, v67, v93 :: v_dual_and_b32 v18, 0xffff0000, v18
	s_delay_alu instid0(VALU_DEP_3) | instskip(NEXT) | instid1(VALU_DEP_3)
	v_dual_fmac_f32 v23, v65, v93 :: v_dual_lshlrev_b32 v68, 16, v28
	v_dual_fmac_f32 v22, v62, v61 :: v_dual_and_b32 v27, 0xffff0000, v27
	v_lshlrev_b32_e32 v75, 16, v35
	s_delay_alu instid0(VALU_DEP_2) | instskip(NEXT) | instid1(VALU_DEP_3)
	v_fmac_f32_e32 v21, v27, v53
	v_fmac_f32_e32 v22, v18, v17
	v_lshlrev_b32_e32 v18, 16, v56
	v_and_b32_e32 v25, 0xffff0000, v25
	v_lshlrev_b32_e32 v64, 16, v20
	v_and_b32_e32 v20, 0xffff0000, v20
	v_dual_fmac_f32 v21, v68, v61 :: v_dual_lshlrev_b32 v66, 16, v26
	s_delay_alu instid0(VALU_DEP_4) | instskip(NEXT) | instid1(VALU_DEP_4)
	v_dual_fmac_f32 v23, v25, v53 :: v_dual_and_b32 v26, 0xffff0000, v26
	v_dual_fmac_f32 v24, v64, v61 :: v_dual_and_b32 v31, 0xffff0000, v31
	v_and_b32_e32 v35, 0xffff0000, v35
	s_delay_alu instid0(VALU_DEP_3) | instskip(NEXT) | instid1(VALU_DEP_3)
	v_dual_fmac_f32 v23, v66, v61 :: v_dual_fmac_f32 v22, v69, v19
	v_fmac_f32_e32 v24, v20, v17
	s_delay_alu instid0(VALU_DEP_2) | instskip(NEXT) | instid1(VALU_DEP_2)
	v_dual_fmac_f32 v23, v26, v17 :: v_dual_and_b32 v28, 0xffff0000, v28
	v_fmac_f32_e32 v24, v71, v19
	s_delay_alu instid0(VALU_DEP_2) | instskip(NEXT) | instid1(VALU_DEP_3)
	v_fmac_f32_e32 v23, v73, v19
	v_dual_fmac_f32 v21, v28, v17 :: v_dual_and_b32 v30, 0xffff0000, v30
	v_and_b32_e32 v17, 0xffff0000, v55
	v_lshlrev_b32_e32 v79, 16, v39
	v_and_b32_e32 v29, 0xffff0000, v29
	s_delay_alu instid0(VALU_DEP_4) | instskip(NEXT) | instid1(VALU_DEP_4)
	v_dual_fmac_f32 v21, v75, v19 :: v_dual_and_b32 v32, 0xffff0000, v32
	v_dual_fmac_f32 v24, v31, v17 :: v_dual_and_b32 v39, 0xffff0000, v39
	s_delay_alu instid0(VALU_DEP_3) | instskip(SKIP_1) | instid1(VALU_DEP_4)
	v_fmac_f32_e32 v22, v29, v17
	v_fmac_f32_e32 v23, v33, v17
	;; [unrolled: 1-line block ×3, first 2 shown]
	v_and_b32_e32 v17, 0xffff0000, v56
	v_lshlrev_b32_e32 v74, 16, v34
	v_lshlrev_b32_e32 v76, 16, v36
	v_fmac_f32_e32 v22, v70, v18
	v_dual_fmac_f32 v24, v72, v18 :: v_dual_lshlrev_b32 v83, 16, v43
	s_delay_alu instid0(VALU_DEP_4) | instskip(NEXT) | instid1(VALU_DEP_4)
	v_dual_fmac_f32 v23, v74, v18 :: v_dual_and_b32 v36, 0xffff0000, v36
	v_fmac_f32_e32 v21, v76, v18
	v_and_b32_e32 v34, 0xffff0000, v34
	s_delay_alu instid0(VALU_DEP_4)
	v_dual_fmac_f32 v24, v32, v17 :: v_dual_and_b32 v43, 0xffff0000, v43
	s_waitcnt vmcnt(1)
	v_lshlrev_b32_e32 v18, 16, v57
	v_fmac_f32_e32 v22, v30, v17
	v_fmac_f32_e32 v21, v36, v17
	v_dual_fmac_f32 v23, v34, v17 :: v_dual_and_b32 v40, 0xffff0000, v40
	s_delay_alu instid0(VALU_DEP_3) | instskip(NEXT) | instid1(VALU_DEP_3)
	v_dual_fmac_f32 v22, v77, v18 :: v_dual_and_b32 v17, 0xffff0000, v57
	v_fmac_f32_e32 v21, v83, v18
	v_lshlrev_b32_e32 v87, 16, v47
	v_dual_fmac_f32 v24, v79, v18 :: v_dual_and_b32 v37, 0xffff0000, v37
	v_fmac_f32_e32 v23, v81, v18
	s_delay_alu instid0(VALU_DEP_4) | instskip(NEXT) | instid1(VALU_DEP_3)
	v_dual_fmac_f32 v21, v43, v17 :: v_dual_and_b32 v38, 0xffff0000, v38
	v_dual_fmac_f32 v24, v39, v17 :: v_dual_and_b32 v47, 0xffff0000, v47
	v_lshlrev_b32_e32 v18, 16, v58
	v_fmac_f32_e32 v22, v37, v17
	v_fmac_f32_e32 v23, v41, v17
	v_and_b32_e32 v17, 0xffff0000, v58
	v_lshlrev_b32_e32 v82, 16, v42
	v_lshlrev_b32_e32 v84, 16, v44
	v_fmac_f32_e32 v22, v78, v18
	v_dual_fmac_f32 v24, v80, v18 :: v_dual_lshlrev_b32 v91, 16, v51
	s_delay_alu instid0(VALU_DEP_4) | instskip(NEXT) | instid1(VALU_DEP_4)
	v_dual_fmac_f32 v23, v82, v18 :: v_dual_and_b32 v44, 0xffff0000, v44
	v_fmac_f32_e32 v21, v84, v18
	v_and_b32_e32 v42, 0xffff0000, v42
	s_delay_alu instid0(VALU_DEP_4)
	v_dual_fmac_f32 v24, v40, v17 :: v_dual_and_b32 v51, 0xffff0000, v51
	s_waitcnt vmcnt(0)
	v_lshlrev_b32_e32 v18, 16, v59
	v_fmac_f32_e32 v22, v38, v17
	v_fmac_f32_e32 v21, v44, v17
	v_dual_fmac_f32 v23, v42, v17 :: v_dual_and_b32 v48, 0xffff0000, v48
	s_delay_alu instid0(VALU_DEP_3) | instskip(NEXT) | instid1(VALU_DEP_3)
	v_dual_fmac_f32 v22, v85, v18 :: v_dual_and_b32 v17, 0xffff0000, v59
	v_fmac_f32_e32 v21, v91, v18
	v_fmac_f32_e32 v24, v87, v18
	s_delay_alu instid0(VALU_DEP_4) | instskip(SKIP_1) | instid1(VALU_DEP_4)
	v_fmac_f32_e32 v23, v89, v18
	v_and_b32_e32 v46, 0xffff0000, v46
	v_dual_fmac_f32 v21, v51, v17 :: v_dual_lshlrev_b32 v18, 16, v60
	v_fmac_f32_e32 v22, v45, v17
	v_fmac_f32_e32 v24, v47, v17
	v_fmac_f32_e32 v23, v49, v17
	v_and_b32_e32 v17, 0xffff0000, v60
	v_lshlrev_b32_e32 v90, 16, v50
	v_lshlrev_b32_e32 v92, 16, v52
	v_fmac_f32_e32 v22, v86, v18
	v_fmac_f32_e32 v24, v88, v18
	s_delay_alu instid0(VALU_DEP_4) | instskip(NEXT) | instid1(VALU_DEP_4)
	v_dual_fmac_f32 v23, v90, v18 :: v_dual_and_b32 v52, 0xffff0000, v52
	v_fmac_f32_e32 v21, v92, v18
	v_and_b32_e32 v50, 0xffff0000, v50
	v_fmac_f32_e32 v22, v46, v17
	v_fmac_f32_e32 v24, v48, v17
	s_delay_alu instid0(VALU_DEP_4) | instskip(NEXT) | instid1(VALU_DEP_4)
	v_fmac_f32_e32 v21, v52, v17
	v_fmac_f32_e32 v23, v50, v17
	s_and_not1_b32 exec_lo, exec_lo, s11
	s_cbranch_execnz .LBB119_23
; %bb.24:
	s_or_b32 exec_lo, exec_lo, s11
.LBB119_25:
	s_delay_alu instid0(SALU_CYCLE_1)
	s_or_b32 exec_lo, exec_lo, s10
.LBB119_26:
	s_delay_alu instid0(SALU_CYCLE_1) | instskip(NEXT) | instid1(SALU_CYCLE_1)
	s_or_b32 exec_lo, exec_lo, s7
	s_and_not1_b32 vcc_lo, exec_lo, s6
	s_cbranch_vccz .LBB119_28
	s_branch .LBB119_39
.LBB119_27:
                                        ; implicit-def: $vgpr21
                                        ; implicit-def: $vgpr23
                                        ; implicit-def: $vgpr24
                                        ; implicit-def: $vgpr22
.LBB119_28:
	v_dual_mov_b32 v21, 0 :: v_dual_mov_b32 v24, 0
	v_dual_mov_b32 v23, 0 :: v_dual_mov_b32 v22, 0
	s_delay_alu instid0(VALU_DEP_4)
	s_and_saveexec_b32 s3, s2
	s_cbranch_execz .LBB119_38
; %bb.29:
	v_or_b32_e32 v11, 64, v2
	v_mov_b32_e32 v23, 0
	v_dual_mov_b32 v21, 0 :: v_dual_mov_b32 v22, 0
	v_mov_b32_e32 v24, 0
	s_delay_alu instid0(VALU_DEP_4) | instskip(NEXT) | instid1(VALU_DEP_1)
	v_sub_co_u32 v11, s2, v11, s20
	v_sub_co_ci_u32_e64 v12, null, 0, s15, s2
	v_sub_co_u32 v13, s2, s20, v2
	s_delay_alu instid0(VALU_DEP_3) | instskip(NEXT) | instid1(VALU_DEP_3)
	v_add_co_u32 v11, vcc_lo, v11, v9
	v_add_co_ci_u32_e32 v12, vcc_lo, v12, v10, vcc_lo
	v_not_b32_e32 v9, v9
	v_not_b32_e32 v10, v10
	v_sub_co_ci_u32_e64 v14, null, s15, 0, s2
	s_delay_alu instid0(VALU_DEP_4) | instskip(SKIP_4) | instid1(VALU_DEP_2)
	v_cmp_gt_i64_e32 vcc_lo, v[11:12], v[5:6]
	s_mov_b32 s2, exec_lo
	v_dual_cndmask_b32 v12, v6, v12 :: v_dual_cndmask_b32 v11, v5, v11
	v_add_co_u32 v9, vcc_lo, v13, v9
	v_add_co_ci_u32_e32 v10, vcc_lo, v14, v10, vcc_lo
	v_add_co_u32 v9, vcc_lo, v9, v11
	s_delay_alu instid0(VALU_DEP_2) | instskip(NEXT) | instid1(VALU_DEP_2)
	v_add_co_ci_u32_e32 v10, vcc_lo, v10, v12, vcc_lo
	v_lshrrev_b32_e32 v11, 6, v9
	s_delay_alu instid0(VALU_DEP_1) | instskip(NEXT) | instid1(VALU_DEP_1)
	v_add_nc_u32_e32 v11, 1, v11
	v_and_b32_e32 v11, 3, v11
	s_delay_alu instid0(VALU_DEP_1)
	v_cmpx_ne_u32_e32 0, v11
	s_cbranch_execz .LBB119_33
; %bb.30:
	v_lshlrev_b64 v[13:14], 3, v[0:1]
	v_dual_mov_b32 v12, 0 :: v_dual_lshlrev_b32 v11, 2, v11
	s_mov_b32 s6, 0
	s_delay_alu instid0(VALU_DEP_1) | instskip(NEXT) | instid1(VALU_DEP_3)
	v_mov_b32_e32 v21, v12
	v_add_co_u32 v13, vcc_lo, s8, v13
	s_delay_alu instid0(VALU_DEP_4)
	v_add_co_ci_u32_e32 v14, vcc_lo, s9, v14, vcc_lo
	v_mov_b32_e32 v23, v12
	v_mov_b32_e32 v24, v12
	;; [unrolled: 1-line block ×3, first 2 shown]
.LBB119_31:                             ; =>This Inner Loop Header: Depth=1
	global_load_b64 v[19:20], v[13:14], off
	global_load_b128 v[15:18], v[7:8], off
	s_waitcnt vmcnt(1)
	v_sub_co_u32 v19, vcc_lo, v19, s20
	v_subrev_co_ci_u32_e32 v20, vcc_lo, s15, v20, vcc_lo
	s_delay_alu instid0(VALU_DEP_1) | instskip(SKIP_1) | instid1(VALU_DEP_1)
	v_lshlrev_b64 v[19:20], 3, v[19:20]
	s_waitcnt lgkmcnt(0)
	v_add_co_u32 v19, vcc_lo, s4, v19
	s_delay_alu instid0(VALU_DEP_2)
	v_add_co_ci_u32_e32 v20, vcc_lo, s5, v20, vcc_lo
	global_load_b64 v[19:20], v[19:20], off
	global_load_b128 v[25:28], v[7:8], off offset:16
	v_add_co_u32 v7, vcc_lo, 0x800, v7
	v_add_co_ci_u32_e32 v8, vcc_lo, 0, v8, vcc_lo
	v_add_co_u32 v0, vcc_lo, v0, 64
	v_add_co_ci_u32_e32 v1, vcc_lo, 0, v1, vcc_lo
	;; [unrolled: 2-line block ×3, first 2 shown]
	v_add_co_u32 v11, vcc_lo, v11, -4
	v_add_co_ci_u32_e32 v12, vcc_lo, -1, v12, vcc_lo
	s_delay_alu instid0(VALU_DEP_1)
	v_cmp_eq_u64_e32 vcc_lo, 0, v[11:12]
	s_or_b32 s6, vcc_lo, s6
	s_waitcnt vmcnt(1)
	v_lshlrev_b32_e32 v37, 16, v19
	v_lshlrev_b32_e32 v29, 16, v15
	v_and_b32_e32 v15, 0xffff0000, v15
	v_lshlrev_b32_e32 v30, 16, v16
	v_and_b32_e32 v16, 0xffff0000, v16
	v_and_b32_e32 v19, 0xffff0000, v19
	s_waitcnt vmcnt(0)
	v_lshlrev_b32_e32 v36, 16, v28
	v_fmac_f32_e32 v24, v15, v37
	v_lshlrev_b32_e32 v31, 16, v17
	v_fmac_f32_e32 v22, v29, v37
	v_and_b32_e32 v17, 0xffff0000, v17
	v_dual_fmac_f32 v21, v16, v37 :: v_dual_lshlrev_b32 v32, 16, v18
	v_dual_fmac_f32 v23, v30, v37 :: v_dual_and_b32 v18, 0xffff0000, v18
	s_delay_alu instid0(VALU_DEP_3) | instskip(SKIP_2) | instid1(VALU_DEP_4)
	v_dual_fmac_f32 v24, v17, v19 :: v_dual_lshlrev_b32 v15, 16, v20
	v_dual_fmac_f32 v22, v31, v19 :: v_dual_lshlrev_b32 v33, 16, v25
	v_and_b32_e32 v25, 0xffff0000, v25
	v_dual_fmac_f32 v21, v18, v19 :: v_dual_lshlrev_b32 v34, 16, v26
	v_dual_fmac_f32 v23, v32, v19 :: v_dual_and_b32 v26, 0xffff0000, v26
	v_and_b32_e32 v28, 0xffff0000, v28
	v_and_b32_e32 v16, 0xffff0000, v20
	v_fmac_f32_e32 v24, v25, v15
	v_lshlrev_b32_e32 v35, 16, v27
	v_fmac_f32_e32 v22, v33, v15
	v_and_b32_e32 v27, 0xffff0000, v27
	v_fmac_f32_e32 v21, v26, v15
	s_delay_alu instid0(VALU_DEP_2) | instskip(NEXT) | instid1(VALU_DEP_4)
	v_dual_fmac_f32 v23, v34, v15 :: v_dual_fmac_f32 v24, v27, v16
	v_fmac_f32_e32 v22, v35, v16
	s_delay_alu instid0(VALU_DEP_2) | instskip(NEXT) | instid1(VALU_DEP_4)
	v_fmac_f32_e32 v23, v36, v16
	v_fmac_f32_e32 v21, v28, v16
	s_and_not1_b32 exec_lo, exec_lo, s6
	s_cbranch_execnz .LBB119_31
; %bb.32:
	s_or_b32 exec_lo, exec_lo, s6
.LBB119_33:
	s_delay_alu instid0(SALU_CYCLE_1) | instskip(NEXT) | instid1(SALU_CYCLE_1)
	s_or_b32 exec_lo, exec_lo, s2
	s_mov_b32 s2, exec_lo
	v_cmpx_lt_u64_e32 0xbf, v[9:10]
	s_cbranch_execz .LBB119_37
; %bb.34:
	v_lshlrev_b64 v[9:10], 3, v[0:1]
	s_mov_b32 s6, 0
	s_delay_alu instid0(VALU_DEP_1) | instskip(NEXT) | instid1(VALU_DEP_2)
	v_add_co_u32 v9, vcc_lo, v9, s8
	v_add_co_ci_u32_e32 v10, vcc_lo, s9, v10, vcc_lo
	s_delay_alu instid0(VALU_DEP_2) | instskip(NEXT) | instid1(VALU_DEP_2)
	v_add_co_u32 v9, vcc_lo, 0x400, v9
	v_add_co_ci_u32_e32 v10, vcc_lo, 0, v10, vcc_lo
.LBB119_35:                             ; =>This Inner Loop Header: Depth=1
	s_clause 0x3
	global_load_b64 v[19:20], v[9:10], off offset:-1024
	global_load_b64 v[45:46], v[9:10], off offset:-512
	global_load_b64 v[47:48], v[9:10], off
	global_load_b64 v[49:50], v[9:10], off offset:512
	global_load_b128 v[11:14], v[7:8], off
	v_add_co_u32 v51, vcc_lo, 0x1000, v7
	v_add_co_ci_u32_e32 v52, vcc_lo, 0, v8, vcc_lo
	s_clause 0x5
	global_load_b128 v[15:18], v[7:8], off offset:16
	global_load_b128 v[25:28], v[7:8], off offset:2048
	;; [unrolled: 1-line block ×3, first 2 shown]
	global_load_b128 v[33:36], v[51:52], off
	global_load_b128 v[37:40], v[51:52], off offset:16
	global_load_b128 v[41:44], v[51:52], off offset:2048
	s_waitcnt vmcnt(10)
	v_sub_co_u32 v19, vcc_lo, v19, s20
	v_subrev_co_ci_u32_e32 v20, vcc_lo, s15, v20, vcc_lo
	s_waitcnt vmcnt(9)
	v_sub_co_u32 v45, vcc_lo, v45, s20
	v_subrev_co_ci_u32_e32 v46, vcc_lo, s15, v46, vcc_lo
	s_waitcnt vmcnt(8)
	v_sub_co_u32 v47, vcc_lo, v47, s20
	v_lshlrev_b64 v[19:20], 3, v[19:20]
	v_subrev_co_ci_u32_e32 v48, vcc_lo, s15, v48, vcc_lo
	s_waitcnt vmcnt(7)
	v_sub_co_u32 v49, vcc_lo, v49, s20
	v_lshlrev_b64 v[45:46], 3, v[45:46]
	v_subrev_co_ci_u32_e32 v50, vcc_lo, s15, v50, vcc_lo
	v_lshlrev_b64 v[47:48], 3, v[47:48]
	s_waitcnt lgkmcnt(0)
	v_add_co_u32 v19, vcc_lo, s4, v19
	v_add_co_ci_u32_e32 v20, vcc_lo, s5, v20, vcc_lo
	v_lshlrev_b64 v[49:50], 3, v[49:50]
	v_add_co_u32 v45, vcc_lo, s4, v45
	v_add_co_ci_u32_e32 v46, vcc_lo, s5, v46, vcc_lo
	v_add_co_u32 v47, vcc_lo, s4, v47
	v_add_co_ci_u32_e32 v48, vcc_lo, s5, v48, vcc_lo
	;; [unrolled: 2-line block ×3, first 2 shown]
	s_clause 0x3
	global_load_b64 v[19:20], v[19:20], off
	global_load_b64 v[53:54], v[45:46], off
	;; [unrolled: 1-line block ×4, first 2 shown]
	global_load_b128 v[45:48], v[51:52], off offset:2064
	v_add_co_u32 v0, vcc_lo, 0x100, v0
	v_add_co_ci_u32_e32 v1, vcc_lo, 0, v1, vcc_lo
	v_add_co_u32 v9, vcc_lo, 0x800, v9
	v_add_co_ci_u32_e32 v10, vcc_lo, 0, v10, vcc_lo
	;; [unrolled: 2-line block ×3, first 2 shown]
	v_cmp_ge_i64_e32 vcc_lo, v[0:1], v[5:6]
	s_or_b32 s6, vcc_lo, s6
	s_waitcnt vmcnt(4)
	v_lshlrev_b32_e32 v87, 16, v19
	v_lshlrev_b32_e32 v52, 16, v12
	v_and_b32_e32 v12, 0xffff0000, v12
	v_and_b32_e32 v19, 0xffff0000, v19
	v_lshlrev_b32_e32 v61, 16, v17
	v_and_b32_e32 v17, 0xffff0000, v17
	s_waitcnt vmcnt(0)
	v_lshlrev_b32_e32 v85, 16, v47
	v_dual_fmac_f32 v21, v12, v87 :: v_dual_and_b32 v12, 0xffff0000, v20
	v_lshlrev_b32_e32 v51, 16, v11
	v_and_b32_e32 v11, 0xffff0000, v11
	v_lshlrev_b32_e32 v57, 16, v13
	v_and_b32_e32 v13, 0xffff0000, v13
	v_lshlrev_b32_e32 v58, 16, v14
	v_fmac_f32_e32 v22, v51, v87
	v_fmac_f32_e32 v24, v11, v87
	v_dual_fmac_f32 v23, v52, v87 :: v_dual_and_b32 v14, 0xffff0000, v14
	v_lshlrev_b32_e32 v81, 16, v43
	v_lshlrev_b32_e32 v77, 16, v39
	v_lshlrev_b32_e32 v73, 16, v35
	v_lshlrev_b32_e32 v69, 16, v31
	v_lshlrev_b32_e32 v65, 16, v27
	v_lshlrev_b32_e32 v59, 16, v15
	v_and_b32_e32 v47, 0xffff0000, v47
	v_and_b32_e32 v43, 0xffff0000, v43
	;; [unrolled: 1-line block ×7, first 2 shown]
	v_dual_fmac_f32 v22, v57, v19 :: v_dual_lshlrev_b32 v11, 16, v20
	v_fmac_f32_e32 v24, v13, v19
	v_dual_fmac_f32 v21, v14, v19 :: v_dual_lshlrev_b32 v60, 16, v16
	v_dual_fmac_f32 v23, v58, v19 :: v_dual_and_b32 v16, 0xffff0000, v16
	s_delay_alu instid0(VALU_DEP_4) | instskip(NEXT) | instid1(VALU_DEP_4)
	v_dual_fmac_f32 v22, v59, v11 :: v_dual_lshlrev_b32 v63, 16, v25
	v_dual_fmac_f32 v24, v15, v11 :: v_dual_and_b32 v25, 0xffff0000, v25
	s_delay_alu instid0(VALU_DEP_3) | instskip(NEXT) | instid1(VALU_DEP_4)
	v_dual_fmac_f32 v21, v16, v11 :: v_dual_lshlrev_b32 v62, 16, v18
	v_dual_fmac_f32 v23, v60, v11 :: v_dual_and_b32 v18, 0xffff0000, v18
	s_delay_alu instid0(VALU_DEP_4) | instskip(NEXT) | instid1(VALU_DEP_4)
	v_dual_fmac_f32 v22, v61, v12 :: v_dual_lshlrev_b32 v11, 16, v53
	v_dual_fmac_f32 v24, v17, v12 :: v_dual_lshlrev_b32 v67, 16, v29
	s_delay_alu instid0(VALU_DEP_3) | instskip(NEXT) | instid1(VALU_DEP_4)
	v_dual_fmac_f32 v21, v18, v12 :: v_dual_lshlrev_b32 v64, 16, v26
	v_dual_fmac_f32 v23, v62, v12 :: v_dual_and_b32 v26, 0xffff0000, v26
	s_delay_alu instid0(VALU_DEP_3) | instskip(SKIP_2) | instid1(VALU_DEP_4)
	v_dual_fmac_f32 v24, v25, v11 :: v_dual_and_b32 v29, 0xffff0000, v29
	v_and_b32_e32 v12, 0xffff0000, v53
	v_fmac_f32_e32 v22, v63, v11
	v_fmac_f32_e32 v21, v26, v11
	v_dual_fmac_f32 v23, v64, v11 :: v_dual_lshlrev_b32 v68, 16, v30
	v_and_b32_e32 v30, 0xffff0000, v30
	v_lshlrev_b32_e32 v11, 16, v54
	v_lshlrev_b32_e32 v66, 16, v28
	v_and_b32_e32 v28, 0xffff0000, v28
	v_fmac_f32_e32 v22, v65, v12
	v_dual_fmac_f32 v24, v27, v12 :: v_dual_lshlrev_b32 v71, 16, v33
	s_delay_alu instid0(VALU_DEP_4) | instskip(NEXT) | instid1(VALU_DEP_3)
	v_fmac_f32_e32 v23, v66, v12
	v_dual_fmac_f32 v21, v28, v12 :: v_dual_fmac_f32 v22, v67, v11
	s_delay_alu instid0(VALU_DEP_3) | instskip(NEXT) | instid1(VALU_DEP_3)
	v_dual_fmac_f32 v24, v29, v11 :: v_dual_and_b32 v33, 0xffff0000, v33
	v_dual_fmac_f32 v23, v68, v11 :: v_dual_and_b32 v12, 0xffff0000, v54
	s_delay_alu instid0(VALU_DEP_3)
	v_dual_fmac_f32 v21, v30, v11 :: v_dual_lshlrev_b32 v72, 16, v34
	v_and_b32_e32 v34, 0xffff0000, v34
	v_lshlrev_b32_e32 v11, 16, v55
	v_lshlrev_b32_e32 v70, 16, v32
	v_and_b32_e32 v32, 0xffff0000, v32
	v_fmac_f32_e32 v22, v69, v12
	v_dual_fmac_f32 v24, v31, v12 :: v_dual_lshlrev_b32 v75, 16, v37
	s_delay_alu instid0(VALU_DEP_4) | instskip(NEXT) | instid1(VALU_DEP_3)
	v_fmac_f32_e32 v23, v70, v12
	v_dual_fmac_f32 v21, v32, v12 :: v_dual_fmac_f32 v22, v71, v11
	s_delay_alu instid0(VALU_DEP_3) | instskip(SKIP_1) | instid1(VALU_DEP_4)
	v_dual_fmac_f32 v24, v33, v11 :: v_dual_and_b32 v37, 0xffff0000, v37
	v_and_b32_e32 v12, 0xffff0000, v55
	v_dual_fmac_f32 v23, v72, v11 :: v_dual_lshlrev_b32 v76, 16, v38
	s_delay_alu instid0(VALU_DEP_4)
	v_dual_fmac_f32 v21, v34, v11 :: v_dual_and_b32 v38, 0xffff0000, v38
	v_lshlrev_b32_e32 v11, 16, v56
	v_lshlrev_b32_e32 v74, 16, v36
	v_and_b32_e32 v36, 0xffff0000, v36
	v_fmac_f32_e32 v22, v73, v12
	v_dual_fmac_f32 v24, v35, v12 :: v_dual_lshlrev_b32 v79, 16, v41
	s_delay_alu instid0(VALU_DEP_4) | instskip(NEXT) | instid1(VALU_DEP_3)
	v_fmac_f32_e32 v23, v74, v12
	v_dual_fmac_f32 v21, v36, v12 :: v_dual_fmac_f32 v22, v75, v11
	s_delay_alu instid0(VALU_DEP_3) | instskip(NEXT) | instid1(VALU_DEP_3)
	v_dual_fmac_f32 v24, v37, v11 :: v_dual_and_b32 v41, 0xffff0000, v41
	v_dual_fmac_f32 v23, v76, v11 :: v_dual_and_b32 v12, 0xffff0000, v56
	s_delay_alu instid0(VALU_DEP_3)
	v_dual_fmac_f32 v21, v38, v11 :: v_dual_lshlrev_b32 v80, 16, v42
	v_and_b32_e32 v42, 0xffff0000, v42
	v_lshlrev_b32_e32 v11, 16, v49
	v_lshlrev_b32_e32 v78, 16, v40
	v_and_b32_e32 v40, 0xffff0000, v40
	v_fmac_f32_e32 v22, v77, v12
	v_dual_fmac_f32 v24, v39, v12 :: v_dual_lshlrev_b32 v83, 16, v45
	s_delay_alu instid0(VALU_DEP_4) | instskip(NEXT) | instid1(VALU_DEP_3)
	v_fmac_f32_e32 v23, v78, v12
	v_dual_fmac_f32 v21, v40, v12 :: v_dual_fmac_f32 v22, v79, v11
	s_delay_alu instid0(VALU_DEP_3) | instskip(NEXT) | instid1(VALU_DEP_3)
	v_dual_fmac_f32 v24, v41, v11 :: v_dual_and_b32 v45, 0xffff0000, v45
	v_dual_fmac_f32 v23, v80, v11 :: v_dual_and_b32 v12, 0xffff0000, v49
	s_delay_alu instid0(VALU_DEP_3)
	v_dual_fmac_f32 v21, v42, v11 :: v_dual_lshlrev_b32 v84, 16, v46
	v_and_b32_e32 v46, 0xffff0000, v46
	v_lshlrev_b32_e32 v11, 16, v50
	v_lshlrev_b32_e32 v82, 16, v44
	v_and_b32_e32 v44, 0xffff0000, v44
	v_fmac_f32_e32 v22, v81, v12
	v_fmac_f32_e32 v24, v43, v12
	v_lshlrev_b32_e32 v86, 16, v48
	v_fmac_f32_e32 v23, v82, v12
	v_fmac_f32_e32 v21, v44, v12
	v_and_b32_e32 v48, 0xffff0000, v48
	s_delay_alu instid0(VALU_DEP_3) | instskip(NEXT) | instid1(VALU_DEP_3)
	v_dual_fmac_f32 v23, v84, v11 :: v_dual_and_b32 v12, 0xffff0000, v50
	v_fmac_f32_e32 v21, v46, v11
	v_fmac_f32_e32 v22, v83, v11
	s_delay_alu instid0(VALU_DEP_3) | instskip(NEXT) | instid1(VALU_DEP_3)
	v_dual_fmac_f32 v24, v45, v11 :: v_dual_fmac_f32 v23, v86, v12
	v_fmac_f32_e32 v21, v48, v12
	s_delay_alu instid0(VALU_DEP_3) | instskip(NEXT) | instid1(VALU_DEP_3)
	v_fmac_f32_e32 v22, v85, v12
	v_fmac_f32_e32 v24, v47, v12
	s_and_not1_b32 exec_lo, exec_lo, s6
	s_cbranch_execnz .LBB119_35
; %bb.36:
	s_or_b32 exec_lo, exec_lo, s6
.LBB119_37:
	s_delay_alu instid0(SALU_CYCLE_1)
	s_or_b32 exec_lo, exec_lo, s2
.LBB119_38:
	s_delay_alu instid0(SALU_CYCLE_1)
	s_or_b32 exec_lo, exec_lo, s3
.LBB119_39:
	v_mbcnt_lo_u32_b32 v0, -1, 0
	s_mov_b32 s2, -1
	s_delay_alu instid0(VALU_DEP_1) | instskip(SKIP_2) | instid1(VALU_DEP_3)
	v_or_b32_e32 v1, 32, v0
	v_xor_b32_e32 v8, 16, v0
	v_xor_b32_e32 v12, 8, v0
	v_cmp_gt_i32_e32 vcc_lo, 32, v1
	v_cndmask_b32_e32 v1, v0, v1, vcc_lo
	s_delay_alu instid0(VALU_DEP_4) | instskip(SKIP_2) | instid1(VALU_DEP_2)
	v_cmp_gt_i32_e32 vcc_lo, 32, v8
	v_cndmask_b32_e32 v8, v0, v8, vcc_lo
	v_cmp_gt_i32_e32 vcc_lo, 32, v12
	v_lshlrev_b32_e32 v8, 2, v8
	v_dual_cndmask_b32 v12, v0, v12 :: v_dual_lshlrev_b32 v1, 2, v1
	ds_bpermute_b32 v6, v1, v24
	v_lshlrev_b32_e32 v12, 2, v12
	s_waitcnt lgkmcnt(0)
	v_add_f32_e32 v6, v24, v6
	ds_bpermute_b32 v5, v1, v22
	ds_bpermute_b32 v7, v1, v23
	;; [unrolled: 1-line block ×4, first 2 shown]
	s_waitcnt lgkmcnt(3)
	v_add_f32_e32 v5, v22, v5
	s_waitcnt lgkmcnt(2)
	v_add_f32_e32 v7, v23, v7
	s_waitcnt lgkmcnt(0)
	v_dual_add_f32 v1, v21, v1 :: v_dual_add_f32 v6, v6, v10
	ds_bpermute_b32 v9, v8, v5
	ds_bpermute_b32 v11, v8, v7
	;; [unrolled: 1-line block ×3, first 2 shown]
	s_waitcnt lgkmcnt(2)
	v_add_f32_e32 v5, v5, v9
	s_waitcnt lgkmcnt(1)
	v_add_f32_e32 v7, v7, v11
	ds_bpermute_b32 v9, v12, v6
	s_waitcnt lgkmcnt(1)
	v_add_f32_e32 v1, v1, v8
	ds_bpermute_b32 v8, v12, v5
	ds_bpermute_b32 v10, v12, v7
	s_waitcnt lgkmcnt(2)
	v_add_f32_e32 v6, v6, v9
	ds_bpermute_b32 v11, v12, v1
	v_xor_b32_e32 v12, 4, v0
	s_delay_alu instid0(VALU_DEP_1) | instskip(SKIP_3) | instid1(VALU_DEP_1)
	v_cmp_gt_i32_e32 vcc_lo, 32, v12
	s_waitcnt lgkmcnt(1)
	v_dual_cndmask_b32 v12, v0, v12 :: v_dual_add_f32 v7, v7, v10
	s_waitcnt lgkmcnt(0)
	v_dual_add_f32 v1, v1, v11 :: v_dual_lshlrev_b32 v12, 2, v12
	ds_bpermute_b32 v9, v12, v6
	v_add_f32_e32 v5, v5, v8
	ds_bpermute_b32 v10, v12, v7
	ds_bpermute_b32 v11, v12, v1
	s_waitcnt lgkmcnt(2)
	v_add_f32_e32 v6, v6, v9
	ds_bpermute_b32 v8, v12, v5
	v_xor_b32_e32 v12, 2, v0
	s_waitcnt lgkmcnt(2)
	v_add_f32_e32 v7, v7, v10
	s_delay_alu instid0(VALU_DEP_2) | instskip(SKIP_1) | instid1(VALU_DEP_1)
	v_cmp_gt_i32_e32 vcc_lo, 32, v12
	v_cndmask_b32_e32 v12, v0, v12, vcc_lo
	v_lshlrev_b32_e32 v12, 2, v12
	s_waitcnt lgkmcnt(0)
	v_add_f32_e32 v5, v5, v8
	ds_bpermute_b32 v9, v12, v6
	v_add_f32_e32 v8, v1, v11
	ds_bpermute_b32 v10, v12, v7
	ds_bpermute_b32 v1, v12, v5
	;; [unrolled: 1-line block ×3, first 2 shown]
	v_xor_b32_e32 v12, 1, v0
	s_delay_alu instid0(VALU_DEP_1) | instskip(SKIP_2) | instid1(VALU_DEP_2)
	v_cmp_gt_i32_e32 vcc_lo, 32, v12
	v_cndmask_b32_e32 v0, v0, v12, vcc_lo
	v_cmp_eq_u32_e32 vcc_lo, 63, v2
	v_lshlrev_b32_e32 v12, 2, v0
	s_waitcnt lgkmcnt(1)
	v_dual_add_f32 v0, v5, v1 :: v_dual_add_f32 v5, v7, v10
	s_waitcnt lgkmcnt(0)
	v_dual_add_f32 v1, v6, v9 :: v_dual_add_f32 v6, v8, v11
	ds_bpermute_b32 v7, v12, v0
	ds_bpermute_b32 v9, v12, v5
	;; [unrolled: 1-line block ×4, first 2 shown]
	s_and_b32 exec_lo, exec_lo, vcc_lo
	s_cbranch_execz .LBB119_10
; %bb.40:
	s_load_b64 s[0:1], s[0:1], 0x58
	s_waitcnt lgkmcnt(0)
	v_dual_add_f32 v0, v0, v7 :: v_dual_add_f32 v1, v1, v8
	v_add_f32_e32 v6, v6, v10
	v_cmp_eq_f32_e64 s3, s12, 0
	s_delay_alu instid0(VALU_DEP_3) | instskip(SKIP_4) | instid1(VALU_DEP_3)
	v_dual_mul_f32 v0, s16, v0 :: v_dual_mul_f32 v1, s16, v1
	v_add_f32_e32 v2, v5, v9
	v_lshlrev_b64 v[4:5], 4, v[3:4]
	v_mul_f32_e32 v3, s16, v6
	s_and_b32 vcc_lo, exec_lo, s3
	v_mul_f32_e32 v2, s16, v2
	s_cbranch_vccz .LBB119_42
; %bb.41:
	s_delay_alu instid0(VALU_DEP_3)
	v_add_co_u32 v6, vcc_lo, s0, v4
	v_add_co_ci_u32_e32 v7, vcc_lo, s1, v5, vcc_lo
	s_mov_b32 s2, 0
	global_store_b128 v[6:7], v[0:3], off
.LBB119_42:
	s_and_not1_b32 vcc_lo, exec_lo, s2
	s_cbranch_vccnz .LBB119_10
; %bb.43:
	v_add_co_u32 v8, vcc_lo, s0, v4
	v_add_co_ci_u32_e32 v9, vcc_lo, s1, v5, vcc_lo
	global_load_b128 v[4:7], v[8:9], off
	s_waitcnt vmcnt(0)
	v_dual_fmac_f32 v0, s12, v4 :: v_dual_fmac_f32 v1, s12, v5
	v_dual_fmac_f32 v2, s12, v6 :: v_dual_fmac_f32 v3, s12, v7
	global_store_b128 v[8:9], v[0:3], off
	s_nop 0
	s_sendmsg sendmsg(MSG_DEALLOC_VGPRS)
	s_endpgm
	.section	.rodata,"a",@progbits
	.p2align	6, 0x0
	.amdhsa_kernel _ZN9rocsparseL18bsrxmvn_4x4_kernelILj128ELj64Efll18rocsparse_bfloat16S1_fEEvT3_20rocsparse_direction_NS_24const_host_device_scalarIT1_EES2_PKS2_PKT2_SB_S8_PKT4_PKT5_S6_PT6_21rocsparse_index_base_b
		.amdhsa_group_segment_fixed_size 0
		.amdhsa_private_segment_fixed_size 0
		.amdhsa_kernarg_size 104
		.amdhsa_user_sgpr_count 15
		.amdhsa_user_sgpr_dispatch_ptr 0
		.amdhsa_user_sgpr_queue_ptr 0
		.amdhsa_user_sgpr_kernarg_segment_ptr 1
		.amdhsa_user_sgpr_dispatch_id 0
		.amdhsa_user_sgpr_private_segment_size 0
		.amdhsa_wavefront_size32 1
		.amdhsa_uses_dynamic_stack 0
		.amdhsa_enable_private_segment 0
		.amdhsa_system_sgpr_workgroup_id_x 1
		.amdhsa_system_sgpr_workgroup_id_y 0
		.amdhsa_system_sgpr_workgroup_id_z 0
		.amdhsa_system_sgpr_workgroup_info 0
		.amdhsa_system_vgpr_workitem_id 0
		.amdhsa_next_free_vgpr 94
		.amdhsa_next_free_sgpr 22
		.amdhsa_reserve_vcc 1
		.amdhsa_float_round_mode_32 0
		.amdhsa_float_round_mode_16_64 0
		.amdhsa_float_denorm_mode_32 3
		.amdhsa_float_denorm_mode_16_64 3
		.amdhsa_dx10_clamp 1
		.amdhsa_ieee_mode 1
		.amdhsa_fp16_overflow 0
		.amdhsa_workgroup_processor_mode 1
		.amdhsa_memory_ordered 1
		.amdhsa_forward_progress 0
		.amdhsa_shared_vgpr_count 0
		.amdhsa_exception_fp_ieee_invalid_op 0
		.amdhsa_exception_fp_denorm_src 0
		.amdhsa_exception_fp_ieee_div_zero 0
		.amdhsa_exception_fp_ieee_overflow 0
		.amdhsa_exception_fp_ieee_underflow 0
		.amdhsa_exception_fp_ieee_inexact 0
		.amdhsa_exception_int_div_zero 0
	.end_amdhsa_kernel
	.section	.text._ZN9rocsparseL18bsrxmvn_4x4_kernelILj128ELj64Efll18rocsparse_bfloat16S1_fEEvT3_20rocsparse_direction_NS_24const_host_device_scalarIT1_EES2_PKS2_PKT2_SB_S8_PKT4_PKT5_S6_PT6_21rocsparse_index_base_b,"axG",@progbits,_ZN9rocsparseL18bsrxmvn_4x4_kernelILj128ELj64Efll18rocsparse_bfloat16S1_fEEvT3_20rocsparse_direction_NS_24const_host_device_scalarIT1_EES2_PKS2_PKT2_SB_S8_PKT4_PKT5_S6_PT6_21rocsparse_index_base_b,comdat
.Lfunc_end119:
	.size	_ZN9rocsparseL18bsrxmvn_4x4_kernelILj128ELj64Efll18rocsparse_bfloat16S1_fEEvT3_20rocsparse_direction_NS_24const_host_device_scalarIT1_EES2_PKS2_PKT2_SB_S8_PKT4_PKT5_S6_PT6_21rocsparse_index_base_b, .Lfunc_end119-_ZN9rocsparseL18bsrxmvn_4x4_kernelILj128ELj64Efll18rocsparse_bfloat16S1_fEEvT3_20rocsparse_direction_NS_24const_host_device_scalarIT1_EES2_PKS2_PKT2_SB_S8_PKT4_PKT5_S6_PT6_21rocsparse_index_base_b
                                        ; -- End function
	.section	.AMDGPU.csdata,"",@progbits
; Kernel info:
; codeLenInByte = 5036
; NumSgprs: 24
; NumVgprs: 94
; ScratchSize: 0
; MemoryBound: 0
; FloatMode: 240
; IeeeMode: 1
; LDSByteSize: 0 bytes/workgroup (compile time only)
; SGPRBlocks: 2
; VGPRBlocks: 11
; NumSGPRsForWavesPerEU: 24
; NumVGPRsForWavesPerEU: 94
; Occupancy: 16
; WaveLimiterHint : 1
; COMPUTE_PGM_RSRC2:SCRATCH_EN: 0
; COMPUTE_PGM_RSRC2:USER_SGPR: 15
; COMPUTE_PGM_RSRC2:TRAP_HANDLER: 0
; COMPUTE_PGM_RSRC2:TGID_X_EN: 1
; COMPUTE_PGM_RSRC2:TGID_Y_EN: 0
; COMPUTE_PGM_RSRC2:TGID_Z_EN: 0
; COMPUTE_PGM_RSRC2:TIDIG_COMP_CNT: 0
	.section	.text._ZN9rocsparseL18bsrxmvn_4x4_kernelILj128ELj4E21rocsparse_complex_numIfEiifS2_S2_EEvT3_20rocsparse_direction_NS_24const_host_device_scalarIT1_EES3_PKS3_PKT2_SC_S9_PKT4_PKT5_S7_PT6_21rocsparse_index_base_b,"axG",@progbits,_ZN9rocsparseL18bsrxmvn_4x4_kernelILj128ELj4E21rocsparse_complex_numIfEiifS2_S2_EEvT3_20rocsparse_direction_NS_24const_host_device_scalarIT1_EES3_PKS3_PKT2_SC_S9_PKT4_PKT5_S7_PT6_21rocsparse_index_base_b,comdat
	.globl	_ZN9rocsparseL18bsrxmvn_4x4_kernelILj128ELj4E21rocsparse_complex_numIfEiifS2_S2_EEvT3_20rocsparse_direction_NS_24const_host_device_scalarIT1_EES3_PKS3_PKT2_SC_S9_PKT4_PKT5_S7_PT6_21rocsparse_index_base_b ; -- Begin function _ZN9rocsparseL18bsrxmvn_4x4_kernelILj128ELj4E21rocsparse_complex_numIfEiifS2_S2_EEvT3_20rocsparse_direction_NS_24const_host_device_scalarIT1_EES3_PKS3_PKT2_SC_S9_PKT4_PKT5_S7_PT6_21rocsparse_index_base_b
	.p2align	8
	.type	_ZN9rocsparseL18bsrxmvn_4x4_kernelILj128ELj4E21rocsparse_complex_numIfEiifS2_S2_EEvT3_20rocsparse_direction_NS_24const_host_device_scalarIT1_EES3_PKS3_PKT2_SC_S9_PKT4_PKT5_S7_PT6_21rocsparse_index_base_b,@function
_ZN9rocsparseL18bsrxmvn_4x4_kernelILj128ELj4E21rocsparse_complex_numIfEiifS2_S2_EEvT3_20rocsparse_direction_NS_24const_host_device_scalarIT1_EES3_PKS3_PKT2_SC_S9_PKT4_PKT5_S7_PT6_21rocsparse_index_base_b: ; @_ZN9rocsparseL18bsrxmvn_4x4_kernelILj128ELj4E21rocsparse_complex_numIfEiifS2_S2_EEvT3_20rocsparse_direction_NS_24const_host_device_scalarIT1_EES3_PKS3_PKT2_SC_S9_PKT4_PKT5_S7_PT6_21rocsparse_index_base_b
; %bb.0:
	s_clause 0x2
	s_load_b64 s[12:13], s[0:1], 0x58
	s_load_b64 s[4:5], s[0:1], 0x8
	;; [unrolled: 1-line block ×3, first 2 shown]
	s_waitcnt lgkmcnt(0)
	s_bitcmp1_b32 s13, 0
	v_mov_b32_e32 v59, s4
	s_cselect_b32 s6, -1, 0
	s_delay_alu instid0(SALU_CYCLE_1)
	s_and_b32 vcc_lo, exec_lo, s6
	s_xor_b32 s6, s6, -1
	s_cbranch_vccz .LBB120_14
; %bb.1:
	v_cndmask_b32_e64 v1, 0, 1, s6
	v_mov_b32_e32 v60, s5
	s_and_not1_b32 vcc_lo, exec_lo, s6
	s_cbranch_vccz .LBB120_15
.LBB120_2:
	s_delay_alu instid0(VALU_DEP_2)
	v_cmp_ne_u32_e32 vcc_lo, 1, v1
	v_mov_b32_e32 v57, s2
	s_cbranch_vccz .LBB120_16
.LBB120_3:
	v_cmp_ne_u32_e32 vcc_lo, 1, v1
	v_mov_b32_e32 v58, s3
	s_cbranch_vccnz .LBB120_5
.LBB120_4:
	v_dual_mov_b32 v1, s2 :: v_dual_mov_b32 v2, s3
	flat_load_b32 v58, v[1:2] offset:4
.LBB120_5:
	s_waitcnt vmcnt(0) lgkmcnt(0)
	v_cmp_eq_f32_e32 vcc_lo, 0, v59
	v_cmp_eq_f32_e64 s2, 0, v60
	s_delay_alu instid0(VALU_DEP_1)
	s_and_b32 s4, vcc_lo, s2
	s_mov_b32 s2, -1
	s_and_saveexec_b32 s3, s4
; %bb.6:
	v_cmp_neq_f32_e32 vcc_lo, 1.0, v57
	v_cmp_neq_f32_e64 s2, 0, v58
	s_delay_alu instid0(VALU_DEP_1) | instskip(NEXT) | instid1(SALU_CYCLE_1)
	s_or_b32 s2, vcc_lo, s2
	s_or_not1_b32 s2, s2, exec_lo
; %bb.7:
	s_or_b32 exec_lo, exec_lo, s3
	s_and_saveexec_b32 s3, s2
	s_cbranch_execz .LBB120_13
; %bb.8:
	s_clause 0x1
	s_load_b64 s[4:5], s[0:1], 0x18
	s_load_b64 s[2:3], s[0:1], 0x0
	v_lshrrev_b32_e32 v1, 2, v0
	s_delay_alu instid0(VALU_DEP_1)
	v_lshl_or_b32 v52, s15, 5, v1
	s_waitcnt lgkmcnt(0)
	s_cmp_lg_u64 s[4:5], 0
	s_cbranch_scc0 .LBB120_17
; %bb.9:
	s_load_b32 s6, s[0:1], 0x10
	s_mov_b32 s7, 0
                                        ; implicit-def: $vgpr1
	s_waitcnt lgkmcnt(0)
	v_cmp_gt_i32_e32 vcc_lo, s6, v52
	s_mov_b32 s6, 0
	s_and_saveexec_b32 s8, vcc_lo
	s_delay_alu instid0(SALU_CYCLE_1)
	s_xor_b32 s8, exec_lo, s8
	s_cbranch_execz .LBB120_11
; %bb.10:
	v_ashrrev_i32_e32 v53, 31, v52
	s_mov_b32 s6, exec_lo
	s_delay_alu instid0(VALU_DEP_1) | instskip(NEXT) | instid1(VALU_DEP_1)
	v_lshlrev_b64 v[1:2], 2, v[52:53]
	v_add_co_u32 v1, vcc_lo, s4, v1
	s_delay_alu instid0(VALU_DEP_2)
	v_add_co_ci_u32_e32 v2, vcc_lo, s5, v2, vcc_lo
	global_load_b32 v1, v[1:2], off
	s_waitcnt vmcnt(0)
	v_subrev_nc_u32_e32 v1, s12, v1
.LBB120_11:
	s_or_b32 exec_lo, exec_lo, s8
	s_delay_alu instid0(SALU_CYCLE_1)
	s_and_b32 vcc_lo, exec_lo, s7
	s_cbranch_vccz .LBB120_18
.LBB120_12:
	v_cmp_gt_i32_e32 vcc_lo, s2, v52
	s_and_not1_b32 s2, s6, exec_lo
	s_and_b32 s4, vcc_lo, exec_lo
	s_delay_alu instid0(SALU_CYCLE_1) | instskip(NEXT) | instid1(SALU_CYCLE_1)
	s_or_b32 s6, s2, s4
	s_and_b32 exec_lo, exec_lo, s6
	s_cbranch_execnz .LBB120_19
.LBB120_13:
	s_nop 0
	s_sendmsg sendmsg(MSG_DEALLOC_VGPRS)
	s_endpgm
.LBB120_14:
	v_dual_mov_b32 v1, s4 :: v_dual_mov_b32 v2, s5
	flat_load_b32 v59, v[1:2]
	v_cndmask_b32_e64 v1, 0, 1, s6
	v_mov_b32_e32 v60, s5
	s_and_not1_b32 vcc_lo, exec_lo, s6
	s_cbranch_vccnz .LBB120_2
.LBB120_15:
	v_dual_mov_b32 v2, s4 :: v_dual_mov_b32 v3, s5
	flat_load_b32 v60, v[2:3] offset:4
	v_cmp_ne_u32_e32 vcc_lo, 1, v1
	v_mov_b32_e32 v57, s2
	s_cbranch_vccnz .LBB120_3
.LBB120_16:
	v_dual_mov_b32 v2, s2 :: v_dual_mov_b32 v3, s3
	flat_load_b32 v57, v[2:3]
	v_cmp_ne_u32_e32 vcc_lo, 1, v1
	v_mov_b32_e32 v58, s3
	s_cbranch_vccz .LBB120_4
	s_branch .LBB120_5
.LBB120_17:
	s_mov_b32 s6, 0
                                        ; implicit-def: $vgpr1
	s_cbranch_execnz .LBB120_12
.LBB120_18:
	s_delay_alu instid0(VALU_DEP_1)
	v_mov_b32_e32 v52, v1
	s_and_b32 exec_lo, exec_lo, s6
	s_cbranch_execz .LBB120_13
.LBB120_19:
	s_load_b256 s[4:11], s[0:1], 0x20
	s_delay_alu instid0(VALU_DEP_1) | instskip(SKIP_1) | instid1(VALU_DEP_2)
	v_ashrrev_i32_e32 v53, 31, v52
	v_and_b32_e32 v61, 3, v0
	v_lshlrev_b64 v[1:2], 2, v[52:53]
	s_waitcnt lgkmcnt(0)
	s_delay_alu instid0(VALU_DEP_1) | instskip(NEXT) | instid1(VALU_DEP_2)
	v_add_co_u32 v3, vcc_lo, s4, v1
	v_add_co_ci_u32_e32 v4, vcc_lo, s5, v2, vcc_lo
	v_add_co_u32 v1, vcc_lo, s6, v1
	v_add_co_ci_u32_e32 v2, vcc_lo, s7, v2, vcc_lo
	global_load_b32 v36, v[3:4], off
	v_add_co_u32 v3, vcc_lo, v3, 4
	v_add_co_ci_u32_e32 v4, vcc_lo, 0, v4, vcc_lo
	s_cmp_eq_u64 s[6:7], 0
	s_load_b64 s[4:5], s[0:1], 0x40
	s_cselect_b32 vcc_lo, -1, 0
	s_cmp_eq_u32 s3, 1
	v_dual_cndmask_b32 v2, v2, v4 :: v_dual_cndmask_b32 v1, v1, v3
	global_load_b32 v2, v[1:2], off
	s_waitcnt vmcnt(1)
	v_subrev_nc_u32_e32 v0, s12, v36
	s_delay_alu instid0(VALU_DEP_1) | instskip(NEXT) | instid1(VALU_DEP_1)
	v_add_nc_u32_e32 v53, v0, v61
	v_ashrrev_i32_e32 v54, 31, v53
	s_waitcnt vmcnt(0)
	v_subrev_nc_u32_e32 v64, s12, v2
	s_delay_alu instid0(VALU_DEP_2) | instskip(NEXT) | instid1(VALU_DEP_2)
	v_lshlrev_b64 v[0:1], 6, v[53:54]
	v_cmp_lt_i32_e64 s2, v53, v64
	s_delay_alu instid0(VALU_DEP_2) | instskip(NEXT) | instid1(VALU_DEP_3)
	v_add_co_u32 v55, vcc_lo, s10, v0
	v_add_co_ci_u32_e32 v56, vcc_lo, s11, v1, vcc_lo
	s_cbranch_scc1 .LBB120_31
; %bb.20:
	v_dual_mov_b32 v62, 0 :: v_dual_mov_b32 v65, 0
	v_dual_mov_b32 v66, 0 :: v_dual_mov_b32 v67, 0
	;; [unrolled: 1-line block ×4, first 2 shown]
	s_mov_b32 s3, 0
	s_and_saveexec_b32 s6, s2
	s_cbranch_execz .LBB120_30
; %bb.21:
	v_dual_mov_b32 v63, 0 :: v_dual_add_nc_u32 v0, v36, v61
	v_not_b32_e32 v1, v36
	v_dual_mov_b32 v68, 0 :: v_dual_mov_b32 v67, 0
	s_delay_alu instid0(VALU_DEP_3) | instskip(SKIP_2) | instid1(VALU_DEP_3)
	v_subrev_nc_u32_e32 v0, s12, v0
	v_dual_mov_b32 v65, 0 :: v_dual_mov_b32 v62, 0
	v_dual_mov_b32 v32, v55 :: v_dual_mov_b32 v33, v56
	v_dual_mov_b32 v69, 0 :: v_dual_add_nc_u32 v0, 4, v0
	v_mov_b32_e32 v34, v53
	s_mov_b32 s10, 0
	s_mov_b32 s7, exec_lo
	s_delay_alu instid0(VALU_DEP_2) | instskip(SKIP_2) | instid1(VALU_DEP_3)
	v_max_i32_e32 v0, v0, v64
	v_mov_b32_e32 v70, 0
	v_mov_b32_e32 v66, 0
	v_add3_u32 v0, v0, s12, v1
	s_delay_alu instid0(VALU_DEP_1) | instskip(NEXT) | instid1(VALU_DEP_1)
	v_sub_nc_u32_e32 v0, v0, v61
	v_lshrrev_b32_e32 v1, 2, v0
	s_delay_alu instid0(VALU_DEP_1) | instskip(NEXT) | instid1(VALU_DEP_1)
	v_add_nc_u32_e32 v1, 1, v1
	v_and_b32_e32 v1, 3, v1
	s_delay_alu instid0(VALU_DEP_1)
	v_cmpx_ne_u32_e32 0, v1
	s_cbranch_execz .LBB120_25
; %bb.22:
	v_dual_mov_b32 v32, v55 :: v_dual_mov_b32 v65, 0
	v_dual_mov_b32 v62, 0 :: v_dual_lshlrev_b32 v1, 6, v1
	v_dual_mov_b32 v34, v53 :: v_dual_mov_b32 v33, v56
	v_dual_mov_b32 v66, 0 :: v_dual_mov_b32 v67, 0
	;; [unrolled: 1-line block ×4, first 2 shown]
.LBB120_23:                             ; =>This Inner Loop Header: Depth=1
	s_delay_alu instid0(VALU_DEP_4) | instskip(SKIP_1) | instid1(VALU_DEP_2)
	v_ashrrev_i32_e32 v35, 31, v34
	v_subrev_nc_u32_e32 v1, 64, v1
	v_lshlrev_b64 v[2:3], 2, v[34:35]
	s_delay_alu instid0(VALU_DEP_1) | instskip(NEXT) | instid1(VALU_DEP_2)
	v_add_co_u32 v2, vcc_lo, s8, v2
	v_add_co_ci_u32_e32 v3, vcc_lo, s9, v3, vcc_lo
	global_load_b32 v18, v[2:3], off
	s_clause 0x3
	global_load_b128 v[2:5], v[32:33], off offset:48
	global_load_b128 v[6:9], v[32:33], off offset:32
	;; [unrolled: 1-line block ×3, first 2 shown]
	global_load_b128 v[14:17], v[32:33], off
	s_waitcnt vmcnt(4)
	v_subrev_nc_u32_e32 v18, s12, v18
	s_delay_alu instid0(VALU_DEP_1) | instskip(NEXT) | instid1(VALU_DEP_1)
	v_lshlrev_b32_e32 v18, 2, v18
	v_ashrrev_i32_e32 v19, 31, v18
	s_delay_alu instid0(VALU_DEP_1) | instskip(SKIP_1) | instid1(VALU_DEP_1)
	v_lshlrev_b64 v[18:19], 3, v[18:19]
	s_waitcnt lgkmcnt(0)
	v_add_co_u32 v22, vcc_lo, s4, v18
	s_delay_alu instid0(VALU_DEP_2)
	v_add_co_ci_u32_e32 v23, vcc_lo, s5, v19, vcc_lo
	v_add_co_u32 v32, vcc_lo, 0x100, v32
	v_add_co_ci_u32_e32 v33, vcc_lo, 0, v33, vcc_lo
	s_clause 0x1
	global_load_b128 v[18:21], v[22:23], off
	global_load_b128 v[22:25], v[22:23], off offset:16
	v_cmp_eq_u32_e32 vcc_lo, 0, v1
	s_or_b32 s10, vcc_lo, s10
	s_waitcnt vmcnt(1)
	v_fmac_f32_e32 v68, 0, v18
	v_fmac_f32_e32 v70, 0, v18
	s_delay_alu instid0(VALU_DEP_2) | instskip(SKIP_1) | instid1(VALU_DEP_3)
	v_fmac_f32_e32 v68, v6, v19
	v_fmac_f32_e32 v69, v6, v18
	;; [unrolled: 1-line block ×3, first 2 shown]
	s_delay_alu instid0(VALU_DEP_3) | instskip(NEXT) | instid1(VALU_DEP_3)
	v_dual_fmac_f32 v63, v2, v18 :: v_dual_fmac_f32 v68, 0, v20
	v_dual_fmac_f32 v62, 0, v18 :: v_dual_fmac_f32 v69, 0x80000000, v19
	s_delay_alu instid0(VALU_DEP_3) | instskip(NEXT) | instid1(VALU_DEP_3)
	v_fmac_f32_e32 v70, 0, v20
	v_dual_fmac_f32 v66, 0, v18 :: v_dual_fmac_f32 v63, 0x80000000, v19
	s_delay_alu instid0(VALU_DEP_3) | instskip(SKIP_1) | instid1(VALU_DEP_3)
	v_dual_fmac_f32 v62, v14, v19 :: v_dual_fmac_f32 v69, v7, v20
	v_fmac_f32_e32 v65, v14, v18
	v_dual_fmac_f32 v66, v10, v19 :: v_dual_fmac_f32 v63, v3, v20
	s_delay_alu instid0(VALU_DEP_3) | instskip(NEXT) | instid1(VALU_DEP_2)
	v_dual_fmac_f32 v67, v10, v18 :: v_dual_fmac_f32 v62, 0, v20
	v_dual_fmac_f32 v65, 0x80000000, v19 :: v_dual_fmac_f32 v66, 0, v20
	s_delay_alu instid0(VALU_DEP_2) | instskip(NEXT) | instid1(VALU_DEP_2)
	v_dual_fmac_f32 v67, 0x80000000, v19 :: v_dual_add_nc_u32 v34, 4, v34
	v_fmac_f32_e32 v65, v15, v20
	s_delay_alu instid0(VALU_DEP_2) | instskip(NEXT) | instid1(VALU_DEP_2)
	v_fmac_f32_e32 v67, v11, v20
	v_fmac_f32_e32 v65, 0x80000000, v21
	;; [unrolled: 1-line block ×3, first 2 shown]
	s_delay_alu instid0(VALU_DEP_3) | instskip(SKIP_1) | instid1(VALU_DEP_3)
	v_fmac_f32_e32 v67, 0x80000000, v21
	s_waitcnt vmcnt(0)
	v_dual_fmac_f32 v66, v11, v21 :: v_dual_fmac_f32 v65, v16, v22
	s_delay_alu instid0(VALU_DEP_3) | instskip(NEXT) | instid1(VALU_DEP_3)
	v_dual_fmac_f32 v69, 0x80000000, v21 :: v_dual_fmac_f32 v62, 0, v22
	v_dual_fmac_f32 v68, v7, v21 :: v_dual_fmac_f32 v67, v12, v22
	s_delay_alu instid0(VALU_DEP_3) | instskip(NEXT) | instid1(VALU_DEP_3)
	v_dual_fmac_f32 v63, 0x80000000, v21 :: v_dual_fmac_f32 v66, 0, v22
	v_dual_fmac_f32 v70, v3, v21 :: v_dual_fmac_f32 v69, v8, v22
	s_delay_alu instid0(VALU_DEP_3) | instskip(NEXT) | instid1(VALU_DEP_3)
	v_dual_fmac_f32 v68, 0, v22 :: v_dual_fmac_f32 v65, 0x80000000, v23
	v_fmac_f32_e32 v63, v4, v22
	s_delay_alu instid0(VALU_DEP_3) | instskip(NEXT) | instid1(VALU_DEP_3)
	v_dual_fmac_f32 v70, 0, v22 :: v_dual_fmac_f32 v67, 0x80000000, v23
	v_dual_fmac_f32 v62, v16, v23 :: v_dual_fmac_f32 v65, v17, v24
	v_fmac_f32_e32 v66, v12, v23
	v_fmac_f32_e32 v69, 0x80000000, v23
	s_delay_alu instid0(VALU_DEP_4) | instskip(NEXT) | instid1(VALU_DEP_4)
	v_fmac_f32_e32 v67, v13, v24
	v_fmac_f32_e32 v62, 0, v24
	;; [unrolled: 1-line block ×3, first 2 shown]
	v_dual_fmac_f32 v63, 0x80000000, v23 :: v_dual_fmac_f32 v66, 0, v24
	v_dual_fmac_f32 v70, v4, v23 :: v_dual_fmac_f32 v69, v9, v24
	s_delay_alu instid0(VALU_DEP_3) | instskip(NEXT) | instid1(VALU_DEP_3)
	v_dual_fmac_f32 v68, 0, v24 :: v_dual_fmac_f32 v65, 0x80000000, v25
	v_fmac_f32_e32 v63, v5, v24
	s_delay_alu instid0(VALU_DEP_3)
	v_dual_fmac_f32 v70, 0, v24 :: v_dual_fmac_f32 v67, 0x80000000, v25
	v_fmac_f32_e32 v62, v17, v25
	v_fmac_f32_e32 v66, v13, v25
	;; [unrolled: 1-line block ×6, first 2 shown]
	s_and_not1_b32 exec_lo, exec_lo, s10
	s_cbranch_execnz .LBB120_23
; %bb.24:
	s_or_b32 exec_lo, exec_lo, s10
.LBB120_25:
	s_delay_alu instid0(SALU_CYCLE_1) | instskip(NEXT) | instid1(SALU_CYCLE_1)
	s_or_b32 exec_lo, exec_lo, s7
	s_mov_b32 s7, exec_lo
	v_cmpx_lt_u32_e32 11, v0
	s_cbranch_execz .LBB120_29
; %bb.26:
	s_mov_b32 s10, 0
.LBB120_27:                             ; =>This Inner Loop Header: Depth=1
	v_ashrrev_i32_e32 v35, 31, v34
	s_clause 0xf
	global_load_b128 v[37:40], v[32:33], off offset:48
	global_load_b128 v[41:44], v[32:33], off offset:32
	;; [unrolled: 1-line block ×3, first 2 shown]
	global_load_b128 v[71:74], v[32:33], off
	global_load_b128 v[75:78], v[32:33], off offset:304
	global_load_b128 v[79:82], v[32:33], off offset:288
	;; [unrolled: 1-line block ×12, first 2 shown]
	v_lshlrev_b64 v[49:50], 2, v[34:35]
	s_delay_alu instid0(VALU_DEP_1) | instskip(NEXT) | instid1(VALU_DEP_2)
	v_add_co_u32 v49, vcc_lo, s8, v49
	v_add_co_ci_u32_e32 v50, vcc_lo, s9, v50, vcc_lo
	s_clause 0x3
	global_load_b32 v35, v[49:50], off
	global_load_b32 v51, v[49:50], off offset:16
	global_load_b32 v54, v[49:50], off offset:32
	;; [unrolled: 1-line block ×3, first 2 shown]
	s_waitcnt vmcnt(3)
	v_subrev_nc_u32_e32 v35, s12, v35
	s_waitcnt vmcnt(2)
	v_subrev_nc_u32_e32 v50, s12, v51
	;; [unrolled: 2-line block ×4, first 2 shown]
	v_lshlrev_b32_e32 v49, 2, v35
	v_lshlrev_b32_e32 v91, 2, v50
	;; [unrolled: 1-line block ×3, first 2 shown]
	s_delay_alu instid0(VALU_DEP_4) | instskip(NEXT) | instid1(VALU_DEP_4)
	v_lshlrev_b32_e32 v95, 2, v54
	v_ashrrev_i32_e32 v50, 31, v49
	s_delay_alu instid0(VALU_DEP_4) | instskip(NEXT) | instid1(VALU_DEP_4)
	v_ashrrev_i32_e32 v92, 31, v91
	v_ashrrev_i32_e32 v94, 31, v93
	s_delay_alu instid0(VALU_DEP_4) | instskip(NEXT) | instid1(VALU_DEP_4)
	v_ashrrev_i32_e32 v96, 31, v95
	v_lshlrev_b64 v[49:50], 3, v[49:50]
	s_delay_alu instid0(VALU_DEP_4) | instskip(NEXT) | instid1(VALU_DEP_4)
	v_lshlrev_b64 v[91:92], 3, v[91:92]
	v_lshlrev_b64 v[93:94], 3, v[93:94]
	s_delay_alu instid0(VALU_DEP_4) | instskip(SKIP_1) | instid1(VALU_DEP_4)
	v_lshlrev_b64 v[95:96], 3, v[95:96]
	s_waitcnt lgkmcnt(0)
	v_add_co_u32 v49, vcc_lo, s4, v49
	v_add_co_ci_u32_e32 v50, vcc_lo, s5, v50, vcc_lo
	v_add_co_u32 v99, vcc_lo, s4, v91
	v_add_co_ci_u32_e32 v100, vcc_lo, s5, v92, vcc_lo
	v_add_co_u32 v101, vcc_lo, s4, v93
	v_add_co_ci_u32_e32 v102, vcc_lo, s5, v94, vcc_lo
	v_add_co_u32 v103, vcc_lo, s4, v95
	v_add_co_ci_u32_e32 v104, vcc_lo, s5, v96, vcc_lo
	s_clause 0x1
	global_load_b128 v[91:94], v[49:50], off
	global_load_b128 v[95:98], v[49:50], off offset:16
	v_add_co_u32 v32, vcc_lo, 0x400, v32
	v_add_co_ci_u32_e32 v33, vcc_lo, 0, v33, vcc_lo
	s_waitcnt vmcnt(1)
	v_fmac_f32_e32 v62, 0, v91
	v_fmac_f32_e32 v70, 0, v91
	;; [unrolled: 1-line block ×3, first 2 shown]
	s_delay_alu instid0(VALU_DEP_3) | instskip(NEXT) | instid1(VALU_DEP_3)
	v_fmac_f32_e32 v62, v71, v92
	v_fmac_f32_e32 v70, v37, v92
	;; [unrolled: 1-line block ×3, first 2 shown]
	s_delay_alu instid0(VALU_DEP_4) | instskip(NEXT) | instid1(VALU_DEP_4)
	v_dual_fmac_f32 v66, 0, v91 :: v_dual_fmac_f32 v65, 0x80000000, v92
	v_fmac_f32_e32 v62, 0, v93
	s_delay_alu instid0(VALU_DEP_3) | instskip(NEXT) | instid1(VALU_DEP_3)
	v_dual_fmac_f32 v68, 0, v91 :: v_dual_fmac_f32 v67, 0x80000000, v92
	v_fmac_f32_e32 v66, v45, v92
	s_delay_alu instid0(VALU_DEP_3) | instskip(NEXT) | instid1(VALU_DEP_3)
	v_dual_fmac_f32 v69, v41, v91 :: v_dual_fmac_f32 v62, v72, v94
	v_fmac_f32_e32 v68, v41, v92
	v_fmac_f32_e32 v63, v37, v91
	;; [unrolled: 1-line block ×3, first 2 shown]
	s_delay_alu instid0(VALU_DEP_4) | instskip(SKIP_1) | instid1(VALU_DEP_4)
	v_dual_fmac_f32 v66, 0, v93 :: v_dual_fmac_f32 v69, 0x80000000, v92
	v_fmac_f32_e32 v65, v72, v93
	v_dual_fmac_f32 v68, 0, v93 :: v_dual_fmac_f32 v63, 0x80000000, v92
	v_fmac_f32_e32 v70, 0, v93
	s_waitcnt vmcnt(0)
	v_dual_fmac_f32 v69, v42, v93 :: v_dual_fmac_f32 v62, 0, v95
	v_fmac_f32_e32 v66, v46, v94
	v_fmac_f32_e32 v63, v38, v93
	s_delay_alu instid0(VALU_DEP_3) | instskip(NEXT) | instid1(VALU_DEP_3)
	v_dual_fmac_f32 v67, 0x80000000, v94 :: v_dual_fmac_f32 v62, v73, v96
	v_dual_fmac_f32 v66, 0, v95 :: v_dual_fmac_f32 v65, 0x80000000, v94
	v_fmac_f32_e32 v69, 0x80000000, v94
	s_delay_alu instid0(VALU_DEP_3) | instskip(NEXT) | instid1(VALU_DEP_3)
	v_dual_fmac_f32 v67, v47, v95 :: v_dual_fmac_f32 v62, 0, v97
	v_fmac_f32_e32 v66, v47, v96
	s_delay_alu instid0(VALU_DEP_4)
	v_dual_fmac_f32 v68, v42, v94 :: v_dual_fmac_f32 v65, v73, v95
	v_fmac_f32_e32 v63, 0x80000000, v94
	v_fmac_f32_e32 v70, v38, v94
	global_load_b128 v[91:94], v[99:100], off
	v_dual_fmac_f32 v62, v74, v98 :: v_dual_fmac_f32 v65, 0x80000000, v96
	v_dual_fmac_f32 v66, 0, v97 :: v_dual_fmac_f32 v67, 0x80000000, v96
	v_fmac_f32_e32 v68, 0, v95
	s_delay_alu instid0(VALU_DEP_3) | instskip(NEXT) | instid1(VALU_DEP_3)
	v_dual_fmac_f32 v70, 0, v95 :: v_dual_fmac_f32 v65, v74, v97
	v_fmac_f32_e32 v66, v48, v98
	global_load_b128 v[71:74], v[99:100], off offset:16
	v_dual_fmac_f32 v67, v48, v97 :: v_dual_fmac_f32 v68, v43, v96
	s_clause 0x1
	global_load_b128 v[45:48], v[101:102], off
	global_load_b128 v[99:102], v[101:102], off offset:16
	v_fmac_f32_e32 v69, v43, v95
	v_fmac_f32_e32 v70, v39, v96
	v_dual_fmac_f32 v63, v39, v95 :: v_dual_fmac_f32 v68, 0, v97
	v_fmac_f32_e32 v65, 0x80000000, v98
	s_delay_alu instid0(VALU_DEP_3) | instskip(NEXT) | instid1(VALU_DEP_3)
	v_dual_fmac_f32 v69, 0x80000000, v96 :: v_dual_fmac_f32 v70, 0, v97
	v_dual_fmac_f32 v63, 0x80000000, v96 :: v_dual_fmac_f32 v68, v44, v98
	v_fmac_f32_e32 v67, 0x80000000, v98
	s_delay_alu instid0(VALU_DEP_3)
	v_fmac_f32_e32 v69, v44, v97
	global_load_b128 v[41:44], v[103:104], off
	v_fmac_f32_e32 v70, v40, v98
	v_fmac_f32_e32 v63, v40, v97
	global_load_b128 v[37:40], v[103:104], off offset:16
	v_fmac_f32_e32 v69, 0x80000000, v98
	s_waitcnt vmcnt(5)
	v_dual_fmac_f32 v63, 0x80000000, v98 :: v_dual_fmac_f32 v70, 0, v91
	v_fmac_f32_e32 v62, 0, v91
	v_dual_fmac_f32 v65, v87, v91 :: v_dual_add_nc_u32 v34, 16, v34
	v_fmac_f32_e32 v66, 0, v91
	s_delay_alu instid0(VALU_DEP_4) | instskip(SKIP_1) | instid1(VALU_DEP_4)
	v_fmac_f32_e32 v70, v75, v92
	v_fmac_f32_e32 v68, 0, v91
	v_cmp_ge_i32_e32 vcc_lo, v34, v64
	s_delay_alu instid0(VALU_DEP_3) | instskip(SKIP_2) | instid1(VALU_DEP_2)
	v_dual_fmac_f32 v65, 0x80000000, v92 :: v_dual_fmac_f32 v70, 0, v93
	v_fmac_f32_e32 v62, v87, v92
	s_or_b32 s10, vcc_lo, s10
	v_fmac_f32_e32 v65, v88, v93
	s_delay_alu instid0(VALU_DEP_2) | instskip(NEXT) | instid1(VALU_DEP_1)
	v_dual_fmac_f32 v67, v83, v91 :: v_dual_fmac_f32 v62, 0, v93
	v_dual_fmac_f32 v67, 0x80000000, v92 :: v_dual_fmac_f32 v62, v88, v94
	s_delay_alu instid0(VALU_DEP_3) | instskip(NEXT) | instid1(VALU_DEP_2)
	v_dual_fmac_f32 v66, v83, v92 :: v_dual_fmac_f32 v65, 0x80000000, v94
	v_fmac_f32_e32 v67, v84, v93
	v_fmac_f32_e32 v69, v79, v91
	s_waitcnt vmcnt(4)
	v_fmac_f32_e32 v62, 0, v71
	v_fmac_f32_e32 v66, 0, v93
	v_dual_fmac_f32 v70, v76, v94 :: v_dual_fmac_f32 v65, v89, v71
	s_delay_alu instid0(VALU_DEP_2) | instskip(SKIP_1) | instid1(VALU_DEP_2)
	v_dual_fmac_f32 v69, 0x80000000, v92 :: v_dual_fmac_f32 v66, v84, v94
	v_fmac_f32_e32 v68, v79, v92
	v_dual_fmac_f32 v70, 0, v71 :: v_dual_fmac_f32 v69, v80, v93
	v_fmac_f32_e32 v63, v75, v91
	s_delay_alu instid0(VALU_DEP_4) | instskip(NEXT) | instid1(VALU_DEP_4)
	v_dual_fmac_f32 v67, 0x80000000, v94 :: v_dual_fmac_f32 v66, 0, v71
	v_fmac_f32_e32 v68, 0, v93
	s_delay_alu instid0(VALU_DEP_4) | instskip(NEXT) | instid1(VALU_DEP_4)
	v_fmac_f32_e32 v70, v77, v72
	v_fmac_f32_e32 v63, 0x80000000, v92
	s_delay_alu instid0(VALU_DEP_3) | instskip(NEXT) | instid1(VALU_DEP_3)
	v_dual_fmac_f32 v65, 0x80000000, v72 :: v_dual_fmac_f32 v68, v80, v94
	v_fmac_f32_e32 v70, 0, v73
	s_delay_alu instid0(VALU_DEP_3) | instskip(NEXT) | instid1(VALU_DEP_3)
	v_dual_fmac_f32 v63, v76, v93 :: v_dual_fmac_f32 v62, v89, v72
	v_fmac_f32_e32 v65, v90, v73
	v_fmac_f32_e32 v67, v85, v71
	v_dual_fmac_f32 v69, 0x80000000, v94 :: v_dual_fmac_f32 v68, 0, v71
	s_delay_alu instid0(VALU_DEP_4) | instskip(NEXT) | instid1(VALU_DEP_1)
	v_dual_fmac_f32 v63, 0x80000000, v94 :: v_dual_fmac_f32 v62, 0, v73
	v_dual_fmac_f32 v67, 0x80000000, v72 :: v_dual_fmac_f32 v62, v90, v74
	s_delay_alu instid0(VALU_DEP_1) | instskip(NEXT) | instid1(VALU_DEP_4)
	v_dual_fmac_f32 v66, v85, v72 :: v_dual_fmac_f32 v67, v86, v73
	v_fmac_f32_e32 v69, v81, v71
	s_waitcnt vmcnt(3)
	s_delay_alu instid0(VALU_DEP_3) | instskip(NEXT) | instid1(VALU_DEP_3)
	v_dual_fmac_f32 v65, 0x80000000, v74 :: v_dual_fmac_f32 v62, 0, v45
	v_fmac_f32_e32 v66, 0, v73
	s_delay_alu instid0(VALU_DEP_3) | instskip(NEXT) | instid1(VALU_DEP_2)
	v_dual_fmac_f32 v70, v78, v74 :: v_dual_fmac_f32 v69, 0x80000000, v72
	v_dual_fmac_f32 v65, v28, v45 :: v_dual_fmac_f32 v66, v86, v74
	s_delay_alu instid0(VALU_DEP_2) | instskip(NEXT) | instid1(VALU_DEP_3)
	v_dual_fmac_f32 v68, v81, v72 :: v_dual_fmac_f32 v69, v82, v73
	v_dual_fmac_f32 v63, v77, v71 :: v_dual_fmac_f32 v70, 0, v45
	s_delay_alu instid0(VALU_DEP_3) | instskip(NEXT) | instid1(VALU_DEP_2)
	v_dual_fmac_f32 v67, 0x80000000, v74 :: v_dual_fmac_f32 v66, 0, v45
	v_dual_fmac_f32 v68, 0, v73 :: v_dual_fmac_f32 v63, 0x80000000, v72
	s_delay_alu instid0(VALU_DEP_3) | instskip(SKIP_1) | instid1(VALU_DEP_3)
	v_fmac_f32_e32 v70, v16, v46
	v_fmac_f32_e32 v65, 0x80000000, v46
	;; [unrolled: 1-line block ×3, first 2 shown]
	s_delay_alu instid0(VALU_DEP_3) | instskip(NEXT) | instid1(VALU_DEP_3)
	v_dual_fmac_f32 v63, v78, v73 :: v_dual_fmac_f32 v70, 0, v47
	v_dual_fmac_f32 v62, v28, v46 :: v_dual_fmac_f32 v65, v29, v47
	v_fmac_f32_e32 v67, v24, v45
	s_delay_alu instid0(VALU_DEP_3) | instskip(SKIP_1) | instid1(VALU_DEP_3)
	v_fmac_f32_e32 v63, 0x80000000, v74
	v_dual_fmac_f32 v69, 0x80000000, v74 :: v_dual_fmac_f32 v68, 0, v45
	v_dual_fmac_f32 v62, 0, v47 :: v_dual_fmac_f32 v67, 0x80000000, v46
	s_delay_alu instid0(VALU_DEP_1) | instskip(NEXT) | instid1(VALU_DEP_2)
	v_fmac_f32_e32 v62, v29, v48
	v_dual_fmac_f32 v66, v24, v46 :: v_dual_fmac_f32 v67, v25, v47
	s_delay_alu instid0(VALU_DEP_4) | instskip(SKIP_1) | instid1(VALU_DEP_3)
	v_fmac_f32_e32 v69, v20, v45
	s_waitcnt vmcnt(2)
	v_dual_fmac_f32 v65, 0x80000000, v48 :: v_dual_fmac_f32 v62, 0, v99
	s_delay_alu instid0(VALU_DEP_3) | instskip(NEXT) | instid1(VALU_DEP_3)
	v_fmac_f32_e32 v66, 0, v47
	v_dual_fmac_f32 v70, v17, v48 :: v_dual_fmac_f32 v69, 0x80000000, v46
	s_delay_alu instid0(VALU_DEP_2) | instskip(NEXT) | instid1(VALU_DEP_2)
	v_dual_fmac_f32 v65, v30, v99 :: v_dual_fmac_f32 v66, v25, v48
	v_dual_fmac_f32 v68, v20, v46 :: v_dual_fmac_f32 v69, v21, v47
	v_fmac_f32_e32 v63, v16, v45
	s_delay_alu instid0(VALU_DEP_3) | instskip(NEXT) | instid1(VALU_DEP_3)
	v_dual_fmac_f32 v67, 0x80000000, v48 :: v_dual_fmac_f32 v66, 0, v99
	v_fmac_f32_e32 v68, 0, v47
	s_delay_alu instid0(VALU_DEP_3) | instskip(NEXT) | instid1(VALU_DEP_2)
	v_dual_fmac_f32 v70, 0, v99 :: v_dual_fmac_f32 v63, 0x80000000, v46
	v_fmac_f32_e32 v68, v21, v48
	v_fmac_f32_e32 v69, 0x80000000, v48
	s_delay_alu instid0(VALU_DEP_3) | instskip(NEXT) | instid1(VALU_DEP_3)
	v_dual_fmac_f32 v63, v17, v47 :: v_dual_fmac_f32 v70, v18, v100
	v_dual_fmac_f32 v65, 0x80000000, v100 :: v_dual_fmac_f32 v68, 0, v99
	s_delay_alu instid0(VALU_DEP_2) | instskip(NEXT) | instid1(VALU_DEP_2)
	v_dual_fmac_f32 v63, 0x80000000, v48 :: v_dual_fmac_f32 v70, 0, v101
	v_dual_fmac_f32 v62, v30, v100 :: v_dual_fmac_f32 v65, v31, v101
	s_delay_alu instid0(VALU_DEP_1) | instskip(NEXT) | instid1(VALU_DEP_1)
	v_dual_fmac_f32 v67, v26, v99 :: v_dual_fmac_f32 v62, 0, v101
	v_dual_fmac_f32 v67, 0x80000000, v100 :: v_dual_fmac_f32 v62, v31, v102
	s_delay_alu instid0(VALU_DEP_1) | instskip(SKIP_2) | instid1(VALU_DEP_3)
	v_dual_fmac_f32 v66, v26, v100 :: v_dual_fmac_f32 v67, v27, v101
	v_fmac_f32_e32 v69, v22, v99
	s_waitcnt vmcnt(1)
	v_dual_fmac_f32 v65, 0x80000000, v102 :: v_dual_fmac_f32 v62, 0, v41
	s_delay_alu instid0(VALU_DEP_3) | instskip(NEXT) | instid1(VALU_DEP_3)
	v_fmac_f32_e32 v66, 0, v101
	v_dual_fmac_f32 v70, v19, v102 :: v_dual_fmac_f32 v69, 0x80000000, v100
	s_delay_alu instid0(VALU_DEP_2) | instskip(NEXT) | instid1(VALU_DEP_2)
	v_dual_fmac_f32 v65, v12, v41 :: v_dual_fmac_f32 v66, v27, v102
	v_dual_fmac_f32 v68, v22, v100 :: v_dual_fmac_f32 v69, v23, v101
	v_fmac_f32_e32 v63, v18, v99
	s_delay_alu instid0(VALU_DEP_3) | instskip(NEXT) | instid1(VALU_DEP_3)
	v_dual_fmac_f32 v67, 0x80000000, v102 :: v_dual_fmac_f32 v66, 0, v41
	v_fmac_f32_e32 v68, 0, v101
	s_delay_alu instid0(VALU_DEP_3) | instskip(NEXT) | instid1(VALU_DEP_2)
	v_dual_fmac_f32 v70, 0, v41 :: v_dual_fmac_f32 v63, 0x80000000, v100
	v_fmac_f32_e32 v68, v23, v102
	v_fmac_f32_e32 v69, 0x80000000, v102
	s_delay_alu instid0(VALU_DEP_3) | instskip(NEXT) | instid1(VALU_DEP_3)
	v_dual_fmac_f32 v63, v19, v101 :: v_dual_fmac_f32 v70, v0, v42
	v_dual_fmac_f32 v65, 0x80000000, v42 :: v_dual_fmac_f32 v68, 0, v41
	s_delay_alu instid0(VALU_DEP_2) | instskip(NEXT) | instid1(VALU_DEP_2)
	v_dual_fmac_f32 v63, 0x80000000, v102 :: v_dual_fmac_f32 v70, 0, v43
	v_dual_fmac_f32 v62, v12, v42 :: v_dual_fmac_f32 v65, v13, v43
	s_delay_alu instid0(VALU_DEP_1) | instskip(NEXT) | instid1(VALU_DEP_1)
	v_dual_fmac_f32 v67, v8, v41 :: v_dual_fmac_f32 v62, 0, v43
	v_dual_fmac_f32 v67, 0x80000000, v42 :: v_dual_fmac_f32 v62, v13, v44
	s_delay_alu instid0(VALU_DEP_1) | instskip(SKIP_2) | instid1(VALU_DEP_3)
	v_dual_fmac_f32 v66, v8, v42 :: v_dual_fmac_f32 v67, v9, v43
	v_fmac_f32_e32 v69, v4, v41
	s_waitcnt vmcnt(0)
	v_dual_fmac_f32 v65, 0x80000000, v44 :: v_dual_fmac_f32 v62, 0, v37
	s_delay_alu instid0(VALU_DEP_3) | instskip(NEXT) | instid1(VALU_DEP_3)
	v_fmac_f32_e32 v66, 0, v43
	v_dual_fmac_f32 v70, v1, v44 :: v_dual_fmac_f32 v69, 0x80000000, v42
	s_delay_alu instid0(VALU_DEP_2) | instskip(NEXT) | instid1(VALU_DEP_2)
	v_dual_fmac_f32 v65, v14, v37 :: v_dual_fmac_f32 v66, v9, v44
	v_dual_fmac_f32 v68, v4, v42 :: v_dual_fmac_f32 v69, v5, v43
	v_fmac_f32_e32 v63, v0, v41
	s_delay_alu instid0(VALU_DEP_3) | instskip(NEXT) | instid1(VALU_DEP_3)
	v_dual_fmac_f32 v67, 0x80000000, v44 :: v_dual_fmac_f32 v66, 0, v37
	v_fmac_f32_e32 v68, 0, v43
	s_delay_alu instid0(VALU_DEP_3) | instskip(NEXT) | instid1(VALU_DEP_2)
	v_dual_fmac_f32 v70, 0, v37 :: v_dual_fmac_f32 v63, 0x80000000, v42
	v_fmac_f32_e32 v68, v5, v44
	v_fmac_f32_e32 v69, 0x80000000, v44
	s_delay_alu instid0(VALU_DEP_3) | instskip(NEXT) | instid1(VALU_DEP_3)
	v_dual_fmac_f32 v63, v1, v43 :: v_dual_fmac_f32 v70, v2, v38
	v_dual_fmac_f32 v65, 0x80000000, v38 :: v_dual_fmac_f32 v68, 0, v37
	s_delay_alu instid0(VALU_DEP_2) | instskip(NEXT) | instid1(VALU_DEP_2)
	v_dual_fmac_f32 v63, 0x80000000, v44 :: v_dual_fmac_f32 v70, 0, v39
	v_dual_fmac_f32 v62, v14, v38 :: v_dual_fmac_f32 v65, v15, v39
	s_delay_alu instid0(VALU_DEP_2) | instskip(NEXT) | instid1(VALU_DEP_2)
	v_dual_fmac_f32 v67, v10, v37 :: v_dual_fmac_f32 v70, v3, v40
	v_dual_fmac_f32 v62, 0, v39 :: v_dual_fmac_f32 v65, 0x80000000, v40
	s_delay_alu instid0(VALU_DEP_1) | instskip(NEXT) | instid1(VALU_DEP_1)
	v_dual_fmac_f32 v67, 0x80000000, v38 :: v_dual_fmac_f32 v62, v15, v40
	v_dual_fmac_f32 v66, v10, v38 :: v_dual_fmac_f32 v67, v11, v39
	s_delay_alu instid0(VALU_DEP_1) | instskip(NEXT) | instid1(VALU_DEP_2)
	v_dual_fmac_f32 v69, v6, v37 :: v_dual_fmac_f32 v66, 0, v39
	v_fmac_f32_e32 v67, 0x80000000, v40
	s_delay_alu instid0(VALU_DEP_2) | instskip(NEXT) | instid1(VALU_DEP_1)
	v_dual_fmac_f32 v69, 0x80000000, v38 :: v_dual_fmac_f32 v66, v11, v40
	v_dual_fmac_f32 v68, v6, v38 :: v_dual_fmac_f32 v69, v7, v39
	s_delay_alu instid0(VALU_DEP_1) | instskip(NEXT) | instid1(VALU_DEP_2)
	v_dual_fmac_f32 v63, v2, v37 :: v_dual_fmac_f32 v68, 0, v39
	v_fmac_f32_e32 v69, 0x80000000, v40
	s_delay_alu instid0(VALU_DEP_2) | instskip(NEXT) | instid1(VALU_DEP_1)
	v_dual_fmac_f32 v63, 0x80000000, v38 :: v_dual_fmac_f32 v68, v7, v40
	v_fmac_f32_e32 v63, v3, v39
	s_delay_alu instid0(VALU_DEP_1)
	v_fmac_f32_e32 v63, 0x80000000, v40
	s_and_not1_b32 exec_lo, exec_lo, s10
	s_cbranch_execnz .LBB120_27
; %bb.28:
	s_or_b32 exec_lo, exec_lo, s10
.LBB120_29:
	s_delay_alu instid0(SALU_CYCLE_1)
	s_or_b32 exec_lo, exec_lo, s7
.LBB120_30:
	s_delay_alu instid0(SALU_CYCLE_1) | instskip(NEXT) | instid1(SALU_CYCLE_1)
	s_or_b32 exec_lo, exec_lo, s6
	s_and_not1_b32 vcc_lo, exec_lo, s3
	s_cbranch_vccz .LBB120_32
	s_branch .LBB120_43
.LBB120_31:
                                        ; implicit-def: $vgpr62
                                        ; implicit-def: $vgpr65
                                        ; implicit-def: $vgpr66
                                        ; implicit-def: $vgpr67
                                        ; implicit-def: $vgpr68
                                        ; implicit-def: $vgpr69
                                        ; implicit-def: $vgpr70
                                        ; implicit-def: $vgpr63
.LBB120_32:
	v_dual_mov_b32 v62, 0 :: v_dual_mov_b32 v65, 0
	v_dual_mov_b32 v66, 0 :: v_dual_mov_b32 v67, 0
	;; [unrolled: 1-line block ×4, first 2 shown]
	s_and_saveexec_b32 s3, s2
	s_cbranch_execz .LBB120_42
; %bb.33:
	v_dual_mov_b32 v63, 0 :: v_dual_add_nc_u32 v0, v36, v61
	v_not_b32_e32 v1, v36
	v_dual_mov_b32 v67, 0 :: v_dual_mov_b32 v66, 0
	s_delay_alu instid0(VALU_DEP_3) | instskip(SKIP_3) | instid1(VALU_DEP_2)
	v_subrev_nc_u32_e32 v0, s12, v0
	v_dual_mov_b32 v65, 0 :: v_dual_mov_b32 v62, 0
	s_mov_b32 s6, 0
	s_mov_b32 s2, exec_lo
	v_dual_mov_b32 v69, 0 :: v_dual_add_nc_u32 v0, 4, v0
	v_mov_b32_e32 v70, 0
	v_mov_b32_e32 v68, 0
	s_delay_alu instid0(VALU_DEP_3) | instskip(NEXT) | instid1(VALU_DEP_1)
	v_max_i32_e32 v0, v0, v64
	v_add3_u32 v0, v0, s12, v1
	s_delay_alu instid0(VALU_DEP_1) | instskip(NEXT) | instid1(VALU_DEP_1)
	v_sub_nc_u32_e32 v0, v0, v61
	v_lshrrev_b32_e32 v1, 2, v0
	s_delay_alu instid0(VALU_DEP_1) | instskip(NEXT) | instid1(VALU_DEP_1)
	v_add_nc_u32_e32 v1, 1, v1
	v_and_b32_e32 v1, 3, v1
	s_delay_alu instid0(VALU_DEP_1)
	v_cmpx_ne_u32_e32 0, v1
	s_cbranch_execz .LBB120_37
; %bb.34:
	v_dual_mov_b32 v62, 0 :: v_dual_lshlrev_b32 v1, 6, v1
	v_dual_mov_b32 v65, 0 :: v_dual_mov_b32 v66, 0
	v_dual_mov_b32 v67, 0 :: v_dual_mov_b32 v68, 0
	;; [unrolled: 1-line block ×3, first 2 shown]
	v_mov_b32_e32 v63, 0
.LBB120_35:                             ; =>This Inner Loop Header: Depth=1
	v_ashrrev_i32_e32 v54, 31, v53
	v_subrev_nc_u32_e32 v1, 64, v1
	s_delay_alu instid0(VALU_DEP_2) | instskip(NEXT) | instid1(VALU_DEP_1)
	v_lshlrev_b64 v[2:3], 2, v[53:54]
	v_add_co_u32 v2, vcc_lo, s8, v2
	s_delay_alu instid0(VALU_DEP_2)
	v_add_co_ci_u32_e32 v3, vcc_lo, s9, v3, vcc_lo
	global_load_b32 v10, v[2:3], off
	s_clause 0x1
	global_load_b128 v[2:5], v[55:56], off offset:16
	global_load_b128 v[6:9], v[55:56], off
	s_waitcnt vmcnt(2)
	v_subrev_nc_u32_e32 v10, s12, v10
	s_delay_alu instid0(VALU_DEP_1) | instskip(NEXT) | instid1(VALU_DEP_1)
	v_lshlrev_b32_e32 v10, 2, v10
	v_ashrrev_i32_e32 v11, 31, v10
	s_delay_alu instid0(VALU_DEP_1) | instskip(SKIP_1) | instid1(VALU_DEP_1)
	v_lshlrev_b64 v[10:11], 3, v[10:11]
	s_waitcnt lgkmcnt(0)
	v_add_co_u32 v14, vcc_lo, s4, v10
	s_delay_alu instid0(VALU_DEP_2)
	v_add_co_ci_u32_e32 v15, vcc_lo, s5, v11, vcc_lo
	s_clause 0x1
	global_load_b128 v[10:13], v[14:15], off
	global_load_b128 v[14:17], v[14:15], off offset:16
	s_clause 0x1
	global_load_b128 v[18:21], v[55:56], off offset:32
	global_load_b128 v[22:25], v[55:56], off offset:48
	v_add_nc_u32_e32 v53, 4, v53
	v_add_co_u32 v55, vcc_lo, 0x100, v55
	v_add_co_ci_u32_e32 v56, vcc_lo, 0, v56, vcc_lo
	v_cmp_eq_u32_e32 vcc_lo, 0, v1
	s_or_b32 s6, vcc_lo, s6
	s_waitcnt vmcnt(3)
	v_fmac_f32_e32 v62, 0, v10
	v_fmac_f32_e32 v67, v7, v10
	;; [unrolled: 1-line block ×3, first 2 shown]
	s_delay_alu instid0(VALU_DEP_3) | instskip(NEXT) | instid1(VALU_DEP_3)
	v_dual_fmac_f32 v69, v8, v10 :: v_dual_fmac_f32 v62, v6, v11
	v_dual_fmac_f32 v66, 0, v10 :: v_dual_fmac_f32 v67, 0x80000000, v11
	s_delay_alu instid0(VALU_DEP_3) | instskip(NEXT) | instid1(VALU_DEP_3)
	v_dual_fmac_f32 v65, v6, v10 :: v_dual_fmac_f32 v70, v9, v11
	v_dual_fmac_f32 v68, 0, v10 :: v_dual_fmac_f32 v69, 0x80000000, v11
	s_delay_alu instid0(VALU_DEP_3) | instskip(NEXT) | instid1(VALU_DEP_3)
	v_dual_fmac_f32 v63, v9, v10 :: v_dual_fmac_f32 v66, v7, v11
	v_fmac_f32_e32 v65, 0x80000000, v11
	s_delay_alu instid0(VALU_DEP_3) | instskip(NEXT) | instid1(VALU_DEP_3)
	v_fmac_f32_e32 v68, v8, v11
	v_dual_fmac_f32 v70, 0, v12 :: v_dual_fmac_f32 v63, 0x80000000, v11
	s_delay_alu instid0(VALU_DEP_4) | instskip(NEXT) | instid1(VALU_DEP_4)
	v_fmac_f32_e32 v66, 0, v12
	v_fmac_f32_e32 v65, v2, v12
	s_delay_alu instid0(VALU_DEP_3) | instskip(SKIP_1) | instid1(VALU_DEP_4)
	v_dual_fmac_f32 v69, v4, v12 :: v_dual_fmac_f32 v70, v5, v13
	v_fmac_f32_e32 v68, 0, v12
	v_fmac_f32_e32 v66, v3, v13
	s_delay_alu instid0(VALU_DEP_4) | instskip(SKIP_3) | instid1(VALU_DEP_4)
	v_dual_fmac_f32 v62, 0, v12 :: v_dual_fmac_f32 v65, 0x80000000, v13
	v_fmac_f32_e32 v67, v3, v12
	v_fmac_f32_e32 v69, 0x80000000, v13
	v_dual_fmac_f32 v63, v5, v12 :: v_dual_fmac_f32 v68, v4, v13
	v_fmac_f32_e32 v62, v2, v13
	s_waitcnt vmcnt(2)
	v_dual_fmac_f32 v67, 0x80000000, v13 :: v_dual_fmac_f32 v66, 0, v14
	s_delay_alu instid0(VALU_DEP_3) | instskip(SKIP_4) | instid1(VALU_DEP_3)
	v_fmac_f32_e32 v63, 0x80000000, v13
	s_waitcnt vmcnt(1)
	v_fmac_f32_e32 v65, v18, v14
	v_fmac_f32_e32 v70, 0, v14
	v_dual_fmac_f32 v69, v20, v14 :: v_dual_fmac_f32 v66, v19, v15
	v_dual_fmac_f32 v62, 0, v14 :: v_dual_fmac_f32 v65, 0x80000000, v15
	s_delay_alu instid0(VALU_DEP_3) | instskip(NEXT) | instid1(VALU_DEP_3)
	v_dual_fmac_f32 v67, v19, v14 :: v_dual_fmac_f32 v70, v21, v15
	v_dual_fmac_f32 v68, 0, v14 :: v_dual_fmac_f32 v69, 0x80000000, v15
	s_delay_alu instid0(VALU_DEP_3) | instskip(NEXT) | instid1(VALU_DEP_3)
	v_dual_fmac_f32 v63, v21, v14 :: v_dual_fmac_f32 v62, v18, v15
	v_fmac_f32_e32 v67, 0x80000000, v15
	s_delay_alu instid0(VALU_DEP_3) | instskip(NEXT) | instid1(VALU_DEP_3)
	v_fmac_f32_e32 v68, v20, v15
	v_dual_fmac_f32 v66, 0, v16 :: v_dual_fmac_f32 v63, 0x80000000, v15
	s_waitcnt vmcnt(0)
	v_fmac_f32_e32 v65, v22, v16
	v_fmac_f32_e32 v70, 0, v16
	s_delay_alu instid0(VALU_DEP_3) | instskip(NEXT) | instid1(VALU_DEP_3)
	v_dual_fmac_f32 v69, v24, v16 :: v_dual_fmac_f32 v66, v23, v17
	v_dual_fmac_f32 v62, 0, v16 :: v_dual_fmac_f32 v65, 0x80000000, v17
	s_delay_alu instid0(VALU_DEP_3) | instskip(NEXT) | instid1(VALU_DEP_3)
	v_dual_fmac_f32 v67, v23, v16 :: v_dual_fmac_f32 v70, v25, v17
	v_dual_fmac_f32 v68, 0, v16 :: v_dual_fmac_f32 v69, 0x80000000, v17
	s_delay_alu instid0(VALU_DEP_3) | instskip(NEXT) | instid1(VALU_DEP_3)
	v_dual_fmac_f32 v63, v25, v16 :: v_dual_fmac_f32 v62, v22, v17
	v_fmac_f32_e32 v67, 0x80000000, v17
	s_delay_alu instid0(VALU_DEP_3) | instskip(NEXT) | instid1(VALU_DEP_3)
	v_fmac_f32_e32 v68, v24, v17
	v_fmac_f32_e32 v63, 0x80000000, v17
	s_and_not1_b32 exec_lo, exec_lo, s6
	s_cbranch_execnz .LBB120_35
; %bb.36:
	s_or_b32 exec_lo, exec_lo, s6
.LBB120_37:
	s_delay_alu instid0(SALU_CYCLE_1) | instskip(NEXT) | instid1(SALU_CYCLE_1)
	s_or_b32 exec_lo, exec_lo, s2
	s_mov_b32 s2, exec_lo
	v_cmpx_lt_u32_e32 11, v0
	s_cbranch_execz .LBB120_41
; %bb.38:
	s_mov_b32 s6, 0
.LBB120_39:                             ; =>This Inner Loop Header: Depth=1
	v_ashrrev_i32_e32 v54, 31, v53
	s_clause 0xe
	global_load_b128 v[16:19], v[55:56], off offset:48
	global_load_b128 v[24:27], v[55:56], off offset:32
	;; [unrolled: 1-line block ×3, first 2 shown]
	global_load_b128 v[40:43], v[55:56], off
	global_load_b128 v[0:3], v[55:56], off offset:304
	global_load_b128 v[4:7], v[55:56], off offset:288
	;; [unrolled: 1-line block ×11, first 2 shown]
	v_lshlrev_b64 v[79:80], 2, v[53:54]
	s_delay_alu instid0(VALU_DEP_1) | instskip(NEXT) | instid1(VALU_DEP_2)
	v_add_co_u32 v79, vcc_lo, s8, v79
	v_add_co_ci_u32_e32 v80, vcc_lo, s9, v80, vcc_lo
	s_clause 0x3
	global_load_b32 v54, v[79:80], off
	global_load_b32 v81, v[79:80], off offset:16
	global_load_b32 v82, v[79:80], off offset:32
	;; [unrolled: 1-line block ×3, first 2 shown]
	s_waitcnt vmcnt(3)
	v_subrev_nc_u32_e32 v54, s12, v54
	s_waitcnt vmcnt(2)
	v_subrev_nc_u32_e32 v80, s12, v81
	;; [unrolled: 2-line block ×4, first 2 shown]
	v_lshlrev_b32_e32 v79, 2, v54
	v_lshlrev_b32_e32 v81, 2, v80
	v_lshlrev_b32_e32 v83, 2, v82
	s_delay_alu instid0(VALU_DEP_4) | instskip(NEXT) | instid1(VALU_DEP_4)
	v_lshlrev_b32_e32 v85, 2, v84
	v_ashrrev_i32_e32 v80, 31, v79
	s_delay_alu instid0(VALU_DEP_4) | instskip(NEXT) | instid1(VALU_DEP_4)
	v_ashrrev_i32_e32 v82, 31, v81
	v_ashrrev_i32_e32 v84, 31, v83
	s_delay_alu instid0(VALU_DEP_4) | instskip(NEXT) | instid1(VALU_DEP_4)
	v_ashrrev_i32_e32 v86, 31, v85
	v_lshlrev_b64 v[79:80], 3, v[79:80]
	s_delay_alu instid0(VALU_DEP_4) | instskip(NEXT) | instid1(VALU_DEP_4)
	v_lshlrev_b64 v[81:82], 3, v[81:82]
	v_lshlrev_b64 v[83:84], 3, v[83:84]
	s_delay_alu instid0(VALU_DEP_4) | instskip(SKIP_1) | instid1(VALU_DEP_4)
	v_lshlrev_b64 v[85:86], 3, v[85:86]
	s_waitcnt lgkmcnt(0)
	v_add_co_u32 v87, vcc_lo, s4, v79
	v_add_co_ci_u32_e32 v88, vcc_lo, s5, v80, vcc_lo
	v_add_co_u32 v91, vcc_lo, s4, v81
	v_add_co_ci_u32_e32 v92, vcc_lo, s5, v82, vcc_lo
	v_add_co_u32 v93, vcc_lo, s4, v83
	v_add_co_ci_u32_e32 v94, vcc_lo, s5, v84, vcc_lo
	v_add_co_u32 v95, vcc_lo, s4, v85
	v_add_co_ci_u32_e32 v96, vcc_lo, s5, v86, vcc_lo
	s_clause 0x2
	global_load_b128 v[79:82], v[87:88], off
	global_load_b128 v[83:86], v[87:88], off offset:16
	global_load_b128 v[87:90], v[91:92], off
	s_waitcnt vmcnt(2)
	v_fmac_f32_e32 v68, 0, v79
	v_fmac_f32_e32 v66, 0, v79
	;; [unrolled: 1-line block ×4, first 2 shown]
	s_delay_alu instid0(VALU_DEP_4) | instskip(NEXT) | instid1(VALU_DEP_4)
	v_dual_fmac_f32 v67, v41, v79 :: v_dual_fmac_f32 v68, v42, v80
	v_fmac_f32_e32 v66, v41, v80
	s_delay_alu instid0(VALU_DEP_4) | instskip(NEXT) | instid1(VALU_DEP_4)
	v_dual_fmac_f32 v70, 0, v79 :: v_dual_fmac_f32 v65, 0x80000000, v80
	v_dual_fmac_f32 v69, v42, v79 :: v_dual_fmac_f32 v62, v40, v80
	v_fmac_f32_e32 v63, v43, v79
	s_delay_alu instid0(VALU_DEP_3)
	v_fmac_f32_e32 v70, v43, v80
	global_load_b128 v[40:43], v[91:92], off offset:16
	v_dual_fmac_f32 v67, 0x80000000, v80 :: v_dual_fmac_f32 v66, 0, v81
	v_dual_fmac_f32 v69, 0x80000000, v80 :: v_dual_fmac_f32 v68, 0, v81
	;; [unrolled: 1-line block ×3, first 2 shown]
	v_fmac_f32_e32 v70, 0, v81
	s_delay_alu instid0(VALU_DEP_4) | instskip(NEXT) | instid1(VALU_DEP_3)
	v_dual_fmac_f32 v65, v32, v81 :: v_dual_fmac_f32 v66, v33, v82
	v_dual_fmac_f32 v67, v33, v81 :: v_dual_fmac_f32 v62, v32, v82
	s_delay_alu instid0(VALU_DEP_3)
	v_dual_fmac_f32 v69, v34, v81 :: v_dual_fmac_f32 v70, v35, v82
	v_dual_fmac_f32 v63, v35, v81 :: v_dual_fmac_f32 v68, v34, v82
	s_clause 0x1
	global_load_b128 v[32:35], v[93:94], off
	global_load_b128 v[91:94], v[93:94], off offset:16
	s_waitcnt vmcnt(4)
	v_dual_fmac_f32 v65, 0x80000000, v82 :: v_dual_fmac_f32 v62, 0, v83
	v_dual_fmac_f32 v67, 0x80000000, v82 :: v_dual_fmac_f32 v66, 0, v83
	;; [unrolled: 1-line block ×4, first 2 shown]
	global_load_b128 v[79:82], v[95:96], off
	v_dual_fmac_f32 v65, v24, v83 :: v_dual_fmac_f32 v66, v25, v84
	v_dual_fmac_f32 v67, v25, v83 :: v_dual_fmac_f32 v62, v24, v84
	;; [unrolled: 1-line block ×4, first 2 shown]
	global_load_b128 v[24:27], v[95:96], off offset:16
	v_dual_fmac_f32 v65, 0x80000000, v84 :: v_dual_fmac_f32 v62, 0, v85
	v_dual_fmac_f32 v67, 0x80000000, v84 :: v_dual_fmac_f32 v66, 0, v85
	;; [unrolled: 1-line block ×4, first 2 shown]
	s_delay_alu instid0(VALU_DEP_3) | instskip(NEXT) | instid1(VALU_DEP_4)
	v_dual_fmac_f32 v65, v16, v85 :: v_dual_fmac_f32 v66, v17, v86
	v_dual_fmac_f32 v67, v17, v85 :: v_dual_fmac_f32 v62, v16, v86
	s_delay_alu instid0(VALU_DEP_3) | instskip(NEXT) | instid1(VALU_DEP_4)
	v_dual_fmac_f32 v69, v18, v85 :: v_dual_fmac_f32 v70, v19, v86
	v_dual_fmac_f32 v63, v19, v85 :: v_dual_fmac_f32 v68, v18, v86
	global_load_b128 v[16:19], v[55:56], off offset:816
	s_waitcnt vmcnt(6)
	v_dual_fmac_f32 v62, 0, v87 :: v_dual_add_nc_u32 v53, 16, v53
	v_dual_fmac_f32 v65, 0x80000000, v86 :: v_dual_fmac_f32 v66, 0, v87
	v_fmac_f32_e32 v63, 0x80000000, v86
	v_dual_fmac_f32 v67, 0x80000000, v86 :: v_dual_fmac_f32 v68, 0, v87
	s_delay_alu instid0(VALU_DEP_3) | instskip(NEXT) | instid1(VALU_DEP_3)
	v_dual_fmac_f32 v65, v12, v87 :: v_dual_fmac_f32 v66, v13, v88
	v_dual_fmac_f32 v62, v12, v88 :: v_dual_fmac_f32 v63, v15, v87
	s_delay_alu instid0(VALU_DEP_3) | instskip(NEXT) | instid1(VALU_DEP_3)
	v_dual_fmac_f32 v67, v13, v87 :: v_dual_fmac_f32 v68, v14, v88
	v_dual_fmac_f32 v65, 0x80000000, v88 :: v_dual_fmac_f32 v66, 0, v89
	s_delay_alu instid0(VALU_DEP_3) | instskip(SKIP_1) | instid1(VALU_DEP_3)
	v_dual_fmac_f32 v62, 0, v89 :: v_dual_fmac_f32 v63, 0x80000000, v88
	v_dual_fmac_f32 v69, 0x80000000, v86 :: v_dual_fmac_f32 v70, 0, v87
	;; [unrolled: 1-line block ×3, first 2 shown]
	s_delay_alu instid0(VALU_DEP_3) | instskip(SKIP_2) | instid1(VALU_DEP_4)
	v_dual_fmac_f32 v62, v8, v90 :: v_dual_fmac_f32 v67, 0x80000000, v88
	v_fmac_f32_e32 v68, 0, v89
	v_fmac_f32_e32 v63, v11, v89
	;; [unrolled: 1-line block ×3, first 2 shown]
	v_dual_fmac_f32 v69, v14, v87 :: v_dual_fmac_f32 v70, v15, v88
	s_delay_alu instid0(VALU_DEP_4) | instskip(SKIP_1) | instid1(VALU_DEP_3)
	v_dual_fmac_f32 v67, v9, v89 :: v_dual_fmac_f32 v68, v10, v90
	v_add_co_u32 v55, vcc_lo, 0x400, v55
	v_dual_fmac_f32 v69, 0x80000000, v88 :: v_dual_fmac_f32 v70, 0, v89
	s_delay_alu instid0(VALU_DEP_3) | instskip(SKIP_1) | instid1(VALU_DEP_3)
	v_fmac_f32_e32 v67, 0x80000000, v90
	v_add_co_ci_u32_e32 v56, vcc_lo, 0, v56, vcc_lo
	v_dual_fmac_f32 v69, v10, v89 :: v_dual_fmac_f32 v70, v11, v90
	v_cmp_ge_i32_e32 vcc_lo, v53, v64
	s_delay_alu instid0(VALU_DEP_2)
	v_fmac_f32_e32 v69, 0x80000000, v90
	s_or_b32 s6, vcc_lo, s6
	s_waitcnt vmcnt(5)
	v_fmac_f32_e32 v70, 0, v40
	v_dual_fmac_f32 v62, 0, v40 :: v_dual_fmac_f32 v63, 0x80000000, v90
	v_fmac_f32_e32 v66, 0, v40
	v_fmac_f32_e32 v65, v4, v40
	;; [unrolled: 1-line block ×3, first 2 shown]
	s_delay_alu instid0(VALU_DEP_4) | instskip(NEXT) | instid1(VALU_DEP_4)
	v_dual_fmac_f32 v62, v4, v41 :: v_dual_fmac_f32 v63, v7, v40
	v_fmac_f32_e32 v66, v5, v41
	s_delay_alu instid0(VALU_DEP_4) | instskip(NEXT) | instid1(VALU_DEP_4)
	v_fmac_f32_e32 v65, 0x80000000, v41
	v_dual_fmac_f32 v67, v5, v40 :: v_dual_fmac_f32 v68, v6, v41
	s_delay_alu instid0(VALU_DEP_4) | instskip(NEXT) | instid1(VALU_DEP_4)
	v_dual_fmac_f32 v62, 0, v42 :: v_dual_fmac_f32 v63, 0x80000000, v41
	v_fmac_f32_e32 v66, 0, v42
	s_delay_alu instid0(VALU_DEP_4) | instskip(NEXT) | instid1(VALU_DEP_4)
	v_fmac_f32_e32 v65, v0, v42
	v_dual_fmac_f32 v67, 0x80000000, v41 :: v_dual_fmac_f32 v68, 0, v42
	s_delay_alu instid0(VALU_DEP_4) | instskip(NEXT) | instid1(VALU_DEP_4)
	v_dual_fmac_f32 v62, v0, v43 :: v_dual_fmac_f32 v63, v3, v42
	v_fmac_f32_e32 v66, v1, v43
	s_delay_alu instid0(VALU_DEP_4)
	v_fmac_f32_e32 v65, 0x80000000, v43
	v_dual_fmac_f32 v69, v6, v40 :: v_dual_fmac_f32 v70, v7, v41
	s_waitcnt vmcnt(4)
	v_dual_fmac_f32 v62, 0, v32 :: v_dual_fmac_f32 v67, v1, v42
	v_fmac_f32_e32 v68, v2, v43
	v_dual_fmac_f32 v63, 0x80000000, v43 :: v_dual_fmac_f32 v66, 0, v32
	s_delay_alu instid0(VALU_DEP_3) | instskip(SKIP_3) | instid1(VALU_DEP_4)
	v_fmac_f32_e32 v62, v44, v33
	v_fmac_f32_e32 v65, v44, v32
	v_dual_fmac_f32 v69, 0x80000000, v41 :: v_dual_fmac_f32 v70, 0, v42
	v_dual_fmac_f32 v67, 0x80000000, v43 :: v_dual_fmac_f32 v68, 0, v32
	;; [unrolled: 1-line block ×3, first 2 shown]
	v_fmac_f32_e32 v66, v45, v33
	v_fmac_f32_e32 v65, 0x80000000, v33
	v_dual_fmac_f32 v69, v2, v42 :: v_dual_fmac_f32 v70, v3, v43
	v_dual_fmac_f32 v67, v45, v32 :: v_dual_fmac_f32 v68, v46, v33
	;; [unrolled: 1-line block ×3, first 2 shown]
	v_fmac_f32_e32 v66, 0, v34
	v_fmac_f32_e32 v65, v36, v34
	v_dual_fmac_f32 v69, 0x80000000, v43 :: v_dual_fmac_f32 v70, 0, v32
	v_dual_fmac_f32 v67, 0x80000000, v33 :: v_dual_fmac_f32 v68, 0, v34
	s_waitcnt vmcnt(3)
	v_dual_fmac_f32 v63, v39, v34 :: v_dual_fmac_f32 v62, 0, v91
	v_fmac_f32_e32 v66, v37, v35
	v_fmac_f32_e32 v65, 0x80000000, v35
	v_dual_fmac_f32 v69, v46, v32 :: v_dual_fmac_f32 v70, v47, v33
	v_dual_fmac_f32 v67, v37, v34 :: v_dual_fmac_f32 v68, v38, v35
	v_fmac_f32_e32 v62, v28, v92
	s_delay_alu instid0(VALU_DEP_4) | instskip(NEXT) | instid1(VALU_DEP_4)
	v_fmac_f32_e32 v65, v28, v91
	v_dual_fmac_f32 v69, 0x80000000, v33 :: v_dual_fmac_f32 v70, 0, v34
	s_delay_alu instid0(VALU_DEP_3) | instskip(NEXT) | instid1(VALU_DEP_3)
	v_fmac_f32_e32 v62, 0, v93
	v_dual_fmac_f32 v66, 0, v91 :: v_dual_fmac_f32 v65, 0x80000000, v92
	v_fmac_f32_e32 v67, 0x80000000, v35
	s_delay_alu instid0(VALU_DEP_4) | instskip(NEXT) | instid1(VALU_DEP_3)
	v_dual_fmac_f32 v69, v38, v34 :: v_dual_fmac_f32 v70, v39, v35
	v_fmac_f32_e32 v66, v29, v92
	s_delay_alu instid0(VALU_DEP_3) | instskip(NEXT) | instid1(VALU_DEP_2)
	v_dual_fmac_f32 v62, v20, v94 :: v_dual_fmac_f32 v67, v29, v91
	v_fmac_f32_e32 v66, 0, v93
	s_delay_alu instid0(VALU_DEP_2) | instskip(SKIP_1) | instid1(VALU_DEP_3)
	v_dual_fmac_f32 v68, 0, v91 :: v_dual_fmac_f32 v67, 0x80000000, v92
	v_fmac_f32_e32 v69, 0x80000000, v35
	v_dual_fmac_f32 v65, v20, v93 :: v_dual_fmac_f32 v66, v21, v94
	s_delay_alu instid0(VALU_DEP_3)
	v_fmac_f32_e32 v68, v30, v92
	s_waitcnt vmcnt(2)
	v_fmac_f32_e32 v62, 0, v79
	v_fmac_f32_e32 v69, v30, v91
	v_dual_fmac_f32 v65, 0x80000000, v94 :: v_dual_fmac_f32 v66, 0, v79
	v_fmac_f32_e32 v68, 0, v93
	s_delay_alu instid0(VALU_DEP_3) | instskip(SKIP_1) | instid1(VALU_DEP_3)
	v_dual_fmac_f32 v70, 0, v91 :: v_dual_fmac_f32 v69, 0x80000000, v92
	v_fmac_f32_e32 v63, 0x80000000, v35
	v_dual_fmac_f32 v67, v21, v93 :: v_dual_fmac_f32 v68, v22, v94
	s_delay_alu instid0(VALU_DEP_3) | instskip(SKIP_1) | instid1(VALU_DEP_4)
	v_fmac_f32_e32 v70, v31, v92
	v_dual_fmac_f32 v65, v71, v79 :: v_dual_fmac_f32 v66, v72, v80
	v_fmac_f32_e32 v63, v31, v91
	s_delay_alu instid0(VALU_DEP_4) | instskip(NEXT) | instid1(VALU_DEP_4)
	v_dual_fmac_f32 v67, 0x80000000, v94 :: v_dual_fmac_f32 v68, 0, v79
	v_fmac_f32_e32 v70, 0, v93
	v_fmac_f32_e32 v69, v22, v93
	s_delay_alu instid0(VALU_DEP_4) | instskip(NEXT) | instid1(VALU_DEP_4)
	v_fmac_f32_e32 v63, 0x80000000, v92
	v_dual_fmac_f32 v67, v72, v79 :: v_dual_fmac_f32 v68, v73, v80
	s_delay_alu instid0(VALU_DEP_4) | instskip(NEXT) | instid1(VALU_DEP_4)
	v_fmac_f32_e32 v70, v23, v94
	v_fmac_f32_e32 v69, 0x80000000, v94
	s_delay_alu instid0(VALU_DEP_4) | instskip(SKIP_2) | instid1(VALU_DEP_3)
	v_fmac_f32_e32 v63, v23, v93
	v_fmac_f32_e32 v62, v71, v80
	v_dual_fmac_f32 v65, 0x80000000, v80 :: v_dual_fmac_f32 v66, 0, v81
	v_dual_fmac_f32 v70, 0, v79 :: v_dual_fmac_f32 v63, 0x80000000, v94
	v_fmac_f32_e32 v69, v73, v79
	v_dual_fmac_f32 v67, 0x80000000, v80 :: v_dual_fmac_f32 v68, 0, v81
	s_delay_alu instid0(VALU_DEP_3) | instskip(NEXT) | instid1(VALU_DEP_4)
	v_fmac_f32_e32 v70, v74, v80
	v_dual_fmac_f32 v63, v74, v79 :: v_dual_fmac_f32 v62, 0, v81
	s_delay_alu instid0(VALU_DEP_4) | instskip(SKIP_1) | instid1(VALU_DEP_3)
	v_fmac_f32_e32 v69, 0x80000000, v80
	v_dual_fmac_f32 v65, v48, v81 :: v_dual_fmac_f32 v66, v49, v82
	v_dual_fmac_f32 v63, 0x80000000, v80 :: v_dual_fmac_f32 v62, v48, v82
	;; [unrolled: 1-line block ×3, first 2 shown]
	v_fmac_f32_e32 v70, 0, v81
	v_fmac_f32_e32 v69, v50, v81
	s_waitcnt vmcnt(1)
	v_dual_fmac_f32 v63, v51, v81 :: v_dual_fmac_f32 v62, 0, v24
	v_dual_fmac_f32 v65, 0x80000000, v82 :: v_dual_fmac_f32 v66, 0, v24
	;; [unrolled: 1-line block ×3, first 2 shown]
	s_delay_alu instid0(VALU_DEP_3)
	v_dual_fmac_f32 v63, 0x80000000, v82 :: v_dual_fmac_f32 v62, v75, v25
	v_fmac_f32_e32 v70, v51, v82
	v_fmac_f32_e32 v69, 0x80000000, v82
	v_dual_fmac_f32 v65, v75, v24 :: v_dual_fmac_f32 v66, v76, v25
	v_dual_fmac_f32 v67, v76, v24 :: v_dual_fmac_f32 v68, v77, v25
	;; [unrolled: 1-line block ×3, first 2 shown]
	v_fmac_f32_e32 v70, 0, v24
	v_fmac_f32_e32 v69, v77, v24
	v_dual_fmac_f32 v65, 0x80000000, v25 :: v_dual_fmac_f32 v66, 0, v26
	v_dual_fmac_f32 v67, 0x80000000, v25 :: v_dual_fmac_f32 v68, 0, v26
	s_waitcnt vmcnt(0)
	v_dual_fmac_f32 v63, 0x80000000, v25 :: v_dual_fmac_f32 v62, v16, v27
	v_fmac_f32_e32 v70, v78, v25
	v_fmac_f32_e32 v69, 0x80000000, v25
	v_dual_fmac_f32 v65, v16, v26 :: v_dual_fmac_f32 v66, v17, v27
	v_dual_fmac_f32 v67, v17, v26 :: v_dual_fmac_f32 v68, v18, v27
	v_fmac_f32_e32 v63, v19, v26
	v_fmac_f32_e32 v70, 0, v26
	;; [unrolled: 1-line block ×8, first 2 shown]
	s_and_not1_b32 exec_lo, exec_lo, s6
	s_cbranch_execnz .LBB120_39
; %bb.40:
	s_or_b32 exec_lo, exec_lo, s6
.LBB120_41:
	s_delay_alu instid0(SALU_CYCLE_1)
	s_or_b32 exec_lo, exec_lo, s2
.LBB120_42:
	s_delay_alu instid0(SALU_CYCLE_1)
	s_or_b32 exec_lo, exec_lo, s3
.LBB120_43:
	v_mbcnt_lo_u32_b32 v0, -1, 0
	s_delay_alu instid0(VALU_DEP_1) | instskip(NEXT) | instid1(VALU_DEP_1)
	v_xor_b32_e32 v1, 2, v0
	v_cmp_gt_i32_e32 vcc_lo, 32, v1
	v_cndmask_b32_e32 v1, v0, v1, vcc_lo
	s_delay_alu instid0(VALU_DEP_1)
	v_lshlrev_b32_e32 v1, 2, v1
	ds_bpermute_b32 v2, v1, v65
	ds_bpermute_b32 v3, v1, v62
	;; [unrolled: 1-line block ×8, first 2 shown]
	v_xor_b32_e32 v1, 1, v0
	s_delay_alu instid0(VALU_DEP_1) | instskip(SKIP_4) | instid1(VALU_DEP_3)
	v_cmp_gt_i32_e32 vcc_lo, 32, v1
	v_cndmask_b32_e32 v0, v0, v1, vcc_lo
	v_cmp_eq_u32_e32 vcc_lo, 3, v61
	s_waitcnt lgkmcnt(0)
	v_add_f32_e32 v1, v62, v3
	v_dual_add_f32 v0, v65, v2 :: v_dual_lshlrev_b32 v15, 2, v0
	v_add_f32_e32 v2, v67, v4
	v_dual_add_f32 v4, v69, v6 :: v_dual_add_f32 v3, v66, v5
	v_dual_add_f32 v6, v63, v8 :: v_dual_add_f32 v5, v68, v7
	v_add_f32_e32 v7, v70, v9
	ds_bpermute_b32 v8, v15, v0
	ds_bpermute_b32 v9, v15, v1
	;; [unrolled: 1-line block ×8, first 2 shown]
	s_and_b32 exec_lo, exec_lo, vcc_lo
	s_cbranch_execz .LBB120_13
; %bb.44:
	s_load_b64 s[2:3], s[0:1], 0x50
	s_waitcnt lgkmcnt(0)
	v_add_f32_e32 v8, v0, v8
	v_dual_add_f32 v0, v1, v9 :: v_dual_add_f32 v1, v3, v11
	v_dual_add_f32 v9, v2, v10 :: v_dual_add_f32 v2, v5, v13
	;; [unrolled: 1-line block ×3, first 2 shown]
	v_add_f32_e32 v11, v6, v14
	s_delay_alu instid0(VALU_DEP_4)
	v_mul_f32_e64 v4, v0, -v60
	v_mul_f32_e32 v5, v0, v59
	v_mul_f32_e64 v6, v1, -v60
	v_mul_f32_e32 v7, v1, v59
	;; [unrolled: 2-line block ×3, first 2 shown]
	v_mul_f32_e64 v2, v3, -v60
	v_fmac_f32_e32 v6, v59, v9
	v_mul_f32_e32 v3, v3, v59
	v_cmp_eq_f32_e32 vcc_lo, 0, v57
	v_cmp_eq_f32_e64 s0, 0, v58
	v_fmac_f32_e32 v4, v59, v8
	v_dual_fmac_f32 v5, v60, v8 :: v_dual_fmac_f32 v0, v59, v10
	v_dual_fmac_f32 v7, v60, v9 :: v_dual_lshlrev_b32 v8, 2, v52
	v_dual_fmac_f32 v2, v59, v11 :: v_dual_fmac_f32 v1, v60, v10
	v_fmac_f32_e32 v3, v60, v11
	s_and_b32 s0, vcc_lo, s0
	s_delay_alu instid0(SALU_CYCLE_1) | instskip(NEXT) | instid1(SALU_CYCLE_1)
	s_and_saveexec_b32 s1, s0
	s_xor_b32 s0, exec_lo, s1
; %bb.45:
	v_ashrrev_i32_e32 v9, 31, v8
                                        ; implicit-def: $vgpr57
                                        ; implicit-def: $vgpr58
	s_delay_alu instid0(VALU_DEP_1) | instskip(NEXT) | instid1(VALU_DEP_1)
	v_lshlrev_b64 v[8:9], 3, v[8:9]
	v_add_co_u32 v8, vcc_lo, s2, v8
	s_delay_alu instid0(VALU_DEP_2)
	v_add_co_ci_u32_e32 v9, vcc_lo, s3, v9, vcc_lo
	s_clause 0x1
	global_store_b128 v[8:9], v[4:7], off
	global_store_b128 v[8:9], v[0:3], off offset:16
                                        ; implicit-def: $vgpr4
                                        ; implicit-def: $vgpr8
                                        ; implicit-def: $vgpr0
; %bb.46:
	s_and_not1_saveexec_b32 s0, s0
	s_cbranch_execz .LBB120_13
; %bb.47:
	v_ashrrev_i32_e32 v9, 31, v8
	s_delay_alu instid0(VALU_DEP_1) | instskip(NEXT) | instid1(VALU_DEP_1)
	v_lshlrev_b64 v[8:9], 3, v[8:9]
	v_add_co_u32 v16, vcc_lo, s2, v8
	s_delay_alu instid0(VALU_DEP_2)
	v_add_co_ci_u32_e32 v17, vcc_lo, s3, v9, vcc_lo
	s_clause 0x1
	global_load_b128 v[8:11], v[16:17], off
	global_load_b128 v[12:15], v[16:17], off offset:16
	s_waitcnt vmcnt(1)
	v_dual_fmac_f32 v4, v57, v8 :: v_dual_fmac_f32 v7, v58, v10
	v_dual_fmac_f32 v5, v58, v8 :: v_dual_fmac_f32 v6, v57, v10
	s_waitcnt vmcnt(0)
	v_dual_fmac_f32 v0, v57, v12 :: v_dual_fmac_f32 v3, v58, v14
	v_dual_fmac_f32 v1, v58, v12 :: v_dual_fmac_f32 v2, v57, v14
	v_fma_f32 v4, -v58, v9, v4
	v_fmac_f32_e32 v5, v57, v9
	v_fma_f32 v6, -v58, v11, v6
	v_fmac_f32_e32 v7, v57, v11
	;; [unrolled: 2-line block ×4, first 2 shown]
	s_clause 0x1
	global_store_b128 v[16:17], v[4:7], off
	global_store_b128 v[16:17], v[0:3], off offset:16
	s_nop 0
	s_sendmsg sendmsg(MSG_DEALLOC_VGPRS)
	s_endpgm
	.section	.rodata,"a",@progbits
	.p2align	6, 0x0
	.amdhsa_kernel _ZN9rocsparseL18bsrxmvn_4x4_kernelILj128ELj4E21rocsparse_complex_numIfEiifS2_S2_EEvT3_20rocsparse_direction_NS_24const_host_device_scalarIT1_EES3_PKS3_PKT2_SC_S9_PKT4_PKT5_S7_PT6_21rocsparse_index_base_b
		.amdhsa_group_segment_fixed_size 0
		.amdhsa_private_segment_fixed_size 0
		.amdhsa_kernarg_size 96
		.amdhsa_user_sgpr_count 15
		.amdhsa_user_sgpr_dispatch_ptr 0
		.amdhsa_user_sgpr_queue_ptr 0
		.amdhsa_user_sgpr_kernarg_segment_ptr 1
		.amdhsa_user_sgpr_dispatch_id 0
		.amdhsa_user_sgpr_private_segment_size 0
		.amdhsa_wavefront_size32 1
		.amdhsa_uses_dynamic_stack 0
		.amdhsa_enable_private_segment 0
		.amdhsa_system_sgpr_workgroup_id_x 1
		.amdhsa_system_sgpr_workgroup_id_y 0
		.amdhsa_system_sgpr_workgroup_id_z 0
		.amdhsa_system_sgpr_workgroup_info 0
		.amdhsa_system_vgpr_workitem_id 0
		.amdhsa_next_free_vgpr 105
		.amdhsa_next_free_sgpr 16
		.amdhsa_reserve_vcc 1
		.amdhsa_float_round_mode_32 0
		.amdhsa_float_round_mode_16_64 0
		.amdhsa_float_denorm_mode_32 3
		.amdhsa_float_denorm_mode_16_64 3
		.amdhsa_dx10_clamp 1
		.amdhsa_ieee_mode 1
		.amdhsa_fp16_overflow 0
		.amdhsa_workgroup_processor_mode 1
		.amdhsa_memory_ordered 1
		.amdhsa_forward_progress 0
		.amdhsa_shared_vgpr_count 0
		.amdhsa_exception_fp_ieee_invalid_op 0
		.amdhsa_exception_fp_denorm_src 0
		.amdhsa_exception_fp_ieee_div_zero 0
		.amdhsa_exception_fp_ieee_overflow 0
		.amdhsa_exception_fp_ieee_underflow 0
		.amdhsa_exception_fp_ieee_inexact 0
		.amdhsa_exception_int_div_zero 0
	.end_amdhsa_kernel
	.section	.text._ZN9rocsparseL18bsrxmvn_4x4_kernelILj128ELj4E21rocsparse_complex_numIfEiifS2_S2_EEvT3_20rocsparse_direction_NS_24const_host_device_scalarIT1_EES3_PKS3_PKT2_SC_S9_PKT4_PKT5_S7_PT6_21rocsparse_index_base_b,"axG",@progbits,_ZN9rocsparseL18bsrxmvn_4x4_kernelILj128ELj4E21rocsparse_complex_numIfEiifS2_S2_EEvT3_20rocsparse_direction_NS_24const_host_device_scalarIT1_EES3_PKS3_PKT2_SC_S9_PKT4_PKT5_S7_PT6_21rocsparse_index_base_b,comdat
.Lfunc_end120:
	.size	_ZN9rocsparseL18bsrxmvn_4x4_kernelILj128ELj4E21rocsparse_complex_numIfEiifS2_S2_EEvT3_20rocsparse_direction_NS_24const_host_device_scalarIT1_EES3_PKS3_PKT2_SC_S9_PKT4_PKT5_S7_PT6_21rocsparse_index_base_b, .Lfunc_end120-_ZN9rocsparseL18bsrxmvn_4x4_kernelILj128ELj4E21rocsparse_complex_numIfEiifS2_S2_EEvT3_20rocsparse_direction_NS_24const_host_device_scalarIT1_EES3_PKS3_PKT2_SC_S9_PKT4_PKT5_S7_PT6_21rocsparse_index_base_b
                                        ; -- End function
	.section	.AMDGPU.csdata,"",@progbits
; Kernel info:
; codeLenInByte = 6944
; NumSgprs: 18
; NumVgprs: 105
; ScratchSize: 0
; MemoryBound: 0
; FloatMode: 240
; IeeeMode: 1
; LDSByteSize: 0 bytes/workgroup (compile time only)
; SGPRBlocks: 2
; VGPRBlocks: 13
; NumSGPRsForWavesPerEU: 18
; NumVGPRsForWavesPerEU: 105
; Occupancy: 12
; WaveLimiterHint : 1
; COMPUTE_PGM_RSRC2:SCRATCH_EN: 0
; COMPUTE_PGM_RSRC2:USER_SGPR: 15
; COMPUTE_PGM_RSRC2:TRAP_HANDLER: 0
; COMPUTE_PGM_RSRC2:TGID_X_EN: 1
; COMPUTE_PGM_RSRC2:TGID_Y_EN: 0
; COMPUTE_PGM_RSRC2:TGID_Z_EN: 0
; COMPUTE_PGM_RSRC2:TIDIG_COMP_CNT: 0
	.section	.text._ZN9rocsparseL18bsrxmvn_4x4_kernelILj128ELj8E21rocsparse_complex_numIfEiifS2_S2_EEvT3_20rocsparse_direction_NS_24const_host_device_scalarIT1_EES3_PKS3_PKT2_SC_S9_PKT4_PKT5_S7_PT6_21rocsparse_index_base_b,"axG",@progbits,_ZN9rocsparseL18bsrxmvn_4x4_kernelILj128ELj8E21rocsparse_complex_numIfEiifS2_S2_EEvT3_20rocsparse_direction_NS_24const_host_device_scalarIT1_EES3_PKS3_PKT2_SC_S9_PKT4_PKT5_S7_PT6_21rocsparse_index_base_b,comdat
	.globl	_ZN9rocsparseL18bsrxmvn_4x4_kernelILj128ELj8E21rocsparse_complex_numIfEiifS2_S2_EEvT3_20rocsparse_direction_NS_24const_host_device_scalarIT1_EES3_PKS3_PKT2_SC_S9_PKT4_PKT5_S7_PT6_21rocsparse_index_base_b ; -- Begin function _ZN9rocsparseL18bsrxmvn_4x4_kernelILj128ELj8E21rocsparse_complex_numIfEiifS2_S2_EEvT3_20rocsparse_direction_NS_24const_host_device_scalarIT1_EES3_PKS3_PKT2_SC_S9_PKT4_PKT5_S7_PT6_21rocsparse_index_base_b
	.p2align	8
	.type	_ZN9rocsparseL18bsrxmvn_4x4_kernelILj128ELj8E21rocsparse_complex_numIfEiifS2_S2_EEvT3_20rocsparse_direction_NS_24const_host_device_scalarIT1_EES3_PKS3_PKT2_SC_S9_PKT4_PKT5_S7_PT6_21rocsparse_index_base_b,@function
_ZN9rocsparseL18bsrxmvn_4x4_kernelILj128ELj8E21rocsparse_complex_numIfEiifS2_S2_EEvT3_20rocsparse_direction_NS_24const_host_device_scalarIT1_EES3_PKS3_PKT2_SC_S9_PKT4_PKT5_S7_PT6_21rocsparse_index_base_b: ; @_ZN9rocsparseL18bsrxmvn_4x4_kernelILj128ELj8E21rocsparse_complex_numIfEiifS2_S2_EEvT3_20rocsparse_direction_NS_24const_host_device_scalarIT1_EES3_PKS3_PKT2_SC_S9_PKT4_PKT5_S7_PT6_21rocsparse_index_base_b
; %bb.0:
	s_clause 0x2
	s_load_b64 s[12:13], s[0:1], 0x58
	s_load_b64 s[4:5], s[0:1], 0x8
	;; [unrolled: 1-line block ×3, first 2 shown]
	s_waitcnt lgkmcnt(0)
	s_bitcmp1_b32 s13, 0
	v_mov_b32_e32 v59, s4
	s_cselect_b32 s6, -1, 0
	s_delay_alu instid0(SALU_CYCLE_1)
	s_and_b32 vcc_lo, exec_lo, s6
	s_xor_b32 s6, s6, -1
	s_cbranch_vccz .LBB121_14
; %bb.1:
	v_cndmask_b32_e64 v1, 0, 1, s6
	v_mov_b32_e32 v60, s5
	s_and_not1_b32 vcc_lo, exec_lo, s6
	s_cbranch_vccz .LBB121_15
.LBB121_2:
	s_delay_alu instid0(VALU_DEP_2)
	v_cmp_ne_u32_e32 vcc_lo, 1, v1
	v_mov_b32_e32 v57, s2
	s_cbranch_vccz .LBB121_16
.LBB121_3:
	v_cmp_ne_u32_e32 vcc_lo, 1, v1
	v_mov_b32_e32 v58, s3
	s_cbranch_vccnz .LBB121_5
.LBB121_4:
	v_dual_mov_b32 v1, s2 :: v_dual_mov_b32 v2, s3
	flat_load_b32 v58, v[1:2] offset:4
.LBB121_5:
	s_waitcnt vmcnt(0) lgkmcnt(0)
	v_cmp_eq_f32_e32 vcc_lo, 0, v59
	v_cmp_eq_f32_e64 s2, 0, v60
	s_delay_alu instid0(VALU_DEP_1)
	s_and_b32 s4, vcc_lo, s2
	s_mov_b32 s2, -1
	s_and_saveexec_b32 s3, s4
; %bb.6:
	v_cmp_neq_f32_e32 vcc_lo, 1.0, v57
	v_cmp_neq_f32_e64 s2, 0, v58
	s_delay_alu instid0(VALU_DEP_1) | instskip(NEXT) | instid1(SALU_CYCLE_1)
	s_or_b32 s2, vcc_lo, s2
	s_or_not1_b32 s2, s2, exec_lo
; %bb.7:
	s_or_b32 exec_lo, exec_lo, s3
	s_and_saveexec_b32 s3, s2
	s_cbranch_execz .LBB121_13
; %bb.8:
	s_clause 0x1
	s_load_b64 s[4:5], s[0:1], 0x18
	s_load_b64 s[2:3], s[0:1], 0x0
	v_lshrrev_b32_e32 v1, 3, v0
	s_delay_alu instid0(VALU_DEP_1)
	v_lshl_or_b32 v52, s15, 4, v1
	s_waitcnt lgkmcnt(0)
	s_cmp_lg_u64 s[4:5], 0
	s_cbranch_scc0 .LBB121_17
; %bb.9:
	s_load_b32 s6, s[0:1], 0x10
	s_mov_b32 s7, 0
                                        ; implicit-def: $vgpr1
	s_waitcnt lgkmcnt(0)
	v_cmp_gt_i32_e32 vcc_lo, s6, v52
	s_mov_b32 s6, 0
	s_and_saveexec_b32 s8, vcc_lo
	s_delay_alu instid0(SALU_CYCLE_1)
	s_xor_b32 s8, exec_lo, s8
	s_cbranch_execz .LBB121_11
; %bb.10:
	v_ashrrev_i32_e32 v53, 31, v52
	s_mov_b32 s6, exec_lo
	s_delay_alu instid0(VALU_DEP_1) | instskip(NEXT) | instid1(VALU_DEP_1)
	v_lshlrev_b64 v[1:2], 2, v[52:53]
	v_add_co_u32 v1, vcc_lo, s4, v1
	s_delay_alu instid0(VALU_DEP_2)
	v_add_co_ci_u32_e32 v2, vcc_lo, s5, v2, vcc_lo
	global_load_b32 v1, v[1:2], off
	s_waitcnt vmcnt(0)
	v_subrev_nc_u32_e32 v1, s12, v1
.LBB121_11:
	s_or_b32 exec_lo, exec_lo, s8
	s_delay_alu instid0(SALU_CYCLE_1)
	s_and_b32 vcc_lo, exec_lo, s7
	s_cbranch_vccz .LBB121_18
.LBB121_12:
	v_cmp_gt_i32_e32 vcc_lo, s2, v52
	s_and_not1_b32 s2, s6, exec_lo
	s_and_b32 s4, vcc_lo, exec_lo
	s_delay_alu instid0(SALU_CYCLE_1) | instskip(NEXT) | instid1(SALU_CYCLE_1)
	s_or_b32 s6, s2, s4
	s_and_b32 exec_lo, exec_lo, s6
	s_cbranch_execnz .LBB121_19
.LBB121_13:
	s_nop 0
	s_sendmsg sendmsg(MSG_DEALLOC_VGPRS)
	s_endpgm
.LBB121_14:
	v_dual_mov_b32 v1, s4 :: v_dual_mov_b32 v2, s5
	flat_load_b32 v59, v[1:2]
	v_cndmask_b32_e64 v1, 0, 1, s6
	v_mov_b32_e32 v60, s5
	s_and_not1_b32 vcc_lo, exec_lo, s6
	s_cbranch_vccnz .LBB121_2
.LBB121_15:
	v_dual_mov_b32 v2, s4 :: v_dual_mov_b32 v3, s5
	flat_load_b32 v60, v[2:3] offset:4
	v_cmp_ne_u32_e32 vcc_lo, 1, v1
	v_mov_b32_e32 v57, s2
	s_cbranch_vccnz .LBB121_3
.LBB121_16:
	v_dual_mov_b32 v2, s2 :: v_dual_mov_b32 v3, s3
	flat_load_b32 v57, v[2:3]
	v_cmp_ne_u32_e32 vcc_lo, 1, v1
	v_mov_b32_e32 v58, s3
	s_cbranch_vccz .LBB121_4
	s_branch .LBB121_5
.LBB121_17:
	s_mov_b32 s6, 0
                                        ; implicit-def: $vgpr1
	s_cbranch_execnz .LBB121_12
.LBB121_18:
	s_delay_alu instid0(VALU_DEP_1)
	v_mov_b32_e32 v52, v1
	s_and_b32 exec_lo, exec_lo, s6
	s_cbranch_execz .LBB121_13
.LBB121_19:
	s_load_b256 s[4:11], s[0:1], 0x20
	s_delay_alu instid0(VALU_DEP_1) | instskip(SKIP_1) | instid1(VALU_DEP_2)
	v_ashrrev_i32_e32 v53, 31, v52
	v_and_b32_e32 v61, 7, v0
	v_lshlrev_b64 v[1:2], 2, v[52:53]
	s_waitcnt lgkmcnt(0)
	s_delay_alu instid0(VALU_DEP_1) | instskip(NEXT) | instid1(VALU_DEP_2)
	v_add_co_u32 v3, vcc_lo, s4, v1
	v_add_co_ci_u32_e32 v4, vcc_lo, s5, v2, vcc_lo
	v_add_co_u32 v1, vcc_lo, s6, v1
	v_add_co_ci_u32_e32 v2, vcc_lo, s7, v2, vcc_lo
	global_load_b32 v36, v[3:4], off
	v_add_co_u32 v3, vcc_lo, v3, 4
	v_add_co_ci_u32_e32 v4, vcc_lo, 0, v4, vcc_lo
	s_cmp_eq_u64 s[6:7], 0
	s_load_b64 s[4:5], s[0:1], 0x40
	s_cselect_b32 vcc_lo, -1, 0
	s_cmp_eq_u32 s3, 1
	v_dual_cndmask_b32 v2, v2, v4 :: v_dual_cndmask_b32 v1, v1, v3
	global_load_b32 v2, v[1:2], off
	s_waitcnt vmcnt(1)
	v_subrev_nc_u32_e32 v0, s12, v36
	s_delay_alu instid0(VALU_DEP_1) | instskip(NEXT) | instid1(VALU_DEP_1)
	v_add_nc_u32_e32 v53, v0, v61
	v_ashrrev_i32_e32 v54, 31, v53
	s_waitcnt vmcnt(0)
	v_subrev_nc_u32_e32 v70, s12, v2
	s_delay_alu instid0(VALU_DEP_2) | instskip(NEXT) | instid1(VALU_DEP_2)
	v_lshlrev_b64 v[0:1], 6, v[53:54]
	v_cmp_lt_i32_e64 s2, v53, v70
	s_delay_alu instid0(VALU_DEP_2) | instskip(NEXT) | instid1(VALU_DEP_3)
	v_add_co_u32 v55, vcc_lo, s10, v0
	v_add_co_ci_u32_e32 v56, vcc_lo, s11, v1, vcc_lo
	s_cbranch_scc1 .LBB121_31
; %bb.20:
	v_dual_mov_b32 v62, 0 :: v_dual_mov_b32 v65, 0
	v_dual_mov_b32 v64, 0 :: v_dual_mov_b32 v67, 0
	;; [unrolled: 1-line block ×4, first 2 shown]
	s_mov_b32 s3, 0
	s_and_saveexec_b32 s6, s2
	s_cbranch_execz .LBB121_30
; %bb.21:
	v_dual_mov_b32 v63, 0 :: v_dual_add_nc_u32 v0, v36, v61
	v_not_b32_e32 v1, v36
	v_dual_mov_b32 v67, 0 :: v_dual_mov_b32 v66, 0
	s_delay_alu instid0(VALU_DEP_3) | instskip(SKIP_2) | instid1(VALU_DEP_3)
	v_subrev_nc_u32_e32 v0, s12, v0
	v_dual_mov_b32 v65, 0 :: v_dual_mov_b32 v62, 0
	v_dual_mov_b32 v32, v55 :: v_dual_mov_b32 v33, v56
	v_dual_mov_b32 v69, 0 :: v_dual_add_nc_u32 v0, 8, v0
	v_mov_b32_e32 v34, v53
	s_mov_b32 s10, 0
	s_mov_b32 s7, exec_lo
	s_delay_alu instid0(VALU_DEP_2) | instskip(SKIP_2) | instid1(VALU_DEP_3)
	v_max_i32_e32 v0, v0, v70
	v_mov_b32_e32 v68, 0
	v_mov_b32_e32 v64, 0
	v_add3_u32 v0, v0, s12, v1
	s_delay_alu instid0(VALU_DEP_1) | instskip(NEXT) | instid1(VALU_DEP_1)
	v_sub_nc_u32_e32 v0, v0, v61
	v_lshrrev_b32_e32 v1, 3, v0
	s_delay_alu instid0(VALU_DEP_1) | instskip(NEXT) | instid1(VALU_DEP_1)
	v_add_nc_u32_e32 v1, 1, v1
	v_and_b32_e32 v1, 3, v1
	s_delay_alu instid0(VALU_DEP_1)
	v_cmpx_ne_u32_e32 0, v1
	s_cbranch_execz .LBB121_25
; %bb.22:
	v_dual_mov_b32 v32, v55 :: v_dual_mov_b32 v65, 0
	v_dual_mov_b32 v62, 0 :: v_dual_lshlrev_b32 v1, 6, v1
	v_dual_mov_b32 v34, v53 :: v_dual_mov_b32 v33, v56
	v_dual_mov_b32 v64, 0 :: v_dual_mov_b32 v67, 0
	;; [unrolled: 1-line block ×4, first 2 shown]
.LBB121_23:                             ; =>This Inner Loop Header: Depth=1
	s_delay_alu instid0(VALU_DEP_4) | instskip(SKIP_1) | instid1(VALU_DEP_2)
	v_ashrrev_i32_e32 v35, 31, v34
	v_subrev_nc_u32_e32 v1, 64, v1
	v_lshlrev_b64 v[2:3], 2, v[34:35]
	s_delay_alu instid0(VALU_DEP_1) | instskip(NEXT) | instid1(VALU_DEP_2)
	v_add_co_u32 v2, vcc_lo, s8, v2
	v_add_co_ci_u32_e32 v3, vcc_lo, s9, v3, vcc_lo
	global_load_b32 v18, v[2:3], off
	s_clause 0x3
	global_load_b128 v[2:5], v[32:33], off offset:48
	global_load_b128 v[6:9], v[32:33], off offset:32
	;; [unrolled: 1-line block ×3, first 2 shown]
	global_load_b128 v[14:17], v[32:33], off
	s_waitcnt vmcnt(4)
	v_subrev_nc_u32_e32 v18, s12, v18
	s_delay_alu instid0(VALU_DEP_1) | instskip(NEXT) | instid1(VALU_DEP_1)
	v_lshlrev_b32_e32 v18, 2, v18
	v_ashrrev_i32_e32 v19, 31, v18
	s_delay_alu instid0(VALU_DEP_1) | instskip(SKIP_1) | instid1(VALU_DEP_1)
	v_lshlrev_b64 v[18:19], 3, v[18:19]
	s_waitcnt lgkmcnt(0)
	v_add_co_u32 v22, vcc_lo, s4, v18
	s_delay_alu instid0(VALU_DEP_2)
	v_add_co_ci_u32_e32 v23, vcc_lo, s5, v19, vcc_lo
	v_add_co_u32 v32, vcc_lo, 0x200, v32
	v_add_co_ci_u32_e32 v33, vcc_lo, 0, v33, vcc_lo
	s_clause 0x1
	global_load_b128 v[18:21], v[22:23], off
	global_load_b128 v[22:25], v[22:23], off offset:16
	v_cmp_eq_u32_e32 vcc_lo, 0, v1
	s_or_b32 s10, vcc_lo, s10
	s_waitcnt vmcnt(1)
	v_fmac_f32_e32 v63, v2, v18
	v_fmac_f32_e32 v64, v14, v18
	;; [unrolled: 1-line block ×3, first 2 shown]
	s_delay_alu instid0(VALU_DEP_3) | instskip(NEXT) | instid1(VALU_DEP_3)
	v_dual_fmac_f32 v62, 0, v18 :: v_dual_fmac_f32 v63, 0x80000000, v19
	v_dual_fmac_f32 v65, 0, v18 :: v_dual_fmac_f32 v64, 0x80000000, v19
	s_delay_alu instid0(VALU_DEP_3) | instskip(NEXT) | instid1(VALU_DEP_3)
	v_fmac_f32_e32 v69, v2, v19
	v_dual_fmac_f32 v67, 0, v18 :: v_dual_fmac_f32 v62, v14, v19
	s_delay_alu instid0(VALU_DEP_3) | instskip(SKIP_1) | instid1(VALU_DEP_3)
	v_fmac_f32_e32 v65, v10, v19
	v_fmac_f32_e32 v66, v10, v18
	v_dual_fmac_f32 v67, v6, v19 :: v_dual_add_nc_u32 v34, 8, v34
	v_fmac_f32_e32 v63, v3, v20
	s_delay_alu instid0(VALU_DEP_3) | instskip(SKIP_1) | instid1(VALU_DEP_4)
	v_dual_fmac_f32 v65, 0, v20 :: v_dual_fmac_f32 v66, 0x80000000, v19
	v_fmac_f32_e32 v62, 0, v20
	v_dual_fmac_f32 v68, v6, v18 :: v_dual_fmac_f32 v67, 0, v20
	s_delay_alu instid0(VALU_DEP_4) | instskip(NEXT) | instid1(VALU_DEP_4)
	v_dual_fmac_f32 v64, v15, v20 :: v_dual_fmac_f32 v63, 0x80000000, v21
	v_fmac_f32_e32 v65, v11, v21
	v_fmac_f32_e32 v66, v11, v20
	v_dual_fmac_f32 v69, 0, v20 :: v_dual_fmac_f32 v62, v15, v21
	v_fmac_f32_e32 v68, 0x80000000, v19
	v_fmac_f32_e32 v64, 0x80000000, v21
	;; [unrolled: 1-line block ×3, first 2 shown]
	s_waitcnt vmcnt(0)
	v_dual_fmac_f32 v69, v3, v21 :: v_dual_fmac_f32 v62, 0, v22
	v_dual_fmac_f32 v65, 0, v22 :: v_dual_fmac_f32 v66, 0x80000000, v21
	v_fmac_f32_e32 v63, v4, v22
	v_fmac_f32_e32 v64, v16, v22
	v_dual_fmac_f32 v68, v7, v20 :: v_dual_fmac_f32 v67, 0, v22
	s_delay_alu instid0(VALU_DEP_3) | instskip(SKIP_1) | instid1(VALU_DEP_3)
	v_dual_fmac_f32 v66, v12, v22 :: v_dual_fmac_f32 v63, 0x80000000, v23
	v_fmac_f32_e32 v62, v16, v23
	v_dual_fmac_f32 v68, 0x80000000, v21 :: v_dual_fmac_f32 v69, 0, v22
	s_delay_alu instid0(VALU_DEP_3) | instskip(NEXT) | instid1(VALU_DEP_3)
	v_fmac_f32_e32 v63, v5, v24
	v_dual_fmac_f32 v67, v8, v23 :: v_dual_fmac_f32 v62, 0, v24
	v_fmac_f32_e32 v64, 0x80000000, v23
	s_delay_alu instid0(VALU_DEP_4) | instskip(NEXT) | instid1(VALU_DEP_3)
	v_fmac_f32_e32 v69, v4, v23
	v_dual_fmac_f32 v66, 0x80000000, v23 :: v_dual_fmac_f32 v67, 0, v24
	s_delay_alu instid0(VALU_DEP_3) | instskip(NEXT) | instid1(VALU_DEP_3)
	v_dual_fmac_f32 v65, v12, v23 :: v_dual_fmac_f32 v64, v17, v24
	v_dual_fmac_f32 v68, v8, v22 :: v_dual_fmac_f32 v69, 0, v24
	s_delay_alu instid0(VALU_DEP_3) | instskip(NEXT) | instid1(VALU_DEP_3)
	v_fmac_f32_e32 v66, v13, v24
	v_dual_fmac_f32 v65, 0, v24 :: v_dual_fmac_f32 v64, 0x80000000, v25
	s_delay_alu instid0(VALU_DEP_3) | instskip(SKIP_1) | instid1(VALU_DEP_4)
	v_fmac_f32_e32 v68, 0x80000000, v23
	v_fmac_f32_e32 v62, v17, v25
	;; [unrolled: 1-line block ×3, first 2 shown]
	s_delay_alu instid0(VALU_DEP_4) | instskip(SKIP_3) | instid1(VALU_DEP_2)
	v_fmac_f32_e32 v65, v13, v25
	v_fmac_f32_e32 v67, v9, v25
	v_dual_fmac_f32 v68, v9, v24 :: v_dual_fmac_f32 v63, 0x80000000, v25
	v_fmac_f32_e32 v69, v5, v25
	v_fmac_f32_e32 v68, 0x80000000, v25
	s_and_not1_b32 exec_lo, exec_lo, s10
	s_cbranch_execnz .LBB121_23
; %bb.24:
	s_or_b32 exec_lo, exec_lo, s10
.LBB121_25:
	s_delay_alu instid0(SALU_CYCLE_1) | instskip(NEXT) | instid1(SALU_CYCLE_1)
	s_or_b32 exec_lo, exec_lo, s7
	s_mov_b32 s7, exec_lo
	v_cmpx_lt_u32_e32 23, v0
	s_cbranch_execz .LBB121_29
; %bb.26:
	s_mov_b32 s10, 0
.LBB121_27:                             ; =>This Inner Loop Header: Depth=1
	v_ashrrev_i32_e32 v35, 31, v34
	s_clause 0xf
	global_load_b128 v[37:40], v[32:33], off offset:48
	global_load_b128 v[41:44], v[32:33], off offset:32
	;; [unrolled: 1-line block ×3, first 2 shown]
	global_load_b128 v[71:74], v[32:33], off
	global_load_b128 v[75:78], v[32:33], off offset:560
	global_load_b128 v[79:82], v[32:33], off offset:544
	;; [unrolled: 1-line block ×12, first 2 shown]
	v_lshlrev_b64 v[49:50], 2, v[34:35]
	v_add_nc_u32_e32 v34, 32, v34
	s_delay_alu instid0(VALU_DEP_2) | instskip(NEXT) | instid1(VALU_DEP_3)
	v_add_co_u32 v49, vcc_lo, s8, v49
	v_add_co_ci_u32_e32 v50, vcc_lo, s9, v50, vcc_lo
	s_clause 0x3
	global_load_b32 v35, v[49:50], off
	global_load_b32 v51, v[49:50], off offset:32
	global_load_b32 v54, v[49:50], off offset:64
	;; [unrolled: 1-line block ×3, first 2 shown]
	s_waitcnt vmcnt(3)
	v_subrev_nc_u32_e32 v35, s12, v35
	s_waitcnt vmcnt(2)
	v_subrev_nc_u32_e32 v50, s12, v51
	;; [unrolled: 2-line block ×4, first 2 shown]
	v_lshlrev_b32_e32 v49, 2, v35
	v_lshlrev_b32_e32 v91, 2, v50
	;; [unrolled: 1-line block ×3, first 2 shown]
	s_delay_alu instid0(VALU_DEP_4) | instskip(NEXT) | instid1(VALU_DEP_4)
	v_lshlrev_b32_e32 v95, 2, v54
	v_ashrrev_i32_e32 v50, 31, v49
	s_delay_alu instid0(VALU_DEP_4) | instskip(NEXT) | instid1(VALU_DEP_4)
	v_ashrrev_i32_e32 v92, 31, v91
	v_ashrrev_i32_e32 v94, 31, v93
	s_delay_alu instid0(VALU_DEP_4) | instskip(NEXT) | instid1(VALU_DEP_4)
	v_ashrrev_i32_e32 v96, 31, v95
	v_lshlrev_b64 v[49:50], 3, v[49:50]
	s_delay_alu instid0(VALU_DEP_4) | instskip(NEXT) | instid1(VALU_DEP_4)
	v_lshlrev_b64 v[91:92], 3, v[91:92]
	v_lshlrev_b64 v[93:94], 3, v[93:94]
	s_delay_alu instid0(VALU_DEP_4) | instskip(SKIP_1) | instid1(VALU_DEP_4)
	v_lshlrev_b64 v[95:96], 3, v[95:96]
	s_waitcnt lgkmcnt(0)
	v_add_co_u32 v49, vcc_lo, s4, v49
	v_add_co_ci_u32_e32 v50, vcc_lo, s5, v50, vcc_lo
	v_add_co_u32 v99, vcc_lo, s4, v91
	v_add_co_ci_u32_e32 v100, vcc_lo, s5, v92, vcc_lo
	;; [unrolled: 2-line block ×4, first 2 shown]
	s_clause 0x1
	global_load_b128 v[91:94], v[49:50], off
	global_load_b128 v[95:98], v[49:50], off offset:16
	v_add_co_u32 v32, vcc_lo, 0x800, v32
	v_add_co_ci_u32_e32 v33, vcc_lo, 0, v33, vcc_lo
	v_cmp_ge_i32_e32 vcc_lo, v34, v70
	s_or_b32 s10, vcc_lo, s10
	s_waitcnt vmcnt(1)
	v_fmac_f32_e32 v64, v71, v91
	v_fmac_f32_e32 v68, v41, v91
	s_delay_alu instid0(VALU_DEP_2) | instskip(NEXT) | instid1(VALU_DEP_2)
	v_dual_fmac_f32 v65, 0, v91 :: v_dual_fmac_f32 v64, 0x80000000, v92
	v_fmac_f32_e32 v68, 0x80000000, v92
	s_delay_alu instid0(VALU_DEP_2) | instskip(NEXT) | instid1(VALU_DEP_3)
	v_dual_fmac_f32 v62, 0, v91 :: v_dual_fmac_f32 v65, v45, v92
	v_dual_fmac_f32 v67, 0, v91 :: v_dual_fmac_f32 v64, v72, v93
	s_delay_alu instid0(VALU_DEP_3) | instskip(NEXT) | instid1(VALU_DEP_3)
	v_fmac_f32_e32 v68, v42, v93
	v_dual_fmac_f32 v62, v71, v92 :: v_dual_fmac_f32 v63, v37, v91
	s_delay_alu instid0(VALU_DEP_3) | instskip(NEXT) | instid1(VALU_DEP_4)
	v_fmac_f32_e32 v67, v41, v92
	v_dual_fmac_f32 v65, 0, v93 :: v_dual_fmac_f32 v64, 0x80000000, v94
	s_delay_alu instid0(VALU_DEP_3) | instskip(NEXT) | instid1(VALU_DEP_4)
	v_fmac_f32_e32 v62, 0, v93
	v_dual_fmac_f32 v66, v45, v91 :: v_dual_fmac_f32 v63, 0x80000000, v92
	s_delay_alu instid0(VALU_DEP_4) | instskip(NEXT) | instid1(VALU_DEP_3)
	v_dual_fmac_f32 v67, 0, v93 :: v_dual_fmac_f32 v68, 0x80000000, v94
	v_fmac_f32_e32 v62, v72, v94
	s_delay_alu instid0(VALU_DEP_3) | instskip(SKIP_3) | instid1(VALU_DEP_3)
	v_dual_fmac_f32 v66, 0x80000000, v92 :: v_dual_fmac_f32 v69, 0, v91
	v_fmac_f32_e32 v65, v46, v94
	s_waitcnt vmcnt(0)
	v_dual_fmac_f32 v67, v42, v94 :: v_dual_fmac_f32 v64, v73, v95
	v_dual_fmac_f32 v66, v46, v93 :: v_dual_fmac_f32 v69, v37, v92
	;; [unrolled: 1-line block ×3, first 2 shown]
	s_delay_alu instid0(VALU_DEP_3) | instskip(NEXT) | instid1(VALU_DEP_3)
	v_fmac_f32_e32 v64, 0x80000000, v96
	v_dual_fmac_f32 v66, 0x80000000, v94 :: v_dual_fmac_f32 v69, 0, v93
	s_delay_alu instid0(VALU_DEP_3) | instskip(NEXT) | instid1(VALU_DEP_3)
	v_dual_fmac_f32 v63, 0x80000000, v94 :: v_dual_fmac_f32 v62, v73, v96
	v_dual_fmac_f32 v65, 0, v95 :: v_dual_fmac_f32 v64, v74, v97
	s_delay_alu instid0(VALU_DEP_3) | instskip(SKIP_4) | instid1(VALU_DEP_3)
	v_fmac_f32_e32 v69, v38, v94
	global_load_b128 v[91:94], v[99:100], off
	v_dual_fmac_f32 v62, 0, v97 :: v_dual_fmac_f32 v65, v47, v96
	v_fmac_f32_e32 v63, v39, v95
	v_fmac_f32_e32 v67, 0, v95
	v_dual_fmac_f32 v69, 0, v95 :: v_dual_fmac_f32 v62, v74, v98
	s_delay_alu instid0(VALU_DEP_4)
	v_fmac_f32_e32 v65, 0, v97
	global_load_b128 v[71:74], v[99:100], off offset:16
	v_fmac_f32_e32 v66, v47, v95
	v_fmac_f32_e32 v67, v43, v96
	v_dual_fmac_f32 v68, v43, v95 :: v_dual_fmac_f32 v65, v48, v98
	v_dual_fmac_f32 v69, v39, v96 :: v_dual_fmac_f32 v64, 0x80000000, v98
	s_delay_alu instid0(VALU_DEP_3) | instskip(NEXT) | instid1(VALU_DEP_3)
	v_dual_fmac_f32 v66, 0x80000000, v96 :: v_dual_fmac_f32 v67, 0, v97
	v_fmac_f32_e32 v68, 0x80000000, v96
	s_delay_alu instid0(VALU_DEP_2)
	v_fmac_f32_e32 v66, v48, v97
	s_clause 0x1
	global_load_b128 v[45:48], v[101:102], off
	global_load_b128 v[99:102], v[101:102], off offset:16
	v_fmac_f32_e32 v67, v44, v98
	v_fmac_f32_e32 v68, v44, v97
	global_load_b128 v[41:44], v[103:104], off
	v_dual_fmac_f32 v63, 0x80000000, v96 :: v_dual_fmac_f32 v66, 0x80000000, v98
	v_dual_fmac_f32 v69, 0, v97 :: v_dual_fmac_f32 v68, 0x80000000, v98
	s_delay_alu instid0(VALU_DEP_2) | instskip(NEXT) | instid1(VALU_DEP_2)
	v_fmac_f32_e32 v63, v40, v97
	v_fmac_f32_e32 v69, v40, v98
	global_load_b128 v[37:40], v[103:104], off offset:16
	s_waitcnt vmcnt(5)
	v_fmac_f32_e32 v62, 0, v91
	v_dual_fmac_f32 v64, v87, v91 :: v_dual_fmac_f32 v63, 0x80000000, v98
	v_fmac_f32_e32 v66, v83, v91
	v_fmac_f32_e32 v65, 0, v91
	s_delay_alu instid0(VALU_DEP_4) | instskip(NEXT) | instid1(VALU_DEP_3)
	v_dual_fmac_f32 v67, 0, v91 :: v_dual_fmac_f32 v62, v87, v92
	v_dual_fmac_f32 v63, v75, v91 :: v_dual_fmac_f32 v66, 0x80000000, v92
	v_fmac_f32_e32 v68, v79, v91
	v_fmac_f32_e32 v64, 0x80000000, v92
	;; [unrolled: 1-line block ×3, first 2 shown]
	s_delay_alu instid0(VALU_DEP_4) | instskip(NEXT) | instid1(VALU_DEP_4)
	v_fmac_f32_e32 v63, 0x80000000, v92
	v_dual_fmac_f32 v69, 0, v91 :: v_dual_fmac_f32 v68, 0x80000000, v92
	v_dual_fmac_f32 v67, v79, v92 :: v_dual_fmac_f32 v62, 0, v93
	s_delay_alu instid0(VALU_DEP_2) | instskip(NEXT) | instid1(VALU_DEP_4)
	v_dual_fmac_f32 v66, v84, v93 :: v_dual_fmac_f32 v69, v75, v92
	v_fmac_f32_e32 v63, v76, v93
	v_fmac_f32_e32 v64, v88, v93
	v_fmac_f32_e32 v65, 0, v93
	v_dual_fmac_f32 v67, 0, v93 :: v_dual_fmac_f32 v62, v88, v94
	v_fmac_f32_e32 v66, 0x80000000, v94
	v_dual_fmac_f32 v68, v80, v93 :: v_dual_fmac_f32 v63, 0x80000000, v94
	v_dual_fmac_f32 v69, 0, v93 :: v_dual_fmac_f32 v64, 0x80000000, v94
	v_fmac_f32_e32 v65, v84, v94
	s_delay_alu instid0(VALU_DEP_3)
	v_fmac_f32_e32 v68, 0x80000000, v94
	s_waitcnt vmcnt(4)
	v_dual_fmac_f32 v67, v80, v94 :: v_dual_fmac_f32 v62, 0, v71
	v_dual_fmac_f32 v69, v76, v94 :: v_dual_fmac_f32 v66, v85, v71
	v_fmac_f32_e32 v63, v77, v71
	v_fmac_f32_e32 v64, v89, v71
	v_fmac_f32_e32 v65, 0, v71
	v_dual_fmac_f32 v67, 0, v71 :: v_dual_fmac_f32 v62, v89, v72
	v_fmac_f32_e32 v66, 0x80000000, v72
	v_dual_fmac_f32 v68, v81, v71 :: v_dual_fmac_f32 v63, 0x80000000, v72
	v_dual_fmac_f32 v69, 0, v71 :: v_dual_fmac_f32 v64, 0x80000000, v72
	v_fmac_f32_e32 v65, v85, v72
	s_delay_alu instid0(VALU_DEP_3) | instskip(SKIP_1) | instid1(VALU_DEP_4)
	v_fmac_f32_e32 v68, 0x80000000, v72
	v_dual_fmac_f32 v67, v81, v72 :: v_dual_fmac_f32 v62, 0, v73
	v_dual_fmac_f32 v69, v77, v72 :: v_dual_fmac_f32 v66, v86, v73
	v_fmac_f32_e32 v63, v78, v73
	v_fmac_f32_e32 v64, v90, v73
	v_fmac_f32_e32 v65, 0, v73
	v_dual_fmac_f32 v67, 0, v73 :: v_dual_fmac_f32 v62, v90, v74
	v_fmac_f32_e32 v66, 0x80000000, v74
	v_dual_fmac_f32 v68, v82, v73 :: v_dual_fmac_f32 v63, 0x80000000, v74
	v_dual_fmac_f32 v69, 0, v73 :: v_dual_fmac_f32 v64, 0x80000000, v74
	v_fmac_f32_e32 v65, v86, v74
	s_delay_alu instid0(VALU_DEP_3)
	v_fmac_f32_e32 v68, 0x80000000, v74
	s_waitcnt vmcnt(3)
	v_dual_fmac_f32 v67, v82, v74 :: v_dual_fmac_f32 v62, 0, v45
	v_dual_fmac_f32 v69, v78, v74 :: v_dual_fmac_f32 v66, v24, v45
	v_fmac_f32_e32 v63, v16, v45
	v_fmac_f32_e32 v64, v28, v45
	v_fmac_f32_e32 v65, 0, v45
	v_dual_fmac_f32 v67, 0, v45 :: v_dual_fmac_f32 v62, v28, v46
	v_fmac_f32_e32 v66, 0x80000000, v46
	v_dual_fmac_f32 v68, v20, v45 :: v_dual_fmac_f32 v63, 0x80000000, v46
	v_dual_fmac_f32 v69, 0, v45 :: v_dual_fmac_f32 v64, 0x80000000, v46
	v_fmac_f32_e32 v65, v24, v46
	s_delay_alu instid0(VALU_DEP_3) | instskip(SKIP_1) | instid1(VALU_DEP_4)
	v_fmac_f32_e32 v68, 0x80000000, v46
	v_dual_fmac_f32 v67, v20, v46 :: v_dual_fmac_f32 v62, 0, v47
	;; [unrolled: 25-line block ×5, first 2 shown]
	v_dual_fmac_f32 v69, v2, v38 :: v_dual_fmac_f32 v66, v11, v39
	v_fmac_f32_e32 v63, v3, v39
	v_fmac_f32_e32 v64, v15, v39
	;; [unrolled: 1-line block ×3, first 2 shown]
	v_dual_fmac_f32 v67, 0, v39 :: v_dual_fmac_f32 v62, v15, v40
	v_fmac_f32_e32 v66, 0x80000000, v40
	v_dual_fmac_f32 v68, v7, v39 :: v_dual_fmac_f32 v63, 0x80000000, v40
	v_dual_fmac_f32 v69, 0, v39 :: v_dual_fmac_f32 v64, 0x80000000, v40
	v_fmac_f32_e32 v65, v11, v40
	s_delay_alu instid0(VALU_DEP_3) | instskip(SKIP_1) | instid1(VALU_DEP_4)
	v_fmac_f32_e32 v68, 0x80000000, v40
	v_fmac_f32_e32 v67, v7, v40
	;; [unrolled: 1-line block ×3, first 2 shown]
	s_and_not1_b32 exec_lo, exec_lo, s10
	s_cbranch_execnz .LBB121_27
; %bb.28:
	s_or_b32 exec_lo, exec_lo, s10
.LBB121_29:
	s_delay_alu instid0(SALU_CYCLE_1)
	s_or_b32 exec_lo, exec_lo, s7
.LBB121_30:
	s_delay_alu instid0(SALU_CYCLE_1) | instskip(NEXT) | instid1(SALU_CYCLE_1)
	s_or_b32 exec_lo, exec_lo, s6
	s_and_not1_b32 vcc_lo, exec_lo, s3
	s_cbranch_vccz .LBB121_32
	s_branch .LBB121_43
.LBB121_31:
                                        ; implicit-def: $vgpr62
                                        ; implicit-def: $vgpr64
                                        ; implicit-def: $vgpr65
                                        ; implicit-def: $vgpr66
                                        ; implicit-def: $vgpr67
                                        ; implicit-def: $vgpr68
                                        ; implicit-def: $vgpr69
                                        ; implicit-def: $vgpr63
.LBB121_32:
	v_dual_mov_b32 v62, 0 :: v_dual_mov_b32 v65, 0
	v_dual_mov_b32 v64, 0 :: v_dual_mov_b32 v67, 0
	;; [unrolled: 1-line block ×4, first 2 shown]
	s_and_saveexec_b32 s3, s2
	s_cbranch_execz .LBB121_42
; %bb.33:
	v_dual_mov_b32 v63, 0 :: v_dual_add_nc_u32 v0, v36, v61
	v_not_b32_e32 v1, v36
	v_dual_mov_b32 v67, 0 :: v_dual_mov_b32 v64, 0
	s_delay_alu instid0(VALU_DEP_3) | instskip(SKIP_3) | instid1(VALU_DEP_2)
	v_subrev_nc_u32_e32 v0, s12, v0
	v_dual_mov_b32 v65, 0 :: v_dual_mov_b32 v62, 0
	s_mov_b32 s6, 0
	s_mov_b32 s2, exec_lo
	v_dual_mov_b32 v69, 0 :: v_dual_add_nc_u32 v0, 8, v0
	v_mov_b32_e32 v68, 0
	v_mov_b32_e32 v66, 0
	s_delay_alu instid0(VALU_DEP_3) | instskip(NEXT) | instid1(VALU_DEP_1)
	v_max_i32_e32 v0, v0, v70
	v_add3_u32 v0, v0, s12, v1
	s_delay_alu instid0(VALU_DEP_1) | instskip(NEXT) | instid1(VALU_DEP_1)
	v_sub_nc_u32_e32 v0, v0, v61
	v_lshrrev_b32_e32 v1, 3, v0
	s_delay_alu instid0(VALU_DEP_1) | instskip(NEXT) | instid1(VALU_DEP_1)
	v_add_nc_u32_e32 v1, 1, v1
	v_and_b32_e32 v1, 3, v1
	s_delay_alu instid0(VALU_DEP_1)
	v_cmpx_ne_u32_e32 0, v1
	s_cbranch_execz .LBB121_37
; %bb.34:
	v_dual_mov_b32 v62, 0 :: v_dual_lshlrev_b32 v1, 6, v1
	v_dual_mov_b32 v64, 0 :: v_dual_mov_b32 v65, 0
	v_dual_mov_b32 v66, 0 :: v_dual_mov_b32 v67, 0
	;; [unrolled: 1-line block ×3, first 2 shown]
	v_mov_b32_e32 v63, 0
.LBB121_35:                             ; =>This Inner Loop Header: Depth=1
	v_ashrrev_i32_e32 v54, 31, v53
	v_subrev_nc_u32_e32 v1, 64, v1
	s_delay_alu instid0(VALU_DEP_2) | instskip(NEXT) | instid1(VALU_DEP_1)
	v_lshlrev_b64 v[2:3], 2, v[53:54]
	v_add_co_u32 v2, vcc_lo, s8, v2
	s_delay_alu instid0(VALU_DEP_2)
	v_add_co_ci_u32_e32 v3, vcc_lo, s9, v3, vcc_lo
	global_load_b32 v10, v[2:3], off
	s_clause 0x1
	global_load_b128 v[2:5], v[55:56], off offset:16
	global_load_b128 v[6:9], v[55:56], off
	s_waitcnt vmcnt(2)
	v_subrev_nc_u32_e32 v10, s12, v10
	s_delay_alu instid0(VALU_DEP_1) | instskip(NEXT) | instid1(VALU_DEP_1)
	v_lshlrev_b32_e32 v10, 2, v10
	v_ashrrev_i32_e32 v11, 31, v10
	s_delay_alu instid0(VALU_DEP_1) | instskip(SKIP_1) | instid1(VALU_DEP_1)
	v_lshlrev_b64 v[10:11], 3, v[10:11]
	s_waitcnt lgkmcnt(0)
	v_add_co_u32 v14, vcc_lo, s4, v10
	s_delay_alu instid0(VALU_DEP_2)
	v_add_co_ci_u32_e32 v15, vcc_lo, s5, v11, vcc_lo
	s_clause 0x1
	global_load_b128 v[10:13], v[14:15], off
	global_load_b128 v[14:17], v[14:15], off offset:16
	s_clause 0x1
	global_load_b128 v[18:21], v[55:56], off offset:32
	global_load_b128 v[22:25], v[55:56], off offset:48
	v_add_nc_u32_e32 v53, 8, v53
	v_add_co_u32 v55, vcc_lo, 0x200, v55
	v_add_co_ci_u32_e32 v56, vcc_lo, 0, v56, vcc_lo
	v_cmp_eq_u32_e32 vcc_lo, 0, v1
	s_or_b32 s6, vcc_lo, s6
	s_waitcnt vmcnt(3)
	v_fmac_f32_e32 v64, v6, v10
	v_fmac_f32_e32 v65, 0, v10
	v_fmac_f32_e32 v67, 0, v10
	v_fmac_f32_e32 v62, 0, v10
	v_fmac_f32_e32 v63, v9, v10
	v_fmac_f32_e32 v66, v7, v10
	v_fmac_f32_e32 v69, 0, v10
	v_fmac_f32_e32 v68, v8, v10
	v_fmac_f32_e32 v64, 0x80000000, v11
	v_fmac_f32_e32 v65, v7, v11
	v_fmac_f32_e32 v67, v8, v11
	v_fmac_f32_e32 v69, v9, v11
	v_fmac_f32_e32 v62, v6, v11
	v_fmac_f32_e32 v68, 0x80000000, v11
	v_fmac_f32_e32 v63, 0x80000000, v11
	v_dual_fmac_f32 v66, 0x80000000, v11 :: v_dual_fmac_f32 v65, 0, v12
	v_fmac_f32_e32 v64, v2, v12
	v_fmac_f32_e32 v67, 0, v12
	;; [unrolled: 1-line block ×6, first 2 shown]
	v_dual_fmac_f32 v68, v4, v12 :: v_dual_fmac_f32 v65, v3, v13
	v_fmac_f32_e32 v64, 0x80000000, v13
	v_fmac_f32_e32 v67, v4, v13
	s_delay_alu instid0(VALU_DEP_4)
	v_fmac_f32_e32 v69, v5, v13
	v_fmac_f32_e32 v62, v2, v13
	;; [unrolled: 1-line block ×4, first 2 shown]
	s_waitcnt vmcnt(2)
	v_dual_fmac_f32 v66, 0x80000000, v13 :: v_dual_fmac_f32 v65, 0, v14
	s_waitcnt vmcnt(1)
	v_fmac_f32_e32 v64, v18, v14
	v_fmac_f32_e32 v67, 0, v14
	;; [unrolled: 1-line block ×6, first 2 shown]
	v_dual_fmac_f32 v68, v20, v14 :: v_dual_fmac_f32 v65, v19, v15
	v_fmac_f32_e32 v64, 0x80000000, v15
	v_fmac_f32_e32 v67, v20, v15
	s_delay_alu instid0(VALU_DEP_4)
	v_fmac_f32_e32 v69, v21, v15
	v_fmac_f32_e32 v62, v18, v15
	;; [unrolled: 1-line block ×4, first 2 shown]
	v_dual_fmac_f32 v66, 0x80000000, v15 :: v_dual_fmac_f32 v65, 0, v16
	s_waitcnt vmcnt(0)
	v_fmac_f32_e32 v64, v22, v16
	v_fmac_f32_e32 v67, 0, v16
	;; [unrolled: 1-line block ×6, first 2 shown]
	v_dual_fmac_f32 v68, v24, v16 :: v_dual_fmac_f32 v65, v23, v17
	v_fmac_f32_e32 v64, 0x80000000, v17
	v_fmac_f32_e32 v67, v24, v17
	s_delay_alu instid0(VALU_DEP_4)
	v_fmac_f32_e32 v69, v25, v17
	v_fmac_f32_e32 v62, v22, v17
	;; [unrolled: 1-line block ×5, first 2 shown]
	s_and_not1_b32 exec_lo, exec_lo, s6
	s_cbranch_execnz .LBB121_35
; %bb.36:
	s_or_b32 exec_lo, exec_lo, s6
.LBB121_37:
	s_delay_alu instid0(SALU_CYCLE_1) | instskip(NEXT) | instid1(SALU_CYCLE_1)
	s_or_b32 exec_lo, exec_lo, s2
	s_mov_b32 s2, exec_lo
	v_cmpx_lt_u32_e32 23, v0
	s_cbranch_execz .LBB121_41
; %bb.38:
	s_mov_b32 s6, 0
.LBB121_39:                             ; =>This Inner Loop Header: Depth=1
	v_ashrrev_i32_e32 v54, 31, v53
	s_clause 0xe
	global_load_b128 v[16:19], v[55:56], off offset:48
	global_load_b128 v[24:27], v[55:56], off offset:32
	;; [unrolled: 1-line block ×3, first 2 shown]
	global_load_b128 v[40:43], v[55:56], off
	global_load_b128 v[0:3], v[55:56], off offset:560
	global_load_b128 v[4:7], v[55:56], off offset:544
	global_load_b128 v[8:11], v[55:56], off offset:528
	global_load_b128 v[12:15], v[55:56], off offset:512
	global_load_b128 v[20:23], v[55:56], off offset:1072
	global_load_b128 v[28:31], v[55:56], off offset:1056
	global_load_b128 v[36:39], v[55:56], off offset:1040
	global_load_b128 v[44:47], v[55:56], off offset:1024
	global_load_b128 v[48:51], v[55:56], off offset:1552
	global_load_b128 v[71:74], v[55:56], off offset:1536
	global_load_b128 v[75:78], v[55:56], off offset:1568
	v_lshlrev_b64 v[79:80], 2, v[53:54]
	s_delay_alu instid0(VALU_DEP_1) | instskip(NEXT) | instid1(VALU_DEP_2)
	v_add_co_u32 v79, vcc_lo, s8, v79
	v_add_co_ci_u32_e32 v80, vcc_lo, s9, v80, vcc_lo
	s_clause 0x3
	global_load_b32 v54, v[79:80], off
	global_load_b32 v81, v[79:80], off offset:32
	global_load_b32 v82, v[79:80], off offset:64
	;; [unrolled: 1-line block ×3, first 2 shown]
	s_waitcnt vmcnt(3)
	v_subrev_nc_u32_e32 v54, s12, v54
	s_waitcnt vmcnt(2)
	v_subrev_nc_u32_e32 v80, s12, v81
	;; [unrolled: 2-line block ×4, first 2 shown]
	v_lshlrev_b32_e32 v79, 2, v54
	v_lshlrev_b32_e32 v81, 2, v80
	;; [unrolled: 1-line block ×3, first 2 shown]
	s_delay_alu instid0(VALU_DEP_4) | instskip(NEXT) | instid1(VALU_DEP_4)
	v_lshlrev_b32_e32 v85, 2, v84
	v_ashrrev_i32_e32 v80, 31, v79
	s_delay_alu instid0(VALU_DEP_4) | instskip(NEXT) | instid1(VALU_DEP_4)
	v_ashrrev_i32_e32 v82, 31, v81
	v_ashrrev_i32_e32 v84, 31, v83
	s_delay_alu instid0(VALU_DEP_4) | instskip(NEXT) | instid1(VALU_DEP_4)
	v_ashrrev_i32_e32 v86, 31, v85
	v_lshlrev_b64 v[79:80], 3, v[79:80]
	s_delay_alu instid0(VALU_DEP_4) | instskip(NEXT) | instid1(VALU_DEP_4)
	v_lshlrev_b64 v[81:82], 3, v[81:82]
	v_lshlrev_b64 v[83:84], 3, v[83:84]
	s_delay_alu instid0(VALU_DEP_4) | instskip(SKIP_1) | instid1(VALU_DEP_4)
	v_lshlrev_b64 v[85:86], 3, v[85:86]
	s_waitcnt lgkmcnt(0)
	v_add_co_u32 v87, vcc_lo, s4, v79
	v_add_co_ci_u32_e32 v88, vcc_lo, s5, v80, vcc_lo
	v_add_co_u32 v91, vcc_lo, s4, v81
	v_add_co_ci_u32_e32 v92, vcc_lo, s5, v82, vcc_lo
	v_add_co_u32 v93, vcc_lo, s4, v83
	v_add_co_ci_u32_e32 v94, vcc_lo, s5, v84, vcc_lo
	v_add_co_u32 v95, vcc_lo, s4, v85
	v_add_co_ci_u32_e32 v96, vcc_lo, s5, v86, vcc_lo
	s_clause 0x2
	global_load_b128 v[79:82], v[87:88], off
	global_load_b128 v[83:86], v[87:88], off offset:16
	global_load_b128 v[87:90], v[91:92], off
	s_waitcnt vmcnt(2)
	v_fmac_f32_e32 v66, v41, v79
	v_fmac_f32_e32 v64, v40, v79
	;; [unrolled: 1-line block ×4, first 2 shown]
	s_delay_alu instid0(VALU_DEP_4) | instskip(NEXT) | instid1(VALU_DEP_4)
	v_dual_fmac_f32 v67, 0, v79 :: v_dual_fmac_f32 v66, 0x80000000, v80
	v_fmac_f32_e32 v64, 0x80000000, v80
	s_delay_alu instid0(VALU_DEP_4) | instskip(SKIP_1) | instid1(VALU_DEP_3)
	v_dual_fmac_f32 v68, v42, v79 :: v_dual_fmac_f32 v65, v41, v80
	v_fmac_f32_e32 v69, 0, v79
	v_dual_fmac_f32 v63, v43, v79 :: v_dual_fmac_f32 v64, v32, v81
	v_fmac_f32_e32 v62, v40, v80
	v_fmac_f32_e32 v67, v42, v80
	;; [unrolled: 1-line block ×3, first 2 shown]
	v_dual_fmac_f32 v69, v43, v80 :: v_dual_fmac_f32 v66, v33, v81
	global_load_b128 v[40:43], v[91:92], off offset:16
	v_dual_fmac_f32 v63, 0x80000000, v80 :: v_dual_fmac_f32 v68, v34, v81
	v_fmac_f32_e32 v62, 0, v81
	v_fmac_f32_e32 v65, 0, v81
	v_dual_fmac_f32 v67, 0, v81 :: v_dual_fmac_f32 v64, 0x80000000, v82
	v_dual_fmac_f32 v69, 0, v81 :: v_dual_fmac_f32 v66, 0x80000000, v82
	;; [unrolled: 1-line block ×3, first 2 shown]
	v_fmac_f32_e32 v62, v32, v82
	s_waitcnt vmcnt(2)
	v_dual_fmac_f32 v65, v33, v82 :: v_dual_fmac_f32 v64, v24, v83
	v_fmac_f32_e32 v67, v34, v82
	v_dual_fmac_f32 v69, v35, v82 :: v_dual_fmac_f32 v66, v25, v83
	s_clause 0x1
	global_load_b128 v[32:35], v[93:94], off
	global_load_b128 v[91:94], v[93:94], off offset:16
	v_dual_fmac_f32 v63, 0x80000000, v82 :: v_dual_fmac_f32 v68, v26, v83
	global_load_b128 v[79:82], v[95:96], off
	v_fmac_f32_e32 v62, 0, v83
	v_fmac_f32_e32 v65, 0, v83
	v_dual_fmac_f32 v67, 0, v83 :: v_dual_fmac_f32 v64, 0x80000000, v84
	v_dual_fmac_f32 v69, 0, v83 :: v_dual_fmac_f32 v66, 0x80000000, v84
	;; [unrolled: 1-line block ×3, first 2 shown]
	v_fmac_f32_e32 v62, v24, v84
	s_delay_alu instid0(VALU_DEP_4)
	v_dual_fmac_f32 v65, v25, v84 :: v_dual_fmac_f32 v64, v16, v85
	v_fmac_f32_e32 v67, v26, v84
	v_dual_fmac_f32 v69, v27, v84 :: v_dual_fmac_f32 v66, v17, v85
	global_load_b128 v[24:27], v[95:96], off offset:16
	v_dual_fmac_f32 v63, 0x80000000, v84 :: v_dual_fmac_f32 v68, v18, v85
	v_fmac_f32_e32 v62, 0, v85
	v_fmac_f32_e32 v65, 0, v85
	v_dual_fmac_f32 v67, 0, v85 :: v_dual_fmac_f32 v64, 0x80000000, v86
	v_dual_fmac_f32 v69, 0, v85 :: v_dual_fmac_f32 v66, 0x80000000, v86
	;; [unrolled: 1-line block ×3, first 2 shown]
	v_fmac_f32_e32 v62, v16, v86
	s_waitcnt vmcnt(5)
	v_dual_fmac_f32 v65, v17, v86 :: v_dual_fmac_f32 v64, v12, v87
	v_fmac_f32_e32 v67, v18, v86
	v_dual_fmac_f32 v69, v19, v86 :: v_dual_fmac_f32 v66, v13, v87
	global_load_b128 v[16:19], v[55:56], off offset:1584
	v_dual_fmac_f32 v63, 0x80000000, v86 :: v_dual_fmac_f32 v64, 0x80000000, v88
	v_fmac_f32_e32 v62, 0, v87
	v_fmac_f32_e32 v65, 0, v87
	;; [unrolled: 1-line block ×3, first 2 shown]
	v_dual_fmac_f32 v67, 0, v87 :: v_dual_fmac_f32 v66, 0x80000000, v88
	s_delay_alu instid0(VALU_DEP_4) | instskip(NEXT) | instid1(VALU_DEP_4)
	v_fmac_f32_e32 v62, v12, v88
	v_dual_fmac_f32 v65, v13, v88 :: v_dual_fmac_f32 v64, v8, v89
	s_delay_alu instid0(VALU_DEP_4) | instskip(NEXT) | instid1(VALU_DEP_4)
	v_fmac_f32_e32 v69, v15, v88
	;; [unrolled: 3-line block ×3, first 2 shown]
	v_dual_fmac_f32 v65, 0, v89 :: v_dual_fmac_f32 v64, 0x80000000, v90
	s_delay_alu instid0(VALU_DEP_4) | instskip(SKIP_1) | instid1(VALU_DEP_4)
	v_fmac_f32_e32 v69, 0, v89
	v_dual_fmac_f32 v68, v14, v87 :: v_dual_add_nc_u32 v53, 32, v53
	v_fmac_f32_e32 v62, v8, v90
	s_delay_alu instid0(VALU_DEP_4) | instskip(SKIP_4) | instid1(VALU_DEP_4)
	v_fmac_f32_e32 v65, v9, v90
	v_fmac_f32_e32 v63, v15, v87
	v_dual_fmac_f32 v67, 0, v89 :: v_dual_fmac_f32 v66, 0x80000000, v90
	v_fmac_f32_e32 v68, 0x80000000, v88
	v_add_co_u32 v55, vcc_lo, 0x800, v55
	v_fmac_f32_e32 v63, 0x80000000, v88
	s_delay_alu instid0(VALU_DEP_4) | instskip(NEXT) | instid1(VALU_DEP_4)
	v_fmac_f32_e32 v67, v10, v90
	v_fmac_f32_e32 v68, v10, v89
	v_add_co_ci_u32_e32 v56, vcc_lo, 0, v56, vcc_lo
	s_delay_alu instid0(VALU_DEP_4) | instskip(SKIP_1) | instid1(VALU_DEP_4)
	v_fmac_f32_e32 v63, v11, v89
	v_cmp_ge_i32_e32 vcc_lo, v53, v70
	v_fmac_f32_e32 v68, 0x80000000, v90
	s_delay_alu instid0(VALU_DEP_3) | instskip(SKIP_2) | instid1(VALU_DEP_2)
	v_fmac_f32_e32 v63, 0x80000000, v90
	s_or_b32 s6, vcc_lo, s6
	s_waitcnt vmcnt(5)
	v_fmac_f32_e32 v68, v6, v40
	v_dual_fmac_f32 v64, v4, v40 :: v_dual_fmac_f32 v69, v11, v90
	v_fmac_f32_e32 v62, 0, v40
	v_fmac_f32_e32 v65, 0, v40
	;; [unrolled: 1-line block ×3, first 2 shown]
	s_delay_alu instid0(VALU_DEP_4) | instskip(NEXT) | instid1(VALU_DEP_4)
	v_dual_fmac_f32 v64, 0x80000000, v41 :: v_dual_fmac_f32 v69, 0, v40
	v_fmac_f32_e32 v62, v4, v41
	s_delay_alu instid0(VALU_DEP_4) | instskip(NEXT) | instid1(VALU_DEP_4)
	v_fmac_f32_e32 v65, v5, v41
	v_dual_fmac_f32 v67, 0, v40 :: v_dual_fmac_f32 v66, 0x80000000, v41
	s_delay_alu instid0(VALU_DEP_4) | instskip(NEXT) | instid1(VALU_DEP_4)
	v_dual_fmac_f32 v64, v0, v42 :: v_dual_fmac_f32 v69, v7, v41
	v_fmac_f32_e32 v62, 0, v42
	s_delay_alu instid0(VALU_DEP_4) | instskip(NEXT) | instid1(VALU_DEP_4)
	v_fmac_f32_e32 v65, 0, v42
	v_dual_fmac_f32 v67, v6, v41 :: v_dual_fmac_f32 v66, v1, v42
	s_delay_alu instid0(VALU_DEP_4) | instskip(NEXT) | instid1(VALU_DEP_4)
	v_dual_fmac_f32 v64, 0x80000000, v43 :: v_dual_fmac_f32 v69, 0, v42
	v_fmac_f32_e32 v62, v0, v43
	s_delay_alu instid0(VALU_DEP_4)
	v_fmac_f32_e32 v65, v1, v43
	v_dual_fmac_f32 v63, v7, v40 :: v_dual_fmac_f32 v68, 0x80000000, v41
	s_waitcnt vmcnt(4)
	v_dual_fmac_f32 v64, v44, v32 :: v_dual_fmac_f32 v67, 0, v42
	v_fmac_f32_e32 v66, 0x80000000, v43
	v_dual_fmac_f32 v69, v3, v43 :: v_dual_fmac_f32 v62, 0, v32
	s_delay_alu instid0(VALU_DEP_3) | instskip(SKIP_1) | instid1(VALU_DEP_4)
	v_dual_fmac_f32 v64, 0x80000000, v33 :: v_dual_fmac_f32 v65, 0, v32
	v_dual_fmac_f32 v63, 0x80000000, v41 :: v_dual_fmac_f32 v68, v2, v42
	;; [unrolled: 1-line block ×3, first 2 shown]
	s_delay_alu instid0(VALU_DEP_3)
	v_dual_fmac_f32 v69, 0, v32 :: v_dual_fmac_f32 v64, v36, v34
	v_fmac_f32_e32 v62, v44, v33
	v_fmac_f32_e32 v65, v45, v33
	v_dual_fmac_f32 v63, v3, v42 :: v_dual_fmac_f32 v68, 0x80000000, v43
	v_dual_fmac_f32 v67, 0, v32 :: v_dual_fmac_f32 v66, 0x80000000, v33
	;; [unrolled: 1-line block ×3, first 2 shown]
	v_fmac_f32_e32 v62, 0, v34
	v_fmac_f32_e32 v65, 0, v34
	v_dual_fmac_f32 v63, 0x80000000, v43 :: v_dual_fmac_f32 v68, v46, v32
	v_dual_fmac_f32 v67, v46, v33 :: v_dual_fmac_f32 v66, v37, v34
	s_waitcnt vmcnt(3)
	v_dual_fmac_f32 v69, 0, v34 :: v_dual_fmac_f32 v64, v28, v91
	v_fmac_f32_e32 v62, v36, v35
	v_fmac_f32_e32 v65, v37, v35
	v_dual_fmac_f32 v63, v47, v32 :: v_dual_fmac_f32 v68, 0x80000000, v33
	v_dual_fmac_f32 v67, 0, v34 :: v_dual_fmac_f32 v66, 0x80000000, v35
	s_delay_alu instid0(VALU_DEP_3) | instskip(NEXT) | instid1(VALU_DEP_3)
	v_dual_fmac_f32 v64, 0x80000000, v92 :: v_dual_fmac_f32 v65, 0, v91
	v_dual_fmac_f32 v63, 0x80000000, v33 :: v_dual_fmac_f32 v68, v38, v34
	s_delay_alu instid0(VALU_DEP_2) | instskip(NEXT) | instid1(VALU_DEP_3)
	v_fmac_f32_e32 v64, v20, v93
	v_dual_fmac_f32 v62, 0, v91 :: v_dual_fmac_f32 v65, v29, v92
	v_fmac_f32_e32 v67, v38, v35
	s_delay_alu instid0(VALU_DEP_4) | instskip(NEXT) | instid1(VALU_DEP_3)
	v_dual_fmac_f32 v63, v39, v34 :: v_dual_fmac_f32 v68, 0x80000000, v35
	v_fmac_f32_e32 v62, v28, v92
	s_delay_alu instid0(VALU_DEP_3) | instskip(NEXT) | instid1(VALU_DEP_2)
	v_dual_fmac_f32 v64, 0x80000000, v94 :: v_dual_fmac_f32 v67, 0, v91
	v_fmac_f32_e32 v62, 0, v93
	s_delay_alu instid0(VALU_DEP_2) | instskip(SKIP_1) | instid1(VALU_DEP_3)
	v_dual_fmac_f32 v66, v29, v91 :: v_dual_fmac_f32 v67, v30, v92
	v_fmac_f32_e32 v63, 0x80000000, v35
	v_dual_fmac_f32 v65, 0, v93 :: v_dual_fmac_f32 v62, v20, v94
	s_delay_alu instid0(VALU_DEP_3)
	v_fmac_f32_e32 v66, 0x80000000, v92
	s_waitcnt vmcnt(2)
	v_fmac_f32_e32 v64, v71, v79
	v_fmac_f32_e32 v63, v31, v91
	v_dual_fmac_f32 v65, v21, v94 :: v_dual_fmac_f32 v62, 0, v79
	v_fmac_f32_e32 v66, v21, v93
	s_delay_alu instid0(VALU_DEP_3) | instskip(SKIP_1) | instid1(VALU_DEP_3)
	v_dual_fmac_f32 v68, v30, v91 :: v_dual_fmac_f32 v63, 0x80000000, v92
	v_fmac_f32_e32 v69, v39, v35
	v_dual_fmac_f32 v67, 0, v93 :: v_dual_fmac_f32 v66, 0x80000000, v94
	s_delay_alu instid0(VALU_DEP_3) | instskip(NEXT) | instid1(VALU_DEP_3)
	v_dual_fmac_f32 v68, 0x80000000, v92 :: v_dual_fmac_f32 v65, 0, v79
	v_dual_fmac_f32 v62, v71, v80 :: v_dual_fmac_f32 v69, 0, v91
	s_delay_alu instid0(VALU_DEP_3) | instskip(NEXT) | instid1(VALU_DEP_3)
	v_dual_fmac_f32 v67, v22, v94 :: v_dual_fmac_f32 v66, v72, v79
	v_fmac_f32_e32 v68, v22, v93
	v_fmac_f32_e32 v63, v23, v93
	s_delay_alu instid0(VALU_DEP_4) | instskip(NEXT) | instid1(VALU_DEP_4)
	v_fmac_f32_e32 v69, v31, v92
	v_dual_fmac_f32 v67, 0, v79 :: v_dual_fmac_f32 v66, 0x80000000, v80
	s_delay_alu instid0(VALU_DEP_4) | instskip(NEXT) | instid1(VALU_DEP_4)
	v_fmac_f32_e32 v68, 0x80000000, v94
	v_fmac_f32_e32 v63, 0x80000000, v94
	s_delay_alu instid0(VALU_DEP_4) | instskip(SKIP_1) | instid1(VALU_DEP_2)
	v_dual_fmac_f32 v69, 0, v93 :: v_dual_fmac_f32 v64, 0x80000000, v80
	v_dual_fmac_f32 v65, v72, v80 :: v_dual_fmac_f32 v62, 0, v81
	;; [unrolled: 1-line block ×3, first 2 shown]
	s_delay_alu instid0(VALU_DEP_3) | instskip(SKIP_1) | instid1(VALU_DEP_3)
	v_dual_fmac_f32 v63, v74, v79 :: v_dual_fmac_f32 v64, v48, v81
	v_fmac_f32_e32 v66, v49, v81
	v_dual_fmac_f32 v68, 0x80000000, v80 :: v_dual_fmac_f32 v69, 0, v79
	v_fmac_f32_e32 v67, v73, v80
	s_delay_alu instid0(VALU_DEP_4) | instskip(SKIP_1) | instid1(VALU_DEP_4)
	v_fmac_f32_e32 v63, 0x80000000, v80
	v_dual_fmac_f32 v65, 0, v81 :: v_dual_fmac_f32 v62, v48, v82
	v_dual_fmac_f32 v69, v74, v80 :: v_dual_fmac_f32 v64, 0x80000000, v82
	v_fmac_f32_e32 v68, v50, v81
	v_dual_fmac_f32 v67, 0, v81 :: v_dual_fmac_f32 v66, 0x80000000, v82
	v_fmac_f32_e32 v63, v51, v81
	s_waitcnt vmcnt(1)
	v_dual_fmac_f32 v69, 0, v81 :: v_dual_fmac_f32 v64, v75, v24
	v_dual_fmac_f32 v65, v49, v82 :: v_dual_fmac_f32 v62, 0, v24
	v_fmac_f32_e32 v68, 0x80000000, v82
	v_dual_fmac_f32 v67, v50, v82 :: v_dual_fmac_f32 v66, v76, v24
	v_fmac_f32_e32 v63, 0x80000000, v82
	v_dual_fmac_f32 v69, v51, v82 :: v_dual_fmac_f32 v64, 0x80000000, v25
	v_dual_fmac_f32 v65, 0, v24 :: v_dual_fmac_f32 v62, v75, v25
	v_fmac_f32_e32 v68, v77, v24
	v_dual_fmac_f32 v67, 0, v24 :: v_dual_fmac_f32 v66, 0x80000000, v25
	v_fmac_f32_e32 v63, v78, v24
	s_waitcnt vmcnt(0)
	v_dual_fmac_f32 v69, 0, v24 :: v_dual_fmac_f32 v64, v16, v26
	v_dual_fmac_f32 v65, v76, v25 :: v_dual_fmac_f32 v62, 0, v26
	v_fmac_f32_e32 v68, 0x80000000, v25
	v_fmac_f32_e32 v67, v77, v25
	v_dual_fmac_f32 v63, 0x80000000, v25 :: v_dual_fmac_f32 v66, v17, v26
	v_dual_fmac_f32 v69, v78, v25 :: v_dual_fmac_f32 v64, 0x80000000, v27
	;; [unrolled: 1-line block ×3, first 2 shown]
	v_fmac_f32_e32 v68, v18, v26
	s_delay_alu instid0(VALU_DEP_4) | instskip(SKIP_1) | instid1(VALU_DEP_3)
	v_dual_fmac_f32 v67, 0, v26 :: v_dual_fmac_f32 v66, 0x80000000, v27
	v_fmac_f32_e32 v63, v19, v26
	v_dual_fmac_f32 v69, 0, v26 :: v_dual_fmac_f32 v68, 0x80000000, v27
	v_fmac_f32_e32 v65, v17, v27
	s_delay_alu instid0(VALU_DEP_4) | instskip(NEXT) | instid1(VALU_DEP_4)
	v_fmac_f32_e32 v67, v18, v27
	v_fmac_f32_e32 v63, 0x80000000, v27
	s_delay_alu instid0(VALU_DEP_4)
	v_fmac_f32_e32 v69, v19, v27
	s_and_not1_b32 exec_lo, exec_lo, s6
	s_cbranch_execnz .LBB121_39
; %bb.40:
	s_or_b32 exec_lo, exec_lo, s6
.LBB121_41:
	s_delay_alu instid0(SALU_CYCLE_1)
	s_or_b32 exec_lo, exec_lo, s2
.LBB121_42:
	s_delay_alu instid0(SALU_CYCLE_1)
	s_or_b32 exec_lo, exec_lo, s3
.LBB121_43:
	v_mbcnt_lo_u32_b32 v0, -1, 0
	s_delay_alu instid0(VALU_DEP_1) | instskip(SKIP_2) | instid1(VALU_DEP_3)
	v_xor_b32_e32 v1, 4, v0
	v_xor_b32_e32 v9, 2, v0
	;; [unrolled: 1-line block ×3, first 2 shown]
	v_cmp_gt_i32_e32 vcc_lo, 32, v1
	v_cndmask_b32_e32 v1, v0, v1, vcc_lo
	s_delay_alu instid0(VALU_DEP_4) | instskip(NEXT) | instid1(VALU_DEP_2)
	v_cmp_gt_i32_e32 vcc_lo, 32, v9
	v_lshlrev_b32_e32 v1, 2, v1
	ds_bpermute_b32 v2, v1, v64
	s_waitcnt lgkmcnt(0)
	v_add_f32_e32 v2, v64, v2
	ds_bpermute_b32 v4, v1, v66
	ds_bpermute_b32 v8, v1, v63
	;; [unrolled: 1-line block ×7, first 2 shown]
	v_cndmask_b32_e32 v9, v0, v9, vcc_lo
	v_cmp_gt_i32_e32 vcc_lo, 32, v17
	v_cndmask_b32_e32 v0, v0, v17, vcc_lo
	v_cmp_eq_u32_e32 vcc_lo, 7, v61
	s_waitcnt lgkmcnt(6)
	v_add_f32_e32 v4, v66, v4
	s_waitcnt lgkmcnt(5)
	v_dual_add_f32 v8, v63, v8 :: v_dual_lshlrev_b32 v9, 2, v9
	s_waitcnt lgkmcnt(2)
	v_dual_add_f32 v3, v62, v3 :: v_dual_add_f32 v6, v68, v6
	s_waitcnt lgkmcnt(0)
	v_dual_add_f32 v7, v67, v7 :: v_dual_add_f32 v10, v69, v1
	ds_bpermute_b32 v1, v9, v2
	ds_bpermute_b32 v12, v9, v4
	v_add_f32_e32 v5, v65, v5
	ds_bpermute_b32 v11, v9, v3
	ds_bpermute_b32 v14, v9, v6
	;; [unrolled: 1-line block ×4, first 2 shown]
	s_waitcnt lgkmcnt(5)
	v_dual_add_f32 v0, v2, v1 :: v_dual_lshlrev_b32 v17, 2, v0
	s_waitcnt lgkmcnt(4)
	v_add_f32_e32 v2, v4, v12
	ds_bpermute_b32 v13, v9, v5
	ds_bpermute_b32 v9, v9, v10
	s_waitcnt lgkmcnt(4)
	v_dual_add_f32 v1, v3, v11 :: v_dual_add_f32 v4, v6, v14
	s_waitcnt lgkmcnt(2)
	v_add_f32_e32 v6, v8, v16
	ds_bpermute_b32 v8, v17, v0
	ds_bpermute_b32 v12, v17, v4
	;; [unrolled: 1-line block ×3, first 2 shown]
	s_waitcnt lgkmcnt(4)
	v_add_f32_e32 v3, v5, v13
	v_add_f32_e32 v5, v7, v15
	s_waitcnt lgkmcnt(3)
	v_add_f32_e32 v7, v10, v9
	ds_bpermute_b32 v9, v17, v1
	ds_bpermute_b32 v10, v17, v2
	;; [unrolled: 1-line block ×5, first 2 shown]
	s_and_b32 exec_lo, exec_lo, vcc_lo
	s_cbranch_execz .LBB121_13
; %bb.44:
	s_load_b64 s[2:3], s[0:1], 0x50
	s_waitcnt lgkmcnt(0)
	v_add_f32_e32 v8, v0, v8
	v_dual_add_f32 v0, v1, v9 :: v_dual_add_f32 v1, v3, v11
	v_dual_add_f32 v9, v2, v10 :: v_dual_add_f32 v2, v5, v13
	;; [unrolled: 1-line block ×3, first 2 shown]
	v_add_f32_e32 v11, v6, v14
	s_delay_alu instid0(VALU_DEP_4)
	v_mul_f32_e64 v4, v0, -v60
	v_mul_f32_e32 v5, v0, v59
	v_mul_f32_e64 v6, v1, -v60
	v_mul_f32_e32 v7, v1, v59
	v_mul_f32_e64 v0, v2, -v60
	v_mul_f32_e32 v1, v2, v59
	v_mul_f32_e64 v2, v3, -v60
	v_fmac_f32_e32 v6, v59, v9
	v_mul_f32_e32 v3, v3, v59
	v_cmp_eq_f32_e32 vcc_lo, 0, v57
	v_cmp_eq_f32_e64 s0, 0, v58
	v_fmac_f32_e32 v4, v59, v8
	v_dual_fmac_f32 v5, v60, v8 :: v_dual_fmac_f32 v0, v59, v10
	v_dual_fmac_f32 v7, v60, v9 :: v_dual_lshlrev_b32 v8, 2, v52
	v_dual_fmac_f32 v2, v59, v11 :: v_dual_fmac_f32 v1, v60, v10
	v_fmac_f32_e32 v3, v60, v11
	s_and_b32 s0, vcc_lo, s0
	s_delay_alu instid0(SALU_CYCLE_1) | instskip(NEXT) | instid1(SALU_CYCLE_1)
	s_and_saveexec_b32 s1, s0
	s_xor_b32 s0, exec_lo, s1
; %bb.45:
	v_ashrrev_i32_e32 v9, 31, v8
                                        ; implicit-def: $vgpr57
                                        ; implicit-def: $vgpr58
	s_delay_alu instid0(VALU_DEP_1) | instskip(NEXT) | instid1(VALU_DEP_1)
	v_lshlrev_b64 v[8:9], 3, v[8:9]
	v_add_co_u32 v8, vcc_lo, s2, v8
	s_delay_alu instid0(VALU_DEP_2)
	v_add_co_ci_u32_e32 v9, vcc_lo, s3, v9, vcc_lo
	s_clause 0x1
	global_store_b128 v[8:9], v[4:7], off
	global_store_b128 v[8:9], v[0:3], off offset:16
                                        ; implicit-def: $vgpr4
                                        ; implicit-def: $vgpr8
                                        ; implicit-def: $vgpr0
; %bb.46:
	s_and_not1_saveexec_b32 s0, s0
	s_cbranch_execz .LBB121_13
; %bb.47:
	v_ashrrev_i32_e32 v9, 31, v8
	s_delay_alu instid0(VALU_DEP_1) | instskip(NEXT) | instid1(VALU_DEP_1)
	v_lshlrev_b64 v[8:9], 3, v[8:9]
	v_add_co_u32 v16, vcc_lo, s2, v8
	s_delay_alu instid0(VALU_DEP_2)
	v_add_co_ci_u32_e32 v17, vcc_lo, s3, v9, vcc_lo
	s_clause 0x1
	global_load_b128 v[8:11], v[16:17], off
	global_load_b128 v[12:15], v[16:17], off offset:16
	s_waitcnt vmcnt(1)
	v_dual_fmac_f32 v4, v57, v8 :: v_dual_fmac_f32 v7, v58, v10
	v_dual_fmac_f32 v5, v58, v8 :: v_dual_fmac_f32 v6, v57, v10
	s_waitcnt vmcnt(0)
	v_dual_fmac_f32 v0, v57, v12 :: v_dual_fmac_f32 v3, v58, v14
	v_dual_fmac_f32 v1, v58, v12 :: v_dual_fmac_f32 v2, v57, v14
	v_fma_f32 v4, -v58, v9, v4
	v_fmac_f32_e32 v5, v57, v9
	v_fma_f32 v6, -v58, v11, v6
	v_fmac_f32_e32 v7, v57, v11
	;; [unrolled: 2-line block ×4, first 2 shown]
	s_clause 0x1
	global_store_b128 v[16:17], v[4:7], off
	global_store_b128 v[16:17], v[0:3], off offset:16
	s_nop 0
	s_sendmsg sendmsg(MSG_DEALLOC_VGPRS)
	s_endpgm
	.section	.rodata,"a",@progbits
	.p2align	6, 0x0
	.amdhsa_kernel _ZN9rocsparseL18bsrxmvn_4x4_kernelILj128ELj8E21rocsparse_complex_numIfEiifS2_S2_EEvT3_20rocsparse_direction_NS_24const_host_device_scalarIT1_EES3_PKS3_PKT2_SC_S9_PKT4_PKT5_S7_PT6_21rocsparse_index_base_b
		.amdhsa_group_segment_fixed_size 0
		.amdhsa_private_segment_fixed_size 0
		.amdhsa_kernarg_size 96
		.amdhsa_user_sgpr_count 15
		.amdhsa_user_sgpr_dispatch_ptr 0
		.amdhsa_user_sgpr_queue_ptr 0
		.amdhsa_user_sgpr_kernarg_segment_ptr 1
		.amdhsa_user_sgpr_dispatch_id 0
		.amdhsa_user_sgpr_private_segment_size 0
		.amdhsa_wavefront_size32 1
		.amdhsa_uses_dynamic_stack 0
		.amdhsa_enable_private_segment 0
		.amdhsa_system_sgpr_workgroup_id_x 1
		.amdhsa_system_sgpr_workgroup_id_y 0
		.amdhsa_system_sgpr_workgroup_id_z 0
		.amdhsa_system_sgpr_workgroup_info 0
		.amdhsa_system_vgpr_workitem_id 0
		.amdhsa_next_free_vgpr 105
		.amdhsa_next_free_sgpr 16
		.amdhsa_reserve_vcc 1
		.amdhsa_float_round_mode_32 0
		.amdhsa_float_round_mode_16_64 0
		.amdhsa_float_denorm_mode_32 3
		.amdhsa_float_denorm_mode_16_64 3
		.amdhsa_dx10_clamp 1
		.amdhsa_ieee_mode 1
		.amdhsa_fp16_overflow 0
		.amdhsa_workgroup_processor_mode 1
		.amdhsa_memory_ordered 1
		.amdhsa_forward_progress 0
		.amdhsa_shared_vgpr_count 0
		.amdhsa_exception_fp_ieee_invalid_op 0
		.amdhsa_exception_fp_denorm_src 0
		.amdhsa_exception_fp_ieee_div_zero 0
		.amdhsa_exception_fp_ieee_overflow 0
		.amdhsa_exception_fp_ieee_underflow 0
		.amdhsa_exception_fp_ieee_inexact 0
		.amdhsa_exception_int_div_zero 0
	.end_amdhsa_kernel
	.section	.text._ZN9rocsparseL18bsrxmvn_4x4_kernelILj128ELj8E21rocsparse_complex_numIfEiifS2_S2_EEvT3_20rocsparse_direction_NS_24const_host_device_scalarIT1_EES3_PKS3_PKT2_SC_S9_PKT4_PKT5_S7_PT6_21rocsparse_index_base_b,"axG",@progbits,_ZN9rocsparseL18bsrxmvn_4x4_kernelILj128ELj8E21rocsparse_complex_numIfEiifS2_S2_EEvT3_20rocsparse_direction_NS_24const_host_device_scalarIT1_EES3_PKS3_PKT2_SC_S9_PKT4_PKT5_S7_PT6_21rocsparse_index_base_b,comdat
.Lfunc_end121:
	.size	_ZN9rocsparseL18bsrxmvn_4x4_kernelILj128ELj8E21rocsparse_complex_numIfEiifS2_S2_EEvT3_20rocsparse_direction_NS_24const_host_device_scalarIT1_EES3_PKS3_PKT2_SC_S9_PKT4_PKT5_S7_PT6_21rocsparse_index_base_b, .Lfunc_end121-_ZN9rocsparseL18bsrxmvn_4x4_kernelILj128ELj8E21rocsparse_complex_numIfEiifS2_S2_EEvT3_20rocsparse_direction_NS_24const_host_device_scalarIT1_EES3_PKS3_PKT2_SC_S9_PKT4_PKT5_S7_PT6_21rocsparse_index_base_b
                                        ; -- End function
	.section	.AMDGPU.csdata,"",@progbits
; Kernel info:
; codeLenInByte = 6896
; NumSgprs: 18
; NumVgprs: 105
; ScratchSize: 0
; MemoryBound: 0
; FloatMode: 240
; IeeeMode: 1
; LDSByteSize: 0 bytes/workgroup (compile time only)
; SGPRBlocks: 2
; VGPRBlocks: 13
; NumSGPRsForWavesPerEU: 18
; NumVGPRsForWavesPerEU: 105
; Occupancy: 12
; WaveLimiterHint : 1
; COMPUTE_PGM_RSRC2:SCRATCH_EN: 0
; COMPUTE_PGM_RSRC2:USER_SGPR: 15
; COMPUTE_PGM_RSRC2:TRAP_HANDLER: 0
; COMPUTE_PGM_RSRC2:TGID_X_EN: 1
; COMPUTE_PGM_RSRC2:TGID_Y_EN: 0
; COMPUTE_PGM_RSRC2:TGID_Z_EN: 0
; COMPUTE_PGM_RSRC2:TIDIG_COMP_CNT: 0
	.section	.text._ZN9rocsparseL18bsrxmvn_4x4_kernelILj128ELj16E21rocsparse_complex_numIfEiifS2_S2_EEvT3_20rocsparse_direction_NS_24const_host_device_scalarIT1_EES3_PKS3_PKT2_SC_S9_PKT4_PKT5_S7_PT6_21rocsparse_index_base_b,"axG",@progbits,_ZN9rocsparseL18bsrxmvn_4x4_kernelILj128ELj16E21rocsparse_complex_numIfEiifS2_S2_EEvT3_20rocsparse_direction_NS_24const_host_device_scalarIT1_EES3_PKS3_PKT2_SC_S9_PKT4_PKT5_S7_PT6_21rocsparse_index_base_b,comdat
	.globl	_ZN9rocsparseL18bsrxmvn_4x4_kernelILj128ELj16E21rocsparse_complex_numIfEiifS2_S2_EEvT3_20rocsparse_direction_NS_24const_host_device_scalarIT1_EES3_PKS3_PKT2_SC_S9_PKT4_PKT5_S7_PT6_21rocsparse_index_base_b ; -- Begin function _ZN9rocsparseL18bsrxmvn_4x4_kernelILj128ELj16E21rocsparse_complex_numIfEiifS2_S2_EEvT3_20rocsparse_direction_NS_24const_host_device_scalarIT1_EES3_PKS3_PKT2_SC_S9_PKT4_PKT5_S7_PT6_21rocsparse_index_base_b
	.p2align	8
	.type	_ZN9rocsparseL18bsrxmvn_4x4_kernelILj128ELj16E21rocsparse_complex_numIfEiifS2_S2_EEvT3_20rocsparse_direction_NS_24const_host_device_scalarIT1_EES3_PKS3_PKT2_SC_S9_PKT4_PKT5_S7_PT6_21rocsparse_index_base_b,@function
_ZN9rocsparseL18bsrxmvn_4x4_kernelILj128ELj16E21rocsparse_complex_numIfEiifS2_S2_EEvT3_20rocsparse_direction_NS_24const_host_device_scalarIT1_EES3_PKS3_PKT2_SC_S9_PKT4_PKT5_S7_PT6_21rocsparse_index_base_b: ; @_ZN9rocsparseL18bsrxmvn_4x4_kernelILj128ELj16E21rocsparse_complex_numIfEiifS2_S2_EEvT3_20rocsparse_direction_NS_24const_host_device_scalarIT1_EES3_PKS3_PKT2_SC_S9_PKT4_PKT5_S7_PT6_21rocsparse_index_base_b
; %bb.0:
	s_clause 0x2
	s_load_b64 s[12:13], s[0:1], 0x58
	s_load_b64 s[4:5], s[0:1], 0x8
	;; [unrolled: 1-line block ×3, first 2 shown]
	s_waitcnt lgkmcnt(0)
	s_bitcmp1_b32 s13, 0
	v_mov_b32_e32 v59, s4
	s_cselect_b32 s6, -1, 0
	s_delay_alu instid0(SALU_CYCLE_1)
	s_and_b32 vcc_lo, exec_lo, s6
	s_xor_b32 s6, s6, -1
	s_cbranch_vccz .LBB122_14
; %bb.1:
	v_cndmask_b32_e64 v1, 0, 1, s6
	v_mov_b32_e32 v60, s5
	s_and_not1_b32 vcc_lo, exec_lo, s6
	s_cbranch_vccz .LBB122_15
.LBB122_2:
	s_delay_alu instid0(VALU_DEP_2)
	v_cmp_ne_u32_e32 vcc_lo, 1, v1
	v_mov_b32_e32 v57, s2
	s_cbranch_vccz .LBB122_16
.LBB122_3:
	v_cmp_ne_u32_e32 vcc_lo, 1, v1
	v_mov_b32_e32 v58, s3
	s_cbranch_vccnz .LBB122_5
.LBB122_4:
	v_dual_mov_b32 v1, s2 :: v_dual_mov_b32 v2, s3
	flat_load_b32 v58, v[1:2] offset:4
.LBB122_5:
	s_waitcnt vmcnt(0) lgkmcnt(0)
	v_cmp_eq_f32_e32 vcc_lo, 0, v59
	v_cmp_eq_f32_e64 s2, 0, v60
	s_delay_alu instid0(VALU_DEP_1)
	s_and_b32 s4, vcc_lo, s2
	s_mov_b32 s2, -1
	s_and_saveexec_b32 s3, s4
; %bb.6:
	v_cmp_neq_f32_e32 vcc_lo, 1.0, v57
	v_cmp_neq_f32_e64 s2, 0, v58
	s_delay_alu instid0(VALU_DEP_1) | instskip(NEXT) | instid1(SALU_CYCLE_1)
	s_or_b32 s2, vcc_lo, s2
	s_or_not1_b32 s2, s2, exec_lo
; %bb.7:
	s_or_b32 exec_lo, exec_lo, s3
	s_and_saveexec_b32 s3, s2
	s_cbranch_execz .LBB122_13
; %bb.8:
	s_clause 0x1
	s_load_b64 s[4:5], s[0:1], 0x18
	s_load_b64 s[2:3], s[0:1], 0x0
	v_lshrrev_b32_e32 v1, 4, v0
	s_delay_alu instid0(VALU_DEP_1)
	v_lshl_or_b32 v52, s15, 3, v1
	s_waitcnt lgkmcnt(0)
	s_cmp_lg_u64 s[4:5], 0
	s_cbranch_scc0 .LBB122_17
; %bb.9:
	s_load_b32 s6, s[0:1], 0x10
	s_mov_b32 s7, 0
                                        ; implicit-def: $vgpr1
	s_waitcnt lgkmcnt(0)
	v_cmp_gt_i32_e32 vcc_lo, s6, v52
	s_mov_b32 s6, 0
	s_and_saveexec_b32 s8, vcc_lo
	s_delay_alu instid0(SALU_CYCLE_1)
	s_xor_b32 s8, exec_lo, s8
	s_cbranch_execz .LBB122_11
; %bb.10:
	v_ashrrev_i32_e32 v53, 31, v52
	s_mov_b32 s6, exec_lo
	s_delay_alu instid0(VALU_DEP_1) | instskip(NEXT) | instid1(VALU_DEP_1)
	v_lshlrev_b64 v[1:2], 2, v[52:53]
	v_add_co_u32 v1, vcc_lo, s4, v1
	s_delay_alu instid0(VALU_DEP_2)
	v_add_co_ci_u32_e32 v2, vcc_lo, s5, v2, vcc_lo
	global_load_b32 v1, v[1:2], off
	s_waitcnt vmcnt(0)
	v_subrev_nc_u32_e32 v1, s12, v1
.LBB122_11:
	s_or_b32 exec_lo, exec_lo, s8
	s_delay_alu instid0(SALU_CYCLE_1)
	s_and_b32 vcc_lo, exec_lo, s7
	s_cbranch_vccz .LBB122_18
.LBB122_12:
	v_cmp_gt_i32_e32 vcc_lo, s2, v52
	s_and_not1_b32 s2, s6, exec_lo
	s_and_b32 s4, vcc_lo, exec_lo
	s_delay_alu instid0(SALU_CYCLE_1) | instskip(NEXT) | instid1(SALU_CYCLE_1)
	s_or_b32 s6, s2, s4
	s_and_b32 exec_lo, exec_lo, s6
	s_cbranch_execnz .LBB122_19
.LBB122_13:
	s_nop 0
	s_sendmsg sendmsg(MSG_DEALLOC_VGPRS)
	s_endpgm
.LBB122_14:
	v_dual_mov_b32 v1, s4 :: v_dual_mov_b32 v2, s5
	flat_load_b32 v59, v[1:2]
	v_cndmask_b32_e64 v1, 0, 1, s6
	v_mov_b32_e32 v60, s5
	s_and_not1_b32 vcc_lo, exec_lo, s6
	s_cbranch_vccnz .LBB122_2
.LBB122_15:
	v_dual_mov_b32 v2, s4 :: v_dual_mov_b32 v3, s5
	flat_load_b32 v60, v[2:3] offset:4
	v_cmp_ne_u32_e32 vcc_lo, 1, v1
	v_mov_b32_e32 v57, s2
	s_cbranch_vccnz .LBB122_3
.LBB122_16:
	v_dual_mov_b32 v2, s2 :: v_dual_mov_b32 v3, s3
	flat_load_b32 v57, v[2:3]
	v_cmp_ne_u32_e32 vcc_lo, 1, v1
	v_mov_b32_e32 v58, s3
	s_cbranch_vccz .LBB122_4
	s_branch .LBB122_5
.LBB122_17:
	s_mov_b32 s6, 0
                                        ; implicit-def: $vgpr1
	s_cbranch_execnz .LBB122_12
.LBB122_18:
	s_delay_alu instid0(VALU_DEP_1)
	v_mov_b32_e32 v52, v1
	s_and_b32 exec_lo, exec_lo, s6
	s_cbranch_execz .LBB122_13
.LBB122_19:
	s_load_b256 s[4:11], s[0:1], 0x20
	s_delay_alu instid0(VALU_DEP_1) | instskip(SKIP_1) | instid1(VALU_DEP_2)
	v_ashrrev_i32_e32 v53, 31, v52
	v_and_b32_e32 v61, 15, v0
	v_lshlrev_b64 v[1:2], 2, v[52:53]
	s_waitcnt lgkmcnt(0)
	s_delay_alu instid0(VALU_DEP_1) | instskip(NEXT) | instid1(VALU_DEP_2)
	v_add_co_u32 v3, vcc_lo, s4, v1
	v_add_co_ci_u32_e32 v4, vcc_lo, s5, v2, vcc_lo
	v_add_co_u32 v1, vcc_lo, s6, v1
	v_add_co_ci_u32_e32 v2, vcc_lo, s7, v2, vcc_lo
	global_load_b32 v36, v[3:4], off
	v_add_co_u32 v3, vcc_lo, v3, 4
	v_add_co_ci_u32_e32 v4, vcc_lo, 0, v4, vcc_lo
	s_cmp_eq_u64 s[6:7], 0
	s_load_b64 s[4:5], s[0:1], 0x40
	s_cselect_b32 vcc_lo, -1, 0
	s_cmp_eq_u32 s3, 1
	v_dual_cndmask_b32 v2, v2, v4 :: v_dual_cndmask_b32 v1, v1, v3
	global_load_b32 v2, v[1:2], off
	s_waitcnt vmcnt(1)
	v_subrev_nc_u32_e32 v0, s12, v36
	s_delay_alu instid0(VALU_DEP_1) | instskip(NEXT) | instid1(VALU_DEP_1)
	v_add_nc_u32_e32 v53, v0, v61
	v_ashrrev_i32_e32 v54, 31, v53
	s_waitcnt vmcnt(0)
	v_subrev_nc_u32_e32 v70, s12, v2
	s_delay_alu instid0(VALU_DEP_2) | instskip(NEXT) | instid1(VALU_DEP_2)
	v_lshlrev_b64 v[0:1], 6, v[53:54]
	v_cmp_lt_i32_e64 s2, v53, v70
	s_delay_alu instid0(VALU_DEP_2) | instskip(NEXT) | instid1(VALU_DEP_3)
	v_add_co_u32 v55, vcc_lo, s10, v0
	v_add_co_ci_u32_e32 v56, vcc_lo, s11, v1, vcc_lo
	s_cbranch_scc1 .LBB122_31
; %bb.20:
	v_dual_mov_b32 v62, 0 :: v_dual_mov_b32 v65, 0
	v_dual_mov_b32 v64, 0 :: v_dual_mov_b32 v67, 0
	;; [unrolled: 1-line block ×4, first 2 shown]
	s_mov_b32 s3, 0
	s_and_saveexec_b32 s6, s2
	s_cbranch_execz .LBB122_30
; %bb.21:
	v_dual_mov_b32 v63, 0 :: v_dual_add_nc_u32 v0, v36, v61
	v_not_b32_e32 v1, v36
	v_dual_mov_b32 v67, 0 :: v_dual_mov_b32 v66, 0
	s_delay_alu instid0(VALU_DEP_3) | instskip(SKIP_2) | instid1(VALU_DEP_3)
	v_subrev_nc_u32_e32 v0, s12, v0
	v_dual_mov_b32 v65, 0 :: v_dual_mov_b32 v62, 0
	v_dual_mov_b32 v32, v55 :: v_dual_mov_b32 v33, v56
	v_dual_mov_b32 v69, 0 :: v_dual_add_nc_u32 v0, 16, v0
	v_mov_b32_e32 v34, v53
	s_mov_b32 s10, 0
	s_mov_b32 s7, exec_lo
	s_delay_alu instid0(VALU_DEP_2) | instskip(SKIP_2) | instid1(VALU_DEP_3)
	v_max_i32_e32 v0, v0, v70
	v_mov_b32_e32 v68, 0
	v_mov_b32_e32 v64, 0
	v_add3_u32 v0, v0, s12, v1
	s_delay_alu instid0(VALU_DEP_1) | instskip(NEXT) | instid1(VALU_DEP_1)
	v_sub_nc_u32_e32 v0, v0, v61
	v_lshrrev_b32_e32 v1, 4, v0
	s_delay_alu instid0(VALU_DEP_1) | instskip(NEXT) | instid1(VALU_DEP_1)
	v_add_nc_u32_e32 v1, 1, v1
	v_and_b32_e32 v1, 3, v1
	s_delay_alu instid0(VALU_DEP_1)
	v_cmpx_ne_u32_e32 0, v1
	s_cbranch_execz .LBB122_25
; %bb.22:
	v_dual_mov_b32 v32, v55 :: v_dual_mov_b32 v65, 0
	v_dual_mov_b32 v62, 0 :: v_dual_lshlrev_b32 v1, 6, v1
	v_dual_mov_b32 v34, v53 :: v_dual_mov_b32 v33, v56
	v_dual_mov_b32 v64, 0 :: v_dual_mov_b32 v67, 0
	;; [unrolled: 1-line block ×4, first 2 shown]
.LBB122_23:                             ; =>This Inner Loop Header: Depth=1
	s_delay_alu instid0(VALU_DEP_4) | instskip(SKIP_1) | instid1(VALU_DEP_2)
	v_ashrrev_i32_e32 v35, 31, v34
	v_subrev_nc_u32_e32 v1, 64, v1
	v_lshlrev_b64 v[2:3], 2, v[34:35]
	s_delay_alu instid0(VALU_DEP_1) | instskip(NEXT) | instid1(VALU_DEP_2)
	v_add_co_u32 v2, vcc_lo, s8, v2
	v_add_co_ci_u32_e32 v3, vcc_lo, s9, v3, vcc_lo
	global_load_b32 v18, v[2:3], off
	s_clause 0x3
	global_load_b128 v[2:5], v[32:33], off offset:48
	global_load_b128 v[6:9], v[32:33], off offset:32
	global_load_b128 v[10:13], v[32:33], off offset:16
	global_load_b128 v[14:17], v[32:33], off
	s_waitcnt vmcnt(4)
	v_subrev_nc_u32_e32 v18, s12, v18
	s_delay_alu instid0(VALU_DEP_1) | instskip(NEXT) | instid1(VALU_DEP_1)
	v_lshlrev_b32_e32 v18, 2, v18
	v_ashrrev_i32_e32 v19, 31, v18
	s_delay_alu instid0(VALU_DEP_1) | instskip(SKIP_1) | instid1(VALU_DEP_1)
	v_lshlrev_b64 v[18:19], 3, v[18:19]
	s_waitcnt lgkmcnt(0)
	v_add_co_u32 v22, vcc_lo, s4, v18
	s_delay_alu instid0(VALU_DEP_2)
	v_add_co_ci_u32_e32 v23, vcc_lo, s5, v19, vcc_lo
	v_add_co_u32 v32, vcc_lo, 0x400, v32
	v_add_co_ci_u32_e32 v33, vcc_lo, 0, v33, vcc_lo
	s_clause 0x1
	global_load_b128 v[18:21], v[22:23], off
	global_load_b128 v[22:25], v[22:23], off offset:16
	v_cmp_eq_u32_e32 vcc_lo, 0, v1
	s_or_b32 s10, vcc_lo, s10
	s_waitcnt vmcnt(1)
	v_fmac_f32_e32 v63, v2, v18
	v_fmac_f32_e32 v64, v14, v18
	;; [unrolled: 1-line block ×3, first 2 shown]
	s_delay_alu instid0(VALU_DEP_3) | instskip(NEXT) | instid1(VALU_DEP_3)
	v_dual_fmac_f32 v62, 0, v18 :: v_dual_fmac_f32 v63, 0x80000000, v19
	v_dual_fmac_f32 v65, 0, v18 :: v_dual_fmac_f32 v64, 0x80000000, v19
	s_delay_alu instid0(VALU_DEP_3) | instskip(NEXT) | instid1(VALU_DEP_3)
	v_fmac_f32_e32 v69, v2, v19
	v_dual_fmac_f32 v67, 0, v18 :: v_dual_fmac_f32 v62, v14, v19
	s_delay_alu instid0(VALU_DEP_3) | instskip(SKIP_1) | instid1(VALU_DEP_3)
	v_fmac_f32_e32 v65, v10, v19
	v_fmac_f32_e32 v66, v10, v18
	v_dual_fmac_f32 v67, v6, v19 :: v_dual_add_nc_u32 v34, 16, v34
	v_fmac_f32_e32 v63, v3, v20
	s_delay_alu instid0(VALU_DEP_3) | instskip(SKIP_1) | instid1(VALU_DEP_4)
	v_dual_fmac_f32 v65, 0, v20 :: v_dual_fmac_f32 v66, 0x80000000, v19
	v_fmac_f32_e32 v62, 0, v20
	v_dual_fmac_f32 v68, v6, v18 :: v_dual_fmac_f32 v67, 0, v20
	s_delay_alu instid0(VALU_DEP_4) | instskip(NEXT) | instid1(VALU_DEP_4)
	v_dual_fmac_f32 v64, v15, v20 :: v_dual_fmac_f32 v63, 0x80000000, v21
	v_fmac_f32_e32 v65, v11, v21
	v_fmac_f32_e32 v66, v11, v20
	v_dual_fmac_f32 v69, 0, v20 :: v_dual_fmac_f32 v62, v15, v21
	v_fmac_f32_e32 v68, 0x80000000, v19
	v_fmac_f32_e32 v64, 0x80000000, v21
	v_fmac_f32_e32 v67, v7, v21
	s_waitcnt vmcnt(0)
	v_dual_fmac_f32 v69, v3, v21 :: v_dual_fmac_f32 v62, 0, v22
	v_dual_fmac_f32 v65, 0, v22 :: v_dual_fmac_f32 v66, 0x80000000, v21
	v_fmac_f32_e32 v63, v4, v22
	v_fmac_f32_e32 v64, v16, v22
	v_dual_fmac_f32 v68, v7, v20 :: v_dual_fmac_f32 v67, 0, v22
	s_delay_alu instid0(VALU_DEP_3) | instskip(SKIP_1) | instid1(VALU_DEP_3)
	v_dual_fmac_f32 v66, v12, v22 :: v_dual_fmac_f32 v63, 0x80000000, v23
	v_fmac_f32_e32 v62, v16, v23
	v_dual_fmac_f32 v68, 0x80000000, v21 :: v_dual_fmac_f32 v69, 0, v22
	s_delay_alu instid0(VALU_DEP_3) | instskip(NEXT) | instid1(VALU_DEP_3)
	v_fmac_f32_e32 v63, v5, v24
	v_dual_fmac_f32 v67, v8, v23 :: v_dual_fmac_f32 v62, 0, v24
	v_fmac_f32_e32 v64, 0x80000000, v23
	s_delay_alu instid0(VALU_DEP_4) | instskip(NEXT) | instid1(VALU_DEP_3)
	v_fmac_f32_e32 v69, v4, v23
	v_dual_fmac_f32 v66, 0x80000000, v23 :: v_dual_fmac_f32 v67, 0, v24
	s_delay_alu instid0(VALU_DEP_3) | instskip(NEXT) | instid1(VALU_DEP_3)
	v_dual_fmac_f32 v65, v12, v23 :: v_dual_fmac_f32 v64, v17, v24
	v_dual_fmac_f32 v68, v8, v22 :: v_dual_fmac_f32 v69, 0, v24
	s_delay_alu instid0(VALU_DEP_3) | instskip(NEXT) | instid1(VALU_DEP_3)
	v_fmac_f32_e32 v66, v13, v24
	v_dual_fmac_f32 v65, 0, v24 :: v_dual_fmac_f32 v64, 0x80000000, v25
	s_delay_alu instid0(VALU_DEP_3) | instskip(SKIP_1) | instid1(VALU_DEP_4)
	v_fmac_f32_e32 v68, 0x80000000, v23
	v_fmac_f32_e32 v62, v17, v25
	;; [unrolled: 1-line block ×3, first 2 shown]
	s_delay_alu instid0(VALU_DEP_4) | instskip(SKIP_3) | instid1(VALU_DEP_2)
	v_fmac_f32_e32 v65, v13, v25
	v_fmac_f32_e32 v67, v9, v25
	v_dual_fmac_f32 v68, v9, v24 :: v_dual_fmac_f32 v63, 0x80000000, v25
	v_fmac_f32_e32 v69, v5, v25
	v_fmac_f32_e32 v68, 0x80000000, v25
	s_and_not1_b32 exec_lo, exec_lo, s10
	s_cbranch_execnz .LBB122_23
; %bb.24:
	s_or_b32 exec_lo, exec_lo, s10
.LBB122_25:
	s_delay_alu instid0(SALU_CYCLE_1) | instskip(NEXT) | instid1(SALU_CYCLE_1)
	s_or_b32 exec_lo, exec_lo, s7
	s_mov_b32 s7, exec_lo
	v_cmpx_lt_u32_e32 47, v0
	s_cbranch_execz .LBB122_29
; %bb.26:
	s_mov_b32 s10, 0
.LBB122_27:                             ; =>This Inner Loop Header: Depth=1
	v_ashrrev_i32_e32 v35, 31, v34
	s_clause 0xf
	global_load_b128 v[37:40], v[32:33], off offset:48
	global_load_b128 v[41:44], v[32:33], off offset:32
	;; [unrolled: 1-line block ×3, first 2 shown]
	global_load_b128 v[71:74], v[32:33], off
	global_load_b128 v[75:78], v[32:33], off offset:1072
	global_load_b128 v[79:82], v[32:33], off offset:1056
	;; [unrolled: 1-line block ×12, first 2 shown]
	v_lshlrev_b64 v[49:50], 2, v[34:35]
	v_add_nc_u32_e32 v34, 64, v34
	s_delay_alu instid0(VALU_DEP_2) | instskip(NEXT) | instid1(VALU_DEP_3)
	v_add_co_u32 v49, vcc_lo, s8, v49
	v_add_co_ci_u32_e32 v50, vcc_lo, s9, v50, vcc_lo
	s_clause 0x3
	global_load_b32 v35, v[49:50], off
	global_load_b32 v51, v[49:50], off offset:64
	global_load_b32 v54, v[49:50], off offset:128
	;; [unrolled: 1-line block ×3, first 2 shown]
	s_waitcnt vmcnt(3)
	v_subrev_nc_u32_e32 v35, s12, v35
	s_waitcnt vmcnt(2)
	v_subrev_nc_u32_e32 v50, s12, v51
	;; [unrolled: 2-line block ×4, first 2 shown]
	v_lshlrev_b32_e32 v49, 2, v35
	v_lshlrev_b32_e32 v91, 2, v50
	;; [unrolled: 1-line block ×3, first 2 shown]
	s_delay_alu instid0(VALU_DEP_4) | instskip(NEXT) | instid1(VALU_DEP_4)
	v_lshlrev_b32_e32 v95, 2, v54
	v_ashrrev_i32_e32 v50, 31, v49
	s_delay_alu instid0(VALU_DEP_4) | instskip(NEXT) | instid1(VALU_DEP_4)
	v_ashrrev_i32_e32 v92, 31, v91
	v_ashrrev_i32_e32 v94, 31, v93
	s_delay_alu instid0(VALU_DEP_4) | instskip(NEXT) | instid1(VALU_DEP_4)
	v_ashrrev_i32_e32 v96, 31, v95
	v_lshlrev_b64 v[49:50], 3, v[49:50]
	s_delay_alu instid0(VALU_DEP_4) | instskip(NEXT) | instid1(VALU_DEP_4)
	v_lshlrev_b64 v[91:92], 3, v[91:92]
	v_lshlrev_b64 v[93:94], 3, v[93:94]
	s_delay_alu instid0(VALU_DEP_4) | instskip(SKIP_1) | instid1(VALU_DEP_4)
	v_lshlrev_b64 v[95:96], 3, v[95:96]
	s_waitcnt lgkmcnt(0)
	v_add_co_u32 v49, vcc_lo, s4, v49
	v_add_co_ci_u32_e32 v50, vcc_lo, s5, v50, vcc_lo
	v_add_co_u32 v99, vcc_lo, s4, v91
	v_add_co_ci_u32_e32 v100, vcc_lo, s5, v92, vcc_lo
	v_add_co_u32 v101, vcc_lo, s4, v93
	v_add_co_ci_u32_e32 v102, vcc_lo, s5, v94, vcc_lo
	v_add_co_u32 v103, vcc_lo, s4, v95
	v_add_co_ci_u32_e32 v104, vcc_lo, s5, v96, vcc_lo
	s_clause 0x1
	global_load_b128 v[91:94], v[49:50], off
	global_load_b128 v[95:98], v[49:50], off offset:16
	v_add_co_u32 v32, vcc_lo, 0x1000, v32
	v_add_co_ci_u32_e32 v33, vcc_lo, 0, v33, vcc_lo
	v_cmp_ge_i32_e32 vcc_lo, v34, v70
	s_or_b32 s10, vcc_lo, s10
	s_waitcnt vmcnt(1)
	v_fmac_f32_e32 v64, v71, v91
	v_fmac_f32_e32 v68, v41, v91
	s_delay_alu instid0(VALU_DEP_2) | instskip(NEXT) | instid1(VALU_DEP_2)
	v_dual_fmac_f32 v65, 0, v91 :: v_dual_fmac_f32 v64, 0x80000000, v92
	v_fmac_f32_e32 v68, 0x80000000, v92
	s_delay_alu instid0(VALU_DEP_2) | instskip(NEXT) | instid1(VALU_DEP_3)
	v_dual_fmac_f32 v62, 0, v91 :: v_dual_fmac_f32 v65, v45, v92
	v_dual_fmac_f32 v67, 0, v91 :: v_dual_fmac_f32 v64, v72, v93
	s_delay_alu instid0(VALU_DEP_3) | instskip(NEXT) | instid1(VALU_DEP_3)
	v_fmac_f32_e32 v68, v42, v93
	v_dual_fmac_f32 v62, v71, v92 :: v_dual_fmac_f32 v63, v37, v91
	s_delay_alu instid0(VALU_DEP_3) | instskip(NEXT) | instid1(VALU_DEP_4)
	v_fmac_f32_e32 v67, v41, v92
	v_dual_fmac_f32 v65, 0, v93 :: v_dual_fmac_f32 v64, 0x80000000, v94
	s_delay_alu instid0(VALU_DEP_3) | instskip(NEXT) | instid1(VALU_DEP_4)
	v_fmac_f32_e32 v62, 0, v93
	v_dual_fmac_f32 v66, v45, v91 :: v_dual_fmac_f32 v63, 0x80000000, v92
	s_delay_alu instid0(VALU_DEP_4) | instskip(NEXT) | instid1(VALU_DEP_3)
	v_dual_fmac_f32 v67, 0, v93 :: v_dual_fmac_f32 v68, 0x80000000, v94
	v_fmac_f32_e32 v62, v72, v94
	s_delay_alu instid0(VALU_DEP_3) | instskip(SKIP_3) | instid1(VALU_DEP_3)
	v_dual_fmac_f32 v66, 0x80000000, v92 :: v_dual_fmac_f32 v69, 0, v91
	v_fmac_f32_e32 v65, v46, v94
	s_waitcnt vmcnt(0)
	v_dual_fmac_f32 v67, v42, v94 :: v_dual_fmac_f32 v64, v73, v95
	v_dual_fmac_f32 v66, v46, v93 :: v_dual_fmac_f32 v69, v37, v92
	;; [unrolled: 1-line block ×3, first 2 shown]
	s_delay_alu instid0(VALU_DEP_3) | instskip(NEXT) | instid1(VALU_DEP_3)
	v_fmac_f32_e32 v64, 0x80000000, v96
	v_dual_fmac_f32 v66, 0x80000000, v94 :: v_dual_fmac_f32 v69, 0, v93
	s_delay_alu instid0(VALU_DEP_3) | instskip(NEXT) | instid1(VALU_DEP_3)
	v_dual_fmac_f32 v63, 0x80000000, v94 :: v_dual_fmac_f32 v62, v73, v96
	v_dual_fmac_f32 v65, 0, v95 :: v_dual_fmac_f32 v64, v74, v97
	s_delay_alu instid0(VALU_DEP_3) | instskip(SKIP_4) | instid1(VALU_DEP_3)
	v_fmac_f32_e32 v69, v38, v94
	global_load_b128 v[91:94], v[99:100], off
	v_dual_fmac_f32 v62, 0, v97 :: v_dual_fmac_f32 v65, v47, v96
	v_fmac_f32_e32 v63, v39, v95
	v_fmac_f32_e32 v67, 0, v95
	v_dual_fmac_f32 v69, 0, v95 :: v_dual_fmac_f32 v62, v74, v98
	s_delay_alu instid0(VALU_DEP_4)
	v_fmac_f32_e32 v65, 0, v97
	global_load_b128 v[71:74], v[99:100], off offset:16
	v_fmac_f32_e32 v66, v47, v95
	v_fmac_f32_e32 v67, v43, v96
	v_dual_fmac_f32 v68, v43, v95 :: v_dual_fmac_f32 v65, v48, v98
	v_dual_fmac_f32 v69, v39, v96 :: v_dual_fmac_f32 v64, 0x80000000, v98
	s_delay_alu instid0(VALU_DEP_3) | instskip(NEXT) | instid1(VALU_DEP_3)
	v_dual_fmac_f32 v66, 0x80000000, v96 :: v_dual_fmac_f32 v67, 0, v97
	v_fmac_f32_e32 v68, 0x80000000, v96
	s_delay_alu instid0(VALU_DEP_2)
	v_fmac_f32_e32 v66, v48, v97
	s_clause 0x1
	global_load_b128 v[45:48], v[101:102], off
	global_load_b128 v[99:102], v[101:102], off offset:16
	v_fmac_f32_e32 v67, v44, v98
	v_fmac_f32_e32 v68, v44, v97
	global_load_b128 v[41:44], v[103:104], off
	v_dual_fmac_f32 v63, 0x80000000, v96 :: v_dual_fmac_f32 v66, 0x80000000, v98
	v_dual_fmac_f32 v69, 0, v97 :: v_dual_fmac_f32 v68, 0x80000000, v98
	s_delay_alu instid0(VALU_DEP_2) | instskip(NEXT) | instid1(VALU_DEP_2)
	v_fmac_f32_e32 v63, v40, v97
	v_fmac_f32_e32 v69, v40, v98
	global_load_b128 v[37:40], v[103:104], off offset:16
	s_waitcnt vmcnt(5)
	v_fmac_f32_e32 v62, 0, v91
	v_dual_fmac_f32 v64, v87, v91 :: v_dual_fmac_f32 v63, 0x80000000, v98
	v_fmac_f32_e32 v66, v83, v91
	v_fmac_f32_e32 v65, 0, v91
	s_delay_alu instid0(VALU_DEP_4) | instskip(NEXT) | instid1(VALU_DEP_3)
	v_dual_fmac_f32 v67, 0, v91 :: v_dual_fmac_f32 v62, v87, v92
	v_dual_fmac_f32 v63, v75, v91 :: v_dual_fmac_f32 v66, 0x80000000, v92
	v_fmac_f32_e32 v68, v79, v91
	v_fmac_f32_e32 v64, 0x80000000, v92
	;; [unrolled: 1-line block ×3, first 2 shown]
	s_delay_alu instid0(VALU_DEP_4) | instskip(NEXT) | instid1(VALU_DEP_4)
	v_fmac_f32_e32 v63, 0x80000000, v92
	v_dual_fmac_f32 v69, 0, v91 :: v_dual_fmac_f32 v68, 0x80000000, v92
	v_dual_fmac_f32 v67, v79, v92 :: v_dual_fmac_f32 v62, 0, v93
	s_delay_alu instid0(VALU_DEP_2) | instskip(NEXT) | instid1(VALU_DEP_4)
	v_dual_fmac_f32 v66, v84, v93 :: v_dual_fmac_f32 v69, v75, v92
	v_fmac_f32_e32 v63, v76, v93
	v_fmac_f32_e32 v64, v88, v93
	v_fmac_f32_e32 v65, 0, v93
	v_dual_fmac_f32 v67, 0, v93 :: v_dual_fmac_f32 v62, v88, v94
	v_fmac_f32_e32 v66, 0x80000000, v94
	v_dual_fmac_f32 v68, v80, v93 :: v_dual_fmac_f32 v63, 0x80000000, v94
	v_dual_fmac_f32 v69, 0, v93 :: v_dual_fmac_f32 v64, 0x80000000, v94
	v_fmac_f32_e32 v65, v84, v94
	s_delay_alu instid0(VALU_DEP_3)
	v_fmac_f32_e32 v68, 0x80000000, v94
	s_waitcnt vmcnt(4)
	v_dual_fmac_f32 v67, v80, v94 :: v_dual_fmac_f32 v62, 0, v71
	v_dual_fmac_f32 v69, v76, v94 :: v_dual_fmac_f32 v66, v85, v71
	v_fmac_f32_e32 v63, v77, v71
	v_fmac_f32_e32 v64, v89, v71
	v_fmac_f32_e32 v65, 0, v71
	v_dual_fmac_f32 v67, 0, v71 :: v_dual_fmac_f32 v62, v89, v72
	v_fmac_f32_e32 v66, 0x80000000, v72
	v_dual_fmac_f32 v68, v81, v71 :: v_dual_fmac_f32 v63, 0x80000000, v72
	v_dual_fmac_f32 v69, 0, v71 :: v_dual_fmac_f32 v64, 0x80000000, v72
	v_fmac_f32_e32 v65, v85, v72
	s_delay_alu instid0(VALU_DEP_3) | instskip(SKIP_1) | instid1(VALU_DEP_4)
	v_fmac_f32_e32 v68, 0x80000000, v72
	v_dual_fmac_f32 v67, v81, v72 :: v_dual_fmac_f32 v62, 0, v73
	v_dual_fmac_f32 v69, v77, v72 :: v_dual_fmac_f32 v66, v86, v73
	v_fmac_f32_e32 v63, v78, v73
	v_fmac_f32_e32 v64, v90, v73
	v_fmac_f32_e32 v65, 0, v73
	v_dual_fmac_f32 v67, 0, v73 :: v_dual_fmac_f32 v62, v90, v74
	v_fmac_f32_e32 v66, 0x80000000, v74
	v_dual_fmac_f32 v68, v82, v73 :: v_dual_fmac_f32 v63, 0x80000000, v74
	v_dual_fmac_f32 v69, 0, v73 :: v_dual_fmac_f32 v64, 0x80000000, v74
	v_fmac_f32_e32 v65, v86, v74
	s_delay_alu instid0(VALU_DEP_3)
	v_fmac_f32_e32 v68, 0x80000000, v74
	s_waitcnt vmcnt(3)
	v_dual_fmac_f32 v67, v82, v74 :: v_dual_fmac_f32 v62, 0, v45
	v_dual_fmac_f32 v69, v78, v74 :: v_dual_fmac_f32 v66, v24, v45
	v_fmac_f32_e32 v63, v16, v45
	v_fmac_f32_e32 v64, v28, v45
	v_fmac_f32_e32 v65, 0, v45
	v_dual_fmac_f32 v67, 0, v45 :: v_dual_fmac_f32 v62, v28, v46
	v_fmac_f32_e32 v66, 0x80000000, v46
	v_dual_fmac_f32 v68, v20, v45 :: v_dual_fmac_f32 v63, 0x80000000, v46
	v_dual_fmac_f32 v69, 0, v45 :: v_dual_fmac_f32 v64, 0x80000000, v46
	v_fmac_f32_e32 v65, v24, v46
	s_delay_alu instid0(VALU_DEP_3) | instskip(SKIP_1) | instid1(VALU_DEP_4)
	v_fmac_f32_e32 v68, 0x80000000, v46
	v_dual_fmac_f32 v67, v20, v46 :: v_dual_fmac_f32 v62, 0, v47
	;; [unrolled: 25-line block ×5, first 2 shown]
	v_dual_fmac_f32 v69, v2, v38 :: v_dual_fmac_f32 v66, v11, v39
	v_fmac_f32_e32 v63, v3, v39
	v_fmac_f32_e32 v64, v15, v39
	;; [unrolled: 1-line block ×3, first 2 shown]
	v_dual_fmac_f32 v67, 0, v39 :: v_dual_fmac_f32 v62, v15, v40
	v_fmac_f32_e32 v66, 0x80000000, v40
	v_dual_fmac_f32 v68, v7, v39 :: v_dual_fmac_f32 v63, 0x80000000, v40
	v_dual_fmac_f32 v69, 0, v39 :: v_dual_fmac_f32 v64, 0x80000000, v40
	v_fmac_f32_e32 v65, v11, v40
	s_delay_alu instid0(VALU_DEP_3) | instskip(SKIP_1) | instid1(VALU_DEP_4)
	v_fmac_f32_e32 v68, 0x80000000, v40
	v_fmac_f32_e32 v67, v7, v40
	v_fmac_f32_e32 v69, v3, v40
	s_and_not1_b32 exec_lo, exec_lo, s10
	s_cbranch_execnz .LBB122_27
; %bb.28:
	s_or_b32 exec_lo, exec_lo, s10
.LBB122_29:
	s_delay_alu instid0(SALU_CYCLE_1)
	s_or_b32 exec_lo, exec_lo, s7
.LBB122_30:
	s_delay_alu instid0(SALU_CYCLE_1) | instskip(NEXT) | instid1(SALU_CYCLE_1)
	s_or_b32 exec_lo, exec_lo, s6
	s_and_not1_b32 vcc_lo, exec_lo, s3
	s_cbranch_vccz .LBB122_32
	s_branch .LBB122_43
.LBB122_31:
                                        ; implicit-def: $vgpr62
                                        ; implicit-def: $vgpr64
                                        ; implicit-def: $vgpr65
                                        ; implicit-def: $vgpr66
                                        ; implicit-def: $vgpr67
                                        ; implicit-def: $vgpr68
                                        ; implicit-def: $vgpr69
                                        ; implicit-def: $vgpr63
.LBB122_32:
	v_dual_mov_b32 v62, 0 :: v_dual_mov_b32 v65, 0
	v_dual_mov_b32 v64, 0 :: v_dual_mov_b32 v67, 0
	;; [unrolled: 1-line block ×4, first 2 shown]
	s_and_saveexec_b32 s3, s2
	s_cbranch_execz .LBB122_42
; %bb.33:
	v_dual_mov_b32 v63, 0 :: v_dual_add_nc_u32 v0, v36, v61
	v_not_b32_e32 v1, v36
	v_dual_mov_b32 v67, 0 :: v_dual_mov_b32 v64, 0
	s_delay_alu instid0(VALU_DEP_3) | instskip(SKIP_3) | instid1(VALU_DEP_2)
	v_subrev_nc_u32_e32 v0, s12, v0
	v_dual_mov_b32 v65, 0 :: v_dual_mov_b32 v62, 0
	s_mov_b32 s6, 0
	s_mov_b32 s2, exec_lo
	v_dual_mov_b32 v69, 0 :: v_dual_add_nc_u32 v0, 16, v0
	v_mov_b32_e32 v68, 0
	v_mov_b32_e32 v66, 0
	s_delay_alu instid0(VALU_DEP_3) | instskip(NEXT) | instid1(VALU_DEP_1)
	v_max_i32_e32 v0, v0, v70
	v_add3_u32 v0, v0, s12, v1
	s_delay_alu instid0(VALU_DEP_1) | instskip(NEXT) | instid1(VALU_DEP_1)
	v_sub_nc_u32_e32 v0, v0, v61
	v_lshrrev_b32_e32 v1, 4, v0
	s_delay_alu instid0(VALU_DEP_1) | instskip(NEXT) | instid1(VALU_DEP_1)
	v_add_nc_u32_e32 v1, 1, v1
	v_and_b32_e32 v1, 3, v1
	s_delay_alu instid0(VALU_DEP_1)
	v_cmpx_ne_u32_e32 0, v1
	s_cbranch_execz .LBB122_37
; %bb.34:
	v_dual_mov_b32 v62, 0 :: v_dual_lshlrev_b32 v1, 6, v1
	v_dual_mov_b32 v64, 0 :: v_dual_mov_b32 v65, 0
	v_dual_mov_b32 v66, 0 :: v_dual_mov_b32 v67, 0
	v_dual_mov_b32 v68, 0 :: v_dual_mov_b32 v69, 0
	v_mov_b32_e32 v63, 0
.LBB122_35:                             ; =>This Inner Loop Header: Depth=1
	v_ashrrev_i32_e32 v54, 31, v53
	v_subrev_nc_u32_e32 v1, 64, v1
	s_delay_alu instid0(VALU_DEP_2) | instskip(NEXT) | instid1(VALU_DEP_1)
	v_lshlrev_b64 v[2:3], 2, v[53:54]
	v_add_co_u32 v2, vcc_lo, s8, v2
	s_delay_alu instid0(VALU_DEP_2)
	v_add_co_ci_u32_e32 v3, vcc_lo, s9, v3, vcc_lo
	global_load_b32 v10, v[2:3], off
	s_clause 0x1
	global_load_b128 v[2:5], v[55:56], off offset:16
	global_load_b128 v[6:9], v[55:56], off
	s_waitcnt vmcnt(2)
	v_subrev_nc_u32_e32 v10, s12, v10
	s_delay_alu instid0(VALU_DEP_1) | instskip(NEXT) | instid1(VALU_DEP_1)
	v_lshlrev_b32_e32 v10, 2, v10
	v_ashrrev_i32_e32 v11, 31, v10
	s_delay_alu instid0(VALU_DEP_1) | instskip(SKIP_1) | instid1(VALU_DEP_1)
	v_lshlrev_b64 v[10:11], 3, v[10:11]
	s_waitcnt lgkmcnt(0)
	v_add_co_u32 v14, vcc_lo, s4, v10
	s_delay_alu instid0(VALU_DEP_2)
	v_add_co_ci_u32_e32 v15, vcc_lo, s5, v11, vcc_lo
	s_clause 0x1
	global_load_b128 v[10:13], v[14:15], off
	global_load_b128 v[14:17], v[14:15], off offset:16
	s_clause 0x1
	global_load_b128 v[18:21], v[55:56], off offset:32
	global_load_b128 v[22:25], v[55:56], off offset:48
	v_add_nc_u32_e32 v53, 16, v53
	v_add_co_u32 v55, vcc_lo, 0x400, v55
	v_add_co_ci_u32_e32 v56, vcc_lo, 0, v56, vcc_lo
	v_cmp_eq_u32_e32 vcc_lo, 0, v1
	s_or_b32 s6, vcc_lo, s6
	s_waitcnt vmcnt(3)
	v_fmac_f32_e32 v64, v6, v10
	v_fmac_f32_e32 v65, 0, v10
	;; [unrolled: 1-line block ×15, first 2 shown]
	v_dual_fmac_f32 v66, 0x80000000, v11 :: v_dual_fmac_f32 v65, 0, v12
	v_fmac_f32_e32 v64, v2, v12
	v_fmac_f32_e32 v67, 0, v12
	;; [unrolled: 1-line block ×6, first 2 shown]
	v_dual_fmac_f32 v68, v4, v12 :: v_dual_fmac_f32 v65, v3, v13
	v_fmac_f32_e32 v64, 0x80000000, v13
	v_fmac_f32_e32 v67, v4, v13
	s_delay_alu instid0(VALU_DEP_4)
	v_fmac_f32_e32 v69, v5, v13
	v_fmac_f32_e32 v62, v2, v13
	;; [unrolled: 1-line block ×4, first 2 shown]
	s_waitcnt vmcnt(2)
	v_dual_fmac_f32 v66, 0x80000000, v13 :: v_dual_fmac_f32 v65, 0, v14
	s_waitcnt vmcnt(1)
	v_fmac_f32_e32 v64, v18, v14
	v_fmac_f32_e32 v67, 0, v14
	;; [unrolled: 1-line block ×6, first 2 shown]
	v_dual_fmac_f32 v68, v20, v14 :: v_dual_fmac_f32 v65, v19, v15
	v_fmac_f32_e32 v64, 0x80000000, v15
	v_fmac_f32_e32 v67, v20, v15
	s_delay_alu instid0(VALU_DEP_4)
	v_fmac_f32_e32 v69, v21, v15
	v_fmac_f32_e32 v62, v18, v15
	;; [unrolled: 1-line block ×4, first 2 shown]
	v_dual_fmac_f32 v66, 0x80000000, v15 :: v_dual_fmac_f32 v65, 0, v16
	s_waitcnt vmcnt(0)
	v_fmac_f32_e32 v64, v22, v16
	v_fmac_f32_e32 v67, 0, v16
	v_fmac_f32_e32 v62, 0, v16
	v_fmac_f32_e32 v63, v25, v16
	v_fmac_f32_e32 v66, v23, v16
	v_fmac_f32_e32 v69, 0, v16
	v_dual_fmac_f32 v68, v24, v16 :: v_dual_fmac_f32 v65, v23, v17
	v_fmac_f32_e32 v64, 0x80000000, v17
	v_fmac_f32_e32 v67, v24, v17
	s_delay_alu instid0(VALU_DEP_4)
	v_fmac_f32_e32 v69, v25, v17
	v_fmac_f32_e32 v62, v22, v17
	;; [unrolled: 1-line block ×5, first 2 shown]
	s_and_not1_b32 exec_lo, exec_lo, s6
	s_cbranch_execnz .LBB122_35
; %bb.36:
	s_or_b32 exec_lo, exec_lo, s6
.LBB122_37:
	s_delay_alu instid0(SALU_CYCLE_1) | instskip(NEXT) | instid1(SALU_CYCLE_1)
	s_or_b32 exec_lo, exec_lo, s2
	s_mov_b32 s2, exec_lo
	v_cmpx_lt_u32_e32 47, v0
	s_cbranch_execz .LBB122_41
; %bb.38:
	s_mov_b32 s6, 0
.LBB122_39:                             ; =>This Inner Loop Header: Depth=1
	v_ashrrev_i32_e32 v54, 31, v53
	s_clause 0xe
	global_load_b128 v[16:19], v[55:56], off offset:48
	global_load_b128 v[24:27], v[55:56], off offset:32
	;; [unrolled: 1-line block ×3, first 2 shown]
	global_load_b128 v[40:43], v[55:56], off
	global_load_b128 v[0:3], v[55:56], off offset:1072
	global_load_b128 v[4:7], v[55:56], off offset:1056
	;; [unrolled: 1-line block ×11, first 2 shown]
	v_lshlrev_b64 v[79:80], 2, v[53:54]
	s_delay_alu instid0(VALU_DEP_1) | instskip(NEXT) | instid1(VALU_DEP_2)
	v_add_co_u32 v79, vcc_lo, s8, v79
	v_add_co_ci_u32_e32 v80, vcc_lo, s9, v80, vcc_lo
	s_clause 0x3
	global_load_b32 v54, v[79:80], off
	global_load_b32 v81, v[79:80], off offset:64
	global_load_b32 v82, v[79:80], off offset:128
	global_load_b32 v79, v[79:80], off offset:192
	s_waitcnt vmcnt(3)
	v_subrev_nc_u32_e32 v54, s12, v54
	s_waitcnt vmcnt(2)
	v_subrev_nc_u32_e32 v80, s12, v81
	;; [unrolled: 2-line block ×4, first 2 shown]
	v_lshlrev_b32_e32 v79, 2, v54
	v_lshlrev_b32_e32 v81, 2, v80
	;; [unrolled: 1-line block ×3, first 2 shown]
	s_delay_alu instid0(VALU_DEP_4) | instskip(NEXT) | instid1(VALU_DEP_4)
	v_lshlrev_b32_e32 v85, 2, v84
	v_ashrrev_i32_e32 v80, 31, v79
	s_delay_alu instid0(VALU_DEP_4) | instskip(NEXT) | instid1(VALU_DEP_4)
	v_ashrrev_i32_e32 v82, 31, v81
	v_ashrrev_i32_e32 v84, 31, v83
	s_delay_alu instid0(VALU_DEP_4) | instskip(NEXT) | instid1(VALU_DEP_4)
	v_ashrrev_i32_e32 v86, 31, v85
	v_lshlrev_b64 v[79:80], 3, v[79:80]
	s_delay_alu instid0(VALU_DEP_4) | instskip(NEXT) | instid1(VALU_DEP_4)
	v_lshlrev_b64 v[81:82], 3, v[81:82]
	v_lshlrev_b64 v[83:84], 3, v[83:84]
	s_delay_alu instid0(VALU_DEP_4) | instskip(SKIP_1) | instid1(VALU_DEP_4)
	v_lshlrev_b64 v[85:86], 3, v[85:86]
	s_waitcnt lgkmcnt(0)
	v_add_co_u32 v87, vcc_lo, s4, v79
	v_add_co_ci_u32_e32 v88, vcc_lo, s5, v80, vcc_lo
	v_add_co_u32 v91, vcc_lo, s4, v81
	v_add_co_ci_u32_e32 v92, vcc_lo, s5, v82, vcc_lo
	v_add_co_u32 v93, vcc_lo, s4, v83
	v_add_co_ci_u32_e32 v94, vcc_lo, s5, v84, vcc_lo
	v_add_co_u32 v95, vcc_lo, s4, v85
	v_add_co_ci_u32_e32 v96, vcc_lo, s5, v86, vcc_lo
	s_clause 0x2
	global_load_b128 v[79:82], v[87:88], off
	global_load_b128 v[83:86], v[87:88], off offset:16
	global_load_b128 v[87:90], v[91:92], off
	s_waitcnt vmcnt(2)
	v_fmac_f32_e32 v66, v41, v79
	v_fmac_f32_e32 v64, v40, v79
	;; [unrolled: 1-line block ×4, first 2 shown]
	s_delay_alu instid0(VALU_DEP_4) | instskip(NEXT) | instid1(VALU_DEP_4)
	v_dual_fmac_f32 v67, 0, v79 :: v_dual_fmac_f32 v66, 0x80000000, v80
	v_fmac_f32_e32 v64, 0x80000000, v80
	s_delay_alu instid0(VALU_DEP_4) | instskip(SKIP_1) | instid1(VALU_DEP_3)
	v_dual_fmac_f32 v68, v42, v79 :: v_dual_fmac_f32 v65, v41, v80
	v_fmac_f32_e32 v69, 0, v79
	v_dual_fmac_f32 v63, v43, v79 :: v_dual_fmac_f32 v64, v32, v81
	v_fmac_f32_e32 v62, v40, v80
	v_fmac_f32_e32 v67, v42, v80
	;; [unrolled: 1-line block ×3, first 2 shown]
	v_dual_fmac_f32 v69, v43, v80 :: v_dual_fmac_f32 v66, v33, v81
	global_load_b128 v[40:43], v[91:92], off offset:16
	v_dual_fmac_f32 v63, 0x80000000, v80 :: v_dual_fmac_f32 v68, v34, v81
	v_fmac_f32_e32 v62, 0, v81
	v_fmac_f32_e32 v65, 0, v81
	v_dual_fmac_f32 v67, 0, v81 :: v_dual_fmac_f32 v64, 0x80000000, v82
	v_dual_fmac_f32 v69, 0, v81 :: v_dual_fmac_f32 v66, 0x80000000, v82
	;; [unrolled: 1-line block ×3, first 2 shown]
	v_fmac_f32_e32 v62, v32, v82
	s_waitcnt vmcnt(2)
	v_dual_fmac_f32 v65, v33, v82 :: v_dual_fmac_f32 v64, v24, v83
	v_fmac_f32_e32 v67, v34, v82
	v_dual_fmac_f32 v69, v35, v82 :: v_dual_fmac_f32 v66, v25, v83
	s_clause 0x1
	global_load_b128 v[32:35], v[93:94], off
	global_load_b128 v[91:94], v[93:94], off offset:16
	v_dual_fmac_f32 v63, 0x80000000, v82 :: v_dual_fmac_f32 v68, v26, v83
	global_load_b128 v[79:82], v[95:96], off
	v_fmac_f32_e32 v62, 0, v83
	v_fmac_f32_e32 v65, 0, v83
	v_dual_fmac_f32 v67, 0, v83 :: v_dual_fmac_f32 v64, 0x80000000, v84
	v_dual_fmac_f32 v69, 0, v83 :: v_dual_fmac_f32 v66, 0x80000000, v84
	;; [unrolled: 1-line block ×3, first 2 shown]
	v_fmac_f32_e32 v62, v24, v84
	s_delay_alu instid0(VALU_DEP_4)
	v_dual_fmac_f32 v65, v25, v84 :: v_dual_fmac_f32 v64, v16, v85
	v_fmac_f32_e32 v67, v26, v84
	v_dual_fmac_f32 v69, v27, v84 :: v_dual_fmac_f32 v66, v17, v85
	global_load_b128 v[24:27], v[95:96], off offset:16
	v_dual_fmac_f32 v63, 0x80000000, v84 :: v_dual_fmac_f32 v68, v18, v85
	v_fmac_f32_e32 v62, 0, v85
	v_fmac_f32_e32 v65, 0, v85
	v_dual_fmac_f32 v67, 0, v85 :: v_dual_fmac_f32 v64, 0x80000000, v86
	v_dual_fmac_f32 v69, 0, v85 :: v_dual_fmac_f32 v66, 0x80000000, v86
	v_dual_fmac_f32 v63, v19, v85 :: v_dual_fmac_f32 v68, 0x80000000, v86
	v_fmac_f32_e32 v62, v16, v86
	s_waitcnt vmcnt(5)
	v_dual_fmac_f32 v65, v17, v86 :: v_dual_fmac_f32 v64, v12, v87
	v_fmac_f32_e32 v67, v18, v86
	v_dual_fmac_f32 v69, v19, v86 :: v_dual_fmac_f32 v66, v13, v87
	global_load_b128 v[16:19], v[55:56], off offset:3120
	v_dual_fmac_f32 v63, 0x80000000, v86 :: v_dual_fmac_f32 v64, 0x80000000, v88
	v_fmac_f32_e32 v62, 0, v87
	v_fmac_f32_e32 v65, 0, v87
	;; [unrolled: 1-line block ×3, first 2 shown]
	v_dual_fmac_f32 v67, 0, v87 :: v_dual_fmac_f32 v66, 0x80000000, v88
	s_delay_alu instid0(VALU_DEP_4) | instskip(NEXT) | instid1(VALU_DEP_4)
	v_fmac_f32_e32 v62, v12, v88
	v_dual_fmac_f32 v65, v13, v88 :: v_dual_fmac_f32 v64, v8, v89
	s_delay_alu instid0(VALU_DEP_4) | instskip(NEXT) | instid1(VALU_DEP_4)
	v_fmac_f32_e32 v69, v15, v88
	;; [unrolled: 3-line block ×3, first 2 shown]
	v_dual_fmac_f32 v65, 0, v89 :: v_dual_fmac_f32 v64, 0x80000000, v90
	s_delay_alu instid0(VALU_DEP_4) | instskip(SKIP_1) | instid1(VALU_DEP_4)
	v_fmac_f32_e32 v69, 0, v89
	v_dual_fmac_f32 v68, v14, v87 :: v_dual_add_nc_u32 v53, 64, v53
	v_fmac_f32_e32 v62, v8, v90
	s_delay_alu instid0(VALU_DEP_4) | instskip(SKIP_4) | instid1(VALU_DEP_4)
	v_fmac_f32_e32 v65, v9, v90
	v_fmac_f32_e32 v63, v15, v87
	v_dual_fmac_f32 v67, 0, v89 :: v_dual_fmac_f32 v66, 0x80000000, v90
	v_fmac_f32_e32 v68, 0x80000000, v88
	v_add_co_u32 v55, vcc_lo, 0x1000, v55
	v_fmac_f32_e32 v63, 0x80000000, v88
	s_delay_alu instid0(VALU_DEP_4) | instskip(NEXT) | instid1(VALU_DEP_4)
	v_fmac_f32_e32 v67, v10, v90
	v_fmac_f32_e32 v68, v10, v89
	v_add_co_ci_u32_e32 v56, vcc_lo, 0, v56, vcc_lo
	s_delay_alu instid0(VALU_DEP_4) | instskip(SKIP_1) | instid1(VALU_DEP_4)
	v_fmac_f32_e32 v63, v11, v89
	v_cmp_ge_i32_e32 vcc_lo, v53, v70
	v_fmac_f32_e32 v68, 0x80000000, v90
	s_delay_alu instid0(VALU_DEP_3) | instskip(SKIP_2) | instid1(VALU_DEP_2)
	v_fmac_f32_e32 v63, 0x80000000, v90
	s_or_b32 s6, vcc_lo, s6
	s_waitcnt vmcnt(5)
	v_fmac_f32_e32 v68, v6, v40
	v_dual_fmac_f32 v64, v4, v40 :: v_dual_fmac_f32 v69, v11, v90
	v_fmac_f32_e32 v62, 0, v40
	v_fmac_f32_e32 v65, 0, v40
	;; [unrolled: 1-line block ×3, first 2 shown]
	s_delay_alu instid0(VALU_DEP_4) | instskip(NEXT) | instid1(VALU_DEP_4)
	v_dual_fmac_f32 v64, 0x80000000, v41 :: v_dual_fmac_f32 v69, 0, v40
	v_fmac_f32_e32 v62, v4, v41
	s_delay_alu instid0(VALU_DEP_4) | instskip(NEXT) | instid1(VALU_DEP_4)
	v_fmac_f32_e32 v65, v5, v41
	v_dual_fmac_f32 v67, 0, v40 :: v_dual_fmac_f32 v66, 0x80000000, v41
	s_delay_alu instid0(VALU_DEP_4) | instskip(NEXT) | instid1(VALU_DEP_4)
	v_dual_fmac_f32 v64, v0, v42 :: v_dual_fmac_f32 v69, v7, v41
	v_fmac_f32_e32 v62, 0, v42
	s_delay_alu instid0(VALU_DEP_4) | instskip(NEXT) | instid1(VALU_DEP_4)
	v_fmac_f32_e32 v65, 0, v42
	v_dual_fmac_f32 v67, v6, v41 :: v_dual_fmac_f32 v66, v1, v42
	s_delay_alu instid0(VALU_DEP_4) | instskip(NEXT) | instid1(VALU_DEP_4)
	v_dual_fmac_f32 v64, 0x80000000, v43 :: v_dual_fmac_f32 v69, 0, v42
	v_fmac_f32_e32 v62, v0, v43
	s_delay_alu instid0(VALU_DEP_4)
	v_fmac_f32_e32 v65, v1, v43
	v_dual_fmac_f32 v63, v7, v40 :: v_dual_fmac_f32 v68, 0x80000000, v41
	s_waitcnt vmcnt(4)
	v_dual_fmac_f32 v64, v44, v32 :: v_dual_fmac_f32 v67, 0, v42
	v_fmac_f32_e32 v66, 0x80000000, v43
	v_dual_fmac_f32 v69, v3, v43 :: v_dual_fmac_f32 v62, 0, v32
	s_delay_alu instid0(VALU_DEP_3) | instskip(SKIP_1) | instid1(VALU_DEP_4)
	v_dual_fmac_f32 v64, 0x80000000, v33 :: v_dual_fmac_f32 v65, 0, v32
	v_dual_fmac_f32 v63, 0x80000000, v41 :: v_dual_fmac_f32 v68, v2, v42
	;; [unrolled: 1-line block ×3, first 2 shown]
	s_delay_alu instid0(VALU_DEP_3)
	v_dual_fmac_f32 v69, 0, v32 :: v_dual_fmac_f32 v64, v36, v34
	v_fmac_f32_e32 v62, v44, v33
	v_fmac_f32_e32 v65, v45, v33
	v_dual_fmac_f32 v63, v3, v42 :: v_dual_fmac_f32 v68, 0x80000000, v43
	v_dual_fmac_f32 v67, 0, v32 :: v_dual_fmac_f32 v66, 0x80000000, v33
	;; [unrolled: 1-line block ×3, first 2 shown]
	v_fmac_f32_e32 v62, 0, v34
	v_fmac_f32_e32 v65, 0, v34
	v_dual_fmac_f32 v63, 0x80000000, v43 :: v_dual_fmac_f32 v68, v46, v32
	v_dual_fmac_f32 v67, v46, v33 :: v_dual_fmac_f32 v66, v37, v34
	s_waitcnt vmcnt(3)
	v_dual_fmac_f32 v69, 0, v34 :: v_dual_fmac_f32 v64, v28, v91
	v_fmac_f32_e32 v62, v36, v35
	v_fmac_f32_e32 v65, v37, v35
	v_dual_fmac_f32 v63, v47, v32 :: v_dual_fmac_f32 v68, 0x80000000, v33
	v_dual_fmac_f32 v67, 0, v34 :: v_dual_fmac_f32 v66, 0x80000000, v35
	s_delay_alu instid0(VALU_DEP_3) | instskip(NEXT) | instid1(VALU_DEP_3)
	v_dual_fmac_f32 v64, 0x80000000, v92 :: v_dual_fmac_f32 v65, 0, v91
	v_dual_fmac_f32 v63, 0x80000000, v33 :: v_dual_fmac_f32 v68, v38, v34
	s_delay_alu instid0(VALU_DEP_2) | instskip(NEXT) | instid1(VALU_DEP_3)
	v_fmac_f32_e32 v64, v20, v93
	v_dual_fmac_f32 v62, 0, v91 :: v_dual_fmac_f32 v65, v29, v92
	v_fmac_f32_e32 v67, v38, v35
	s_delay_alu instid0(VALU_DEP_4) | instskip(NEXT) | instid1(VALU_DEP_3)
	v_dual_fmac_f32 v63, v39, v34 :: v_dual_fmac_f32 v68, 0x80000000, v35
	v_fmac_f32_e32 v62, v28, v92
	s_delay_alu instid0(VALU_DEP_3) | instskip(NEXT) | instid1(VALU_DEP_2)
	v_dual_fmac_f32 v64, 0x80000000, v94 :: v_dual_fmac_f32 v67, 0, v91
	v_fmac_f32_e32 v62, 0, v93
	s_delay_alu instid0(VALU_DEP_2) | instskip(SKIP_1) | instid1(VALU_DEP_3)
	v_dual_fmac_f32 v66, v29, v91 :: v_dual_fmac_f32 v67, v30, v92
	v_fmac_f32_e32 v63, 0x80000000, v35
	v_dual_fmac_f32 v65, 0, v93 :: v_dual_fmac_f32 v62, v20, v94
	s_delay_alu instid0(VALU_DEP_3)
	v_fmac_f32_e32 v66, 0x80000000, v92
	s_waitcnt vmcnt(2)
	v_fmac_f32_e32 v64, v71, v79
	v_fmac_f32_e32 v63, v31, v91
	v_dual_fmac_f32 v65, v21, v94 :: v_dual_fmac_f32 v62, 0, v79
	v_fmac_f32_e32 v66, v21, v93
	s_delay_alu instid0(VALU_DEP_3) | instskip(SKIP_1) | instid1(VALU_DEP_3)
	v_dual_fmac_f32 v68, v30, v91 :: v_dual_fmac_f32 v63, 0x80000000, v92
	v_fmac_f32_e32 v69, v39, v35
	v_dual_fmac_f32 v67, 0, v93 :: v_dual_fmac_f32 v66, 0x80000000, v94
	s_delay_alu instid0(VALU_DEP_3) | instskip(NEXT) | instid1(VALU_DEP_3)
	v_dual_fmac_f32 v68, 0x80000000, v92 :: v_dual_fmac_f32 v65, 0, v79
	v_dual_fmac_f32 v62, v71, v80 :: v_dual_fmac_f32 v69, 0, v91
	s_delay_alu instid0(VALU_DEP_3) | instskip(NEXT) | instid1(VALU_DEP_3)
	v_dual_fmac_f32 v67, v22, v94 :: v_dual_fmac_f32 v66, v72, v79
	v_fmac_f32_e32 v68, v22, v93
	v_fmac_f32_e32 v63, v23, v93
	s_delay_alu instid0(VALU_DEP_4) | instskip(NEXT) | instid1(VALU_DEP_4)
	v_fmac_f32_e32 v69, v31, v92
	v_dual_fmac_f32 v67, 0, v79 :: v_dual_fmac_f32 v66, 0x80000000, v80
	s_delay_alu instid0(VALU_DEP_4) | instskip(NEXT) | instid1(VALU_DEP_4)
	v_fmac_f32_e32 v68, 0x80000000, v94
	v_fmac_f32_e32 v63, 0x80000000, v94
	s_delay_alu instid0(VALU_DEP_4) | instskip(SKIP_1) | instid1(VALU_DEP_2)
	v_dual_fmac_f32 v69, 0, v93 :: v_dual_fmac_f32 v64, 0x80000000, v80
	v_dual_fmac_f32 v65, v72, v80 :: v_dual_fmac_f32 v62, 0, v81
	;; [unrolled: 1-line block ×3, first 2 shown]
	s_delay_alu instid0(VALU_DEP_3) | instskip(SKIP_1) | instid1(VALU_DEP_3)
	v_dual_fmac_f32 v63, v74, v79 :: v_dual_fmac_f32 v64, v48, v81
	v_fmac_f32_e32 v66, v49, v81
	v_dual_fmac_f32 v68, 0x80000000, v80 :: v_dual_fmac_f32 v69, 0, v79
	v_fmac_f32_e32 v67, v73, v80
	s_delay_alu instid0(VALU_DEP_4) | instskip(SKIP_1) | instid1(VALU_DEP_4)
	v_fmac_f32_e32 v63, 0x80000000, v80
	v_dual_fmac_f32 v65, 0, v81 :: v_dual_fmac_f32 v62, v48, v82
	v_dual_fmac_f32 v69, v74, v80 :: v_dual_fmac_f32 v64, 0x80000000, v82
	v_fmac_f32_e32 v68, v50, v81
	v_dual_fmac_f32 v67, 0, v81 :: v_dual_fmac_f32 v66, 0x80000000, v82
	v_fmac_f32_e32 v63, v51, v81
	s_waitcnt vmcnt(1)
	v_dual_fmac_f32 v69, 0, v81 :: v_dual_fmac_f32 v64, v75, v24
	v_dual_fmac_f32 v65, v49, v82 :: v_dual_fmac_f32 v62, 0, v24
	v_fmac_f32_e32 v68, 0x80000000, v82
	v_dual_fmac_f32 v67, v50, v82 :: v_dual_fmac_f32 v66, v76, v24
	v_fmac_f32_e32 v63, 0x80000000, v82
	v_dual_fmac_f32 v69, v51, v82 :: v_dual_fmac_f32 v64, 0x80000000, v25
	v_dual_fmac_f32 v65, 0, v24 :: v_dual_fmac_f32 v62, v75, v25
	v_fmac_f32_e32 v68, v77, v24
	v_dual_fmac_f32 v67, 0, v24 :: v_dual_fmac_f32 v66, 0x80000000, v25
	v_fmac_f32_e32 v63, v78, v24
	s_waitcnt vmcnt(0)
	v_dual_fmac_f32 v69, 0, v24 :: v_dual_fmac_f32 v64, v16, v26
	v_dual_fmac_f32 v65, v76, v25 :: v_dual_fmac_f32 v62, 0, v26
	v_fmac_f32_e32 v68, 0x80000000, v25
	v_fmac_f32_e32 v67, v77, v25
	v_dual_fmac_f32 v63, 0x80000000, v25 :: v_dual_fmac_f32 v66, v17, v26
	v_dual_fmac_f32 v69, v78, v25 :: v_dual_fmac_f32 v64, 0x80000000, v27
	;; [unrolled: 1-line block ×3, first 2 shown]
	v_fmac_f32_e32 v68, v18, v26
	s_delay_alu instid0(VALU_DEP_4) | instskip(SKIP_1) | instid1(VALU_DEP_3)
	v_dual_fmac_f32 v67, 0, v26 :: v_dual_fmac_f32 v66, 0x80000000, v27
	v_fmac_f32_e32 v63, v19, v26
	v_dual_fmac_f32 v69, 0, v26 :: v_dual_fmac_f32 v68, 0x80000000, v27
	v_fmac_f32_e32 v65, v17, v27
	s_delay_alu instid0(VALU_DEP_4) | instskip(NEXT) | instid1(VALU_DEP_4)
	v_fmac_f32_e32 v67, v18, v27
	v_fmac_f32_e32 v63, 0x80000000, v27
	s_delay_alu instid0(VALU_DEP_4)
	v_fmac_f32_e32 v69, v19, v27
	s_and_not1_b32 exec_lo, exec_lo, s6
	s_cbranch_execnz .LBB122_39
; %bb.40:
	s_or_b32 exec_lo, exec_lo, s6
.LBB122_41:
	s_delay_alu instid0(SALU_CYCLE_1)
	s_or_b32 exec_lo, exec_lo, s2
.LBB122_42:
	s_delay_alu instid0(SALU_CYCLE_1)
	s_or_b32 exec_lo, exec_lo, s3
.LBB122_43:
	v_mbcnt_lo_u32_b32 v0, -1, 0
	s_delay_alu instid0(VALU_DEP_1) | instskip(SKIP_2) | instid1(VALU_DEP_3)
	v_xor_b32_e32 v1, 8, v0
	v_xor_b32_e32 v9, 4, v0
	;; [unrolled: 1-line block ×3, first 2 shown]
	v_cmp_gt_i32_e32 vcc_lo, 32, v1
	v_cndmask_b32_e32 v1, v0, v1, vcc_lo
	s_delay_alu instid0(VALU_DEP_4) | instskip(NEXT) | instid1(VALU_DEP_2)
	v_cmp_gt_i32_e32 vcc_lo, 32, v9
	v_lshlrev_b32_e32 v1, 2, v1
	ds_bpermute_b32 v2, v1, v64
	s_waitcnt lgkmcnt(0)
	v_add_f32_e32 v2, v64, v2
	ds_bpermute_b32 v4, v1, v66
	ds_bpermute_b32 v6, v1, v68
	;; [unrolled: 1-line block ×3, first 2 shown]
	v_cndmask_b32_e32 v9, v0, v9, vcc_lo
	ds_bpermute_b32 v3, v1, v62
	ds_bpermute_b32 v5, v1, v65
	;; [unrolled: 1-line block ×4, first 2 shown]
	v_cmp_gt_i32_e32 vcc_lo, 32, v17
	s_waitcnt lgkmcnt(6)
	v_dual_cndmask_b32 v17, v0, v17 :: v_dual_add_f32 v4, v66, v4
	s_waitcnt lgkmcnt(5)
	v_add_f32_e32 v6, v68, v6
	s_waitcnt lgkmcnt(4)
	v_dual_add_f32 v8, v63, v8 :: v_dual_lshlrev_b32 v9, 2, v9
	ds_bpermute_b32 v10, v9, v2
	ds_bpermute_b32 v12, v9, v4
	;; [unrolled: 1-line block ×4, first 2 shown]
	s_waitcnt lgkmcnt(7)
	v_add_f32_e32 v3, v62, v3
	s_waitcnt lgkmcnt(6)
	v_add_f32_e32 v5, v65, v5
	;; [unrolled: 2-line block ×3, first 2 shown]
	s_waitcnt lgkmcnt(3)
	v_dual_add_f32 v1, v69, v1 :: v_dual_add_f32 v2, v2, v10
	ds_bpermute_b32 v13, v9, v5
	s_waitcnt lgkmcnt(3)
	v_add_f32_e32 v4, v4, v12
	s_waitcnt lgkmcnt(1)
	v_add_f32_e32 v8, v8, v16
	ds_bpermute_b32 v11, v9, v3
	v_add_f32_e32 v6, v6, v14
	ds_bpermute_b32 v15, v9, v7
	ds_bpermute_b32 v9, v9, v1
	v_lshlrev_b32_e32 v17, 2, v17
	s_waitcnt lgkmcnt(2)
	v_add_f32_e32 v3, v3, v11
	ds_bpermute_b32 v11, v17, v4
	s_waitcnt lgkmcnt(1)
	v_add_f32_e32 v9, v1, v9
	ds_bpermute_b32 v1, v17, v2
	v_add_f32_e32 v7, v7, v15
	ds_bpermute_b32 v15, v17, v8
	;; [unrolled: 2-line block ×3, first 2 shown]
	ds_bpermute_b32 v13, v17, v6
	ds_bpermute_b32 v14, v17, v7
	;; [unrolled: 1-line block ×4, first 2 shown]
	v_xor_b32_e32 v17, 1, v0
	s_delay_alu instid0(VALU_DEP_1) | instskip(SKIP_3) | instid1(VALU_DEP_2)
	v_cmp_gt_i32_e32 vcc_lo, 32, v17
	v_cndmask_b32_e32 v0, v0, v17, vcc_lo
	v_cmp_eq_u32_e32 vcc_lo, 15, v61
	s_waitcnt lgkmcnt(6)
	v_dual_add_f32 v0, v2, v1 :: v_dual_lshlrev_b32 v17, 2, v0
	s_waitcnt lgkmcnt(4)
	v_dual_add_f32 v1, v3, v10 :: v_dual_add_f32 v2, v4, v11
	s_waitcnt lgkmcnt(3)
	v_add_f32_e32 v4, v6, v13
	s_waitcnt lgkmcnt(0)
	v_dual_add_f32 v6, v8, v15 :: v_dual_add_f32 v3, v5, v12
	v_add_f32_e32 v5, v7, v14
	v_add_f32_e32 v7, v9, v16
	ds_bpermute_b32 v8, v17, v0
	ds_bpermute_b32 v9, v17, v1
	;; [unrolled: 1-line block ×8, first 2 shown]
	s_and_b32 exec_lo, exec_lo, vcc_lo
	s_cbranch_execz .LBB122_13
; %bb.44:
	s_load_b64 s[2:3], s[0:1], 0x50
	s_waitcnt lgkmcnt(0)
	v_add_f32_e32 v8, v0, v8
	v_dual_add_f32 v0, v1, v9 :: v_dual_add_f32 v1, v3, v11
	v_dual_add_f32 v9, v2, v10 :: v_dual_add_f32 v2, v5, v13
	;; [unrolled: 1-line block ×3, first 2 shown]
	v_add_f32_e32 v11, v6, v14
	s_delay_alu instid0(VALU_DEP_4)
	v_mul_f32_e64 v4, v0, -v60
	v_mul_f32_e32 v5, v0, v59
	v_mul_f32_e64 v6, v1, -v60
	v_mul_f32_e32 v7, v1, v59
	;; [unrolled: 2-line block ×3, first 2 shown]
	v_mul_f32_e64 v2, v3, -v60
	v_fmac_f32_e32 v6, v59, v9
	v_mul_f32_e32 v3, v3, v59
	v_cmp_eq_f32_e32 vcc_lo, 0, v57
	v_cmp_eq_f32_e64 s0, 0, v58
	v_fmac_f32_e32 v4, v59, v8
	v_dual_fmac_f32 v5, v60, v8 :: v_dual_fmac_f32 v0, v59, v10
	v_dual_fmac_f32 v7, v60, v9 :: v_dual_lshlrev_b32 v8, 2, v52
	v_dual_fmac_f32 v2, v59, v11 :: v_dual_fmac_f32 v1, v60, v10
	v_fmac_f32_e32 v3, v60, v11
	s_and_b32 s0, vcc_lo, s0
	s_delay_alu instid0(SALU_CYCLE_1) | instskip(NEXT) | instid1(SALU_CYCLE_1)
	s_and_saveexec_b32 s1, s0
	s_xor_b32 s0, exec_lo, s1
; %bb.45:
	v_ashrrev_i32_e32 v9, 31, v8
                                        ; implicit-def: $vgpr57
                                        ; implicit-def: $vgpr58
	s_delay_alu instid0(VALU_DEP_1) | instskip(NEXT) | instid1(VALU_DEP_1)
	v_lshlrev_b64 v[8:9], 3, v[8:9]
	v_add_co_u32 v8, vcc_lo, s2, v8
	s_delay_alu instid0(VALU_DEP_2)
	v_add_co_ci_u32_e32 v9, vcc_lo, s3, v9, vcc_lo
	s_clause 0x1
	global_store_b128 v[8:9], v[4:7], off
	global_store_b128 v[8:9], v[0:3], off offset:16
                                        ; implicit-def: $vgpr4
                                        ; implicit-def: $vgpr8
                                        ; implicit-def: $vgpr0
; %bb.46:
	s_and_not1_saveexec_b32 s0, s0
	s_cbranch_execz .LBB122_13
; %bb.47:
	v_ashrrev_i32_e32 v9, 31, v8
	s_delay_alu instid0(VALU_DEP_1) | instskip(NEXT) | instid1(VALU_DEP_1)
	v_lshlrev_b64 v[8:9], 3, v[8:9]
	v_add_co_u32 v16, vcc_lo, s2, v8
	s_delay_alu instid0(VALU_DEP_2)
	v_add_co_ci_u32_e32 v17, vcc_lo, s3, v9, vcc_lo
	s_clause 0x1
	global_load_b128 v[8:11], v[16:17], off
	global_load_b128 v[12:15], v[16:17], off offset:16
	s_waitcnt vmcnt(1)
	v_dual_fmac_f32 v4, v57, v8 :: v_dual_fmac_f32 v7, v58, v10
	v_dual_fmac_f32 v5, v58, v8 :: v_dual_fmac_f32 v6, v57, v10
	s_waitcnt vmcnt(0)
	v_dual_fmac_f32 v0, v57, v12 :: v_dual_fmac_f32 v3, v58, v14
	v_dual_fmac_f32 v1, v58, v12 :: v_dual_fmac_f32 v2, v57, v14
	v_fma_f32 v4, -v58, v9, v4
	v_fmac_f32_e32 v5, v57, v9
	v_fma_f32 v6, -v58, v11, v6
	v_fmac_f32_e32 v7, v57, v11
	;; [unrolled: 2-line block ×4, first 2 shown]
	s_clause 0x1
	global_store_b128 v[16:17], v[4:7], off
	global_store_b128 v[16:17], v[0:3], off offset:16
	s_nop 0
	s_sendmsg sendmsg(MSG_DEALLOC_VGPRS)
	s_endpgm
	.section	.rodata,"a",@progbits
	.p2align	6, 0x0
	.amdhsa_kernel _ZN9rocsparseL18bsrxmvn_4x4_kernelILj128ELj16E21rocsparse_complex_numIfEiifS2_S2_EEvT3_20rocsparse_direction_NS_24const_host_device_scalarIT1_EES3_PKS3_PKT2_SC_S9_PKT4_PKT5_S7_PT6_21rocsparse_index_base_b
		.amdhsa_group_segment_fixed_size 0
		.amdhsa_private_segment_fixed_size 0
		.amdhsa_kernarg_size 96
		.amdhsa_user_sgpr_count 15
		.amdhsa_user_sgpr_dispatch_ptr 0
		.amdhsa_user_sgpr_queue_ptr 0
		.amdhsa_user_sgpr_kernarg_segment_ptr 1
		.amdhsa_user_sgpr_dispatch_id 0
		.amdhsa_user_sgpr_private_segment_size 0
		.amdhsa_wavefront_size32 1
		.amdhsa_uses_dynamic_stack 0
		.amdhsa_enable_private_segment 0
		.amdhsa_system_sgpr_workgroup_id_x 1
		.amdhsa_system_sgpr_workgroup_id_y 0
		.amdhsa_system_sgpr_workgroup_id_z 0
		.amdhsa_system_sgpr_workgroup_info 0
		.amdhsa_system_vgpr_workitem_id 0
		.amdhsa_next_free_vgpr 105
		.amdhsa_next_free_sgpr 16
		.amdhsa_reserve_vcc 1
		.amdhsa_float_round_mode_32 0
		.amdhsa_float_round_mode_16_64 0
		.amdhsa_float_denorm_mode_32 3
		.amdhsa_float_denorm_mode_16_64 3
		.amdhsa_dx10_clamp 1
		.amdhsa_ieee_mode 1
		.amdhsa_fp16_overflow 0
		.amdhsa_workgroup_processor_mode 1
		.amdhsa_memory_ordered 1
		.amdhsa_forward_progress 0
		.amdhsa_shared_vgpr_count 0
		.amdhsa_exception_fp_ieee_invalid_op 0
		.amdhsa_exception_fp_denorm_src 0
		.amdhsa_exception_fp_ieee_div_zero 0
		.amdhsa_exception_fp_ieee_overflow 0
		.amdhsa_exception_fp_ieee_underflow 0
		.amdhsa_exception_fp_ieee_inexact 0
		.amdhsa_exception_int_div_zero 0
	.end_amdhsa_kernel
	.section	.text._ZN9rocsparseL18bsrxmvn_4x4_kernelILj128ELj16E21rocsparse_complex_numIfEiifS2_S2_EEvT3_20rocsparse_direction_NS_24const_host_device_scalarIT1_EES3_PKS3_PKT2_SC_S9_PKT4_PKT5_S7_PT6_21rocsparse_index_base_b,"axG",@progbits,_ZN9rocsparseL18bsrxmvn_4x4_kernelILj128ELj16E21rocsparse_complex_numIfEiifS2_S2_EEvT3_20rocsparse_direction_NS_24const_host_device_scalarIT1_EES3_PKS3_PKT2_SC_S9_PKT4_PKT5_S7_PT6_21rocsparse_index_base_b,comdat
.Lfunc_end122:
	.size	_ZN9rocsparseL18bsrxmvn_4x4_kernelILj128ELj16E21rocsparse_complex_numIfEiifS2_S2_EEvT3_20rocsparse_direction_NS_24const_host_device_scalarIT1_EES3_PKS3_PKT2_SC_S9_PKT4_PKT5_S7_PT6_21rocsparse_index_base_b, .Lfunc_end122-_ZN9rocsparseL18bsrxmvn_4x4_kernelILj128ELj16E21rocsparse_complex_numIfEiifS2_S2_EEvT3_20rocsparse_direction_NS_24const_host_device_scalarIT1_EES3_PKS3_PKT2_SC_S9_PKT4_PKT5_S7_PT6_21rocsparse_index_base_b
                                        ; -- End function
	.section	.AMDGPU.csdata,"",@progbits
; Kernel info:
; codeLenInByte = 7032
; NumSgprs: 18
; NumVgprs: 105
; ScratchSize: 0
; MemoryBound: 0
; FloatMode: 240
; IeeeMode: 1
; LDSByteSize: 0 bytes/workgroup (compile time only)
; SGPRBlocks: 2
; VGPRBlocks: 13
; NumSGPRsForWavesPerEU: 18
; NumVGPRsForWavesPerEU: 105
; Occupancy: 12
; WaveLimiterHint : 1
; COMPUTE_PGM_RSRC2:SCRATCH_EN: 0
; COMPUTE_PGM_RSRC2:USER_SGPR: 15
; COMPUTE_PGM_RSRC2:TRAP_HANDLER: 0
; COMPUTE_PGM_RSRC2:TGID_X_EN: 1
; COMPUTE_PGM_RSRC2:TGID_Y_EN: 0
; COMPUTE_PGM_RSRC2:TGID_Z_EN: 0
; COMPUTE_PGM_RSRC2:TIDIG_COMP_CNT: 0
	.section	.text._ZN9rocsparseL18bsrxmvn_4x4_kernelILj128ELj32E21rocsparse_complex_numIfEiifS2_S2_EEvT3_20rocsparse_direction_NS_24const_host_device_scalarIT1_EES3_PKS3_PKT2_SC_S9_PKT4_PKT5_S7_PT6_21rocsparse_index_base_b,"axG",@progbits,_ZN9rocsparseL18bsrxmvn_4x4_kernelILj128ELj32E21rocsparse_complex_numIfEiifS2_S2_EEvT3_20rocsparse_direction_NS_24const_host_device_scalarIT1_EES3_PKS3_PKT2_SC_S9_PKT4_PKT5_S7_PT6_21rocsparse_index_base_b,comdat
	.globl	_ZN9rocsparseL18bsrxmvn_4x4_kernelILj128ELj32E21rocsparse_complex_numIfEiifS2_S2_EEvT3_20rocsparse_direction_NS_24const_host_device_scalarIT1_EES3_PKS3_PKT2_SC_S9_PKT4_PKT5_S7_PT6_21rocsparse_index_base_b ; -- Begin function _ZN9rocsparseL18bsrxmvn_4x4_kernelILj128ELj32E21rocsparse_complex_numIfEiifS2_S2_EEvT3_20rocsparse_direction_NS_24const_host_device_scalarIT1_EES3_PKS3_PKT2_SC_S9_PKT4_PKT5_S7_PT6_21rocsparse_index_base_b
	.p2align	8
	.type	_ZN9rocsparseL18bsrxmvn_4x4_kernelILj128ELj32E21rocsparse_complex_numIfEiifS2_S2_EEvT3_20rocsparse_direction_NS_24const_host_device_scalarIT1_EES3_PKS3_PKT2_SC_S9_PKT4_PKT5_S7_PT6_21rocsparse_index_base_b,@function
_ZN9rocsparseL18bsrxmvn_4x4_kernelILj128ELj32E21rocsparse_complex_numIfEiifS2_S2_EEvT3_20rocsparse_direction_NS_24const_host_device_scalarIT1_EES3_PKS3_PKT2_SC_S9_PKT4_PKT5_S7_PT6_21rocsparse_index_base_b: ; @_ZN9rocsparseL18bsrxmvn_4x4_kernelILj128ELj32E21rocsparse_complex_numIfEiifS2_S2_EEvT3_20rocsparse_direction_NS_24const_host_device_scalarIT1_EES3_PKS3_PKT2_SC_S9_PKT4_PKT5_S7_PT6_21rocsparse_index_base_b
; %bb.0:
	s_clause 0x2
	s_load_b64 s[12:13], s[0:1], 0x58
	s_load_b64 s[4:5], s[0:1], 0x8
	;; [unrolled: 1-line block ×3, first 2 shown]
	s_waitcnt lgkmcnt(0)
	s_bitcmp1_b32 s13, 0
	v_mov_b32_e32 v65, s4
	s_cselect_b32 s6, -1, 0
	s_delay_alu instid0(SALU_CYCLE_1)
	s_and_b32 vcc_lo, exec_lo, s6
	s_xor_b32 s6, s6, -1
	s_cbranch_vccz .LBB123_14
; %bb.1:
	v_cndmask_b32_e64 v1, 0, 1, s6
	v_mov_b32_e32 v66, s5
	s_and_not1_b32 vcc_lo, exec_lo, s6
	s_cbranch_vccz .LBB123_15
.LBB123_2:
	s_delay_alu instid0(VALU_DEP_2)
	v_cmp_ne_u32_e32 vcc_lo, 1, v1
	v_mov_b32_e32 v63, s2
	s_cbranch_vccz .LBB123_16
.LBB123_3:
	v_cmp_ne_u32_e32 vcc_lo, 1, v1
	v_mov_b32_e32 v64, s3
	s_cbranch_vccnz .LBB123_5
.LBB123_4:
	v_dual_mov_b32 v1, s2 :: v_dual_mov_b32 v2, s3
	flat_load_b32 v64, v[1:2] offset:4
.LBB123_5:
	s_waitcnt vmcnt(0) lgkmcnt(0)
	v_cmp_eq_f32_e32 vcc_lo, 0, v65
	v_cmp_eq_f32_e64 s2, 0, v66
	s_delay_alu instid0(VALU_DEP_1)
	s_and_b32 s4, vcc_lo, s2
	s_mov_b32 s2, -1
	s_and_saveexec_b32 s3, s4
; %bb.6:
	v_cmp_neq_f32_e32 vcc_lo, 1.0, v63
	v_cmp_neq_f32_e64 s2, 0, v64
	s_delay_alu instid0(VALU_DEP_1) | instskip(NEXT) | instid1(SALU_CYCLE_1)
	s_or_b32 s2, vcc_lo, s2
	s_or_not1_b32 s2, s2, exec_lo
; %bb.7:
	s_or_b32 exec_lo, exec_lo, s3
	s_and_saveexec_b32 s3, s2
	s_cbranch_execz .LBB123_13
; %bb.8:
	s_clause 0x1
	s_load_b64 s[4:5], s[0:1], 0x18
	s_load_b64 s[2:3], s[0:1], 0x0
	v_lshrrev_b32_e32 v1, 5, v0
	s_delay_alu instid0(VALU_DEP_1)
	v_lshl_or_b32 v56, s15, 2, v1
	s_waitcnt lgkmcnt(0)
	s_cmp_lg_u64 s[4:5], 0
	s_cbranch_scc0 .LBB123_17
; %bb.9:
	s_load_b32 s6, s[0:1], 0x10
	s_mov_b32 s7, 0
                                        ; implicit-def: $vgpr1
	s_waitcnt lgkmcnt(0)
	v_cmp_gt_i32_e32 vcc_lo, s6, v56
	s_mov_b32 s6, 0
	s_and_saveexec_b32 s8, vcc_lo
	s_delay_alu instid0(SALU_CYCLE_1)
	s_xor_b32 s8, exec_lo, s8
	s_cbranch_execz .LBB123_11
; %bb.10:
	v_ashrrev_i32_e32 v57, 31, v56
	s_mov_b32 s6, exec_lo
	s_delay_alu instid0(VALU_DEP_1) | instskip(NEXT) | instid1(VALU_DEP_1)
	v_lshlrev_b64 v[1:2], 2, v[56:57]
	v_add_co_u32 v1, vcc_lo, s4, v1
	s_delay_alu instid0(VALU_DEP_2)
	v_add_co_ci_u32_e32 v2, vcc_lo, s5, v2, vcc_lo
	global_load_b32 v1, v[1:2], off
	s_waitcnt vmcnt(0)
	v_subrev_nc_u32_e32 v1, s12, v1
.LBB123_11:
	s_or_b32 exec_lo, exec_lo, s8
	s_delay_alu instid0(SALU_CYCLE_1)
	s_and_b32 vcc_lo, exec_lo, s7
	s_cbranch_vccz .LBB123_18
.LBB123_12:
	v_cmp_gt_i32_e32 vcc_lo, s2, v56
	s_and_not1_b32 s2, s6, exec_lo
	s_and_b32 s4, vcc_lo, exec_lo
	s_delay_alu instid0(SALU_CYCLE_1) | instskip(NEXT) | instid1(SALU_CYCLE_1)
	s_or_b32 s6, s2, s4
	s_and_b32 exec_lo, exec_lo, s6
	s_cbranch_execnz .LBB123_19
.LBB123_13:
	s_nop 0
	s_sendmsg sendmsg(MSG_DEALLOC_VGPRS)
	s_endpgm
.LBB123_14:
	v_dual_mov_b32 v1, s4 :: v_dual_mov_b32 v2, s5
	flat_load_b32 v65, v[1:2]
	v_cndmask_b32_e64 v1, 0, 1, s6
	v_mov_b32_e32 v66, s5
	s_and_not1_b32 vcc_lo, exec_lo, s6
	s_cbranch_vccnz .LBB123_2
.LBB123_15:
	v_dual_mov_b32 v2, s4 :: v_dual_mov_b32 v3, s5
	flat_load_b32 v66, v[2:3] offset:4
	v_cmp_ne_u32_e32 vcc_lo, 1, v1
	v_mov_b32_e32 v63, s2
	s_cbranch_vccnz .LBB123_3
.LBB123_16:
	v_dual_mov_b32 v2, s2 :: v_dual_mov_b32 v3, s3
	flat_load_b32 v63, v[2:3]
	v_cmp_ne_u32_e32 vcc_lo, 1, v1
	v_mov_b32_e32 v64, s3
	s_cbranch_vccz .LBB123_4
	s_branch .LBB123_5
.LBB123_17:
	s_mov_b32 s6, 0
                                        ; implicit-def: $vgpr1
	s_cbranch_execnz .LBB123_12
.LBB123_18:
	s_delay_alu instid0(VALU_DEP_1)
	v_mov_b32_e32 v56, v1
	s_and_b32 exec_lo, exec_lo, s6
	s_cbranch_execz .LBB123_13
.LBB123_19:
	s_load_b256 s[4:11], s[0:1], 0x20
	s_delay_alu instid0(VALU_DEP_1) | instskip(SKIP_1) | instid1(VALU_DEP_2)
	v_ashrrev_i32_e32 v57, 31, v56
	v_and_b32_e32 v67, 31, v0
	v_lshlrev_b64 v[1:2], 2, v[56:57]
	s_waitcnt lgkmcnt(0)
	s_delay_alu instid0(VALU_DEP_1) | instskip(NEXT) | instid1(VALU_DEP_2)
	v_add_co_u32 v3, vcc_lo, s4, v1
	v_add_co_ci_u32_e32 v4, vcc_lo, s5, v2, vcc_lo
	v_add_co_u32 v1, vcc_lo, s6, v1
	v_add_co_ci_u32_e32 v2, vcc_lo, s7, v2, vcc_lo
	global_load_b32 v20, v[3:4], off
	v_add_co_u32 v3, vcc_lo, v3, 4
	v_add_co_ci_u32_e32 v4, vcc_lo, 0, v4, vcc_lo
	s_cmp_eq_u64 s[6:7], 0
	s_load_b64 s[4:5], s[0:1], 0x40
	s_cselect_b32 vcc_lo, -1, 0
	s_cmp_eq_u32 s3, 1
	v_dual_cndmask_b32 v2, v2, v4 :: v_dual_cndmask_b32 v1, v1, v3
	global_load_b32 v2, v[1:2], off
	s_waitcnt vmcnt(1)
	v_subrev_nc_u32_e32 v0, s12, v20
	s_delay_alu instid0(VALU_DEP_1) | instskip(NEXT) | instid1(VALU_DEP_1)
	v_add_nc_u32_e32 v57, v0, v67
	v_ashrrev_i32_e32 v58, 31, v57
	s_waitcnt vmcnt(0)
	v_subrev_nc_u32_e32 v76, s12, v2
	s_delay_alu instid0(VALU_DEP_2) | instskip(NEXT) | instid1(VALU_DEP_2)
	v_lshlrev_b64 v[0:1], 6, v[57:58]
	v_cmp_lt_i32_e64 s2, v57, v76
	s_delay_alu instid0(VALU_DEP_2) | instskip(NEXT) | instid1(VALU_DEP_3)
	v_add_co_u32 v59, vcc_lo, s10, v0
	v_add_co_ci_u32_e32 v60, vcc_lo, s11, v1, vcc_lo
	s_cbranch_scc1 .LBB123_31
; %bb.20:
	v_dual_mov_b32 v68, 0 :: v_dual_mov_b32 v71, 0
	v_dual_mov_b32 v70, 0 :: v_dual_mov_b32 v73, 0
	;; [unrolled: 1-line block ×4, first 2 shown]
	s_mov_b32 s3, 0
	s_and_saveexec_b32 s6, s2
	s_cbranch_execz .LBB123_30
; %bb.21:
	v_dual_mov_b32 v69, 0 :: v_dual_add_nc_u32 v0, v20, v67
	v_not_b32_e32 v1, v20
	v_dual_mov_b32 v73, 0 :: v_dual_mov_b32 v72, 0
	s_delay_alu instid0(VALU_DEP_3) | instskip(SKIP_2) | instid1(VALU_DEP_3)
	v_subrev_nc_u32_e32 v0, s12, v0
	v_dual_mov_b32 v71, 0 :: v_dual_mov_b32 v68, 0
	v_dual_mov_b32 v16, v59 :: v_dual_mov_b32 v17, v60
	v_dual_mov_b32 v75, 0 :: v_dual_add_nc_u32 v0, 32, v0
	v_mov_b32_e32 v18, v57
	s_mov_b32 s10, 0
	s_mov_b32 s7, exec_lo
	s_delay_alu instid0(VALU_DEP_2) | instskip(SKIP_2) | instid1(VALU_DEP_3)
	v_max_i32_e32 v0, v0, v76
	v_mov_b32_e32 v74, 0
	v_mov_b32_e32 v70, 0
	v_add3_u32 v0, v0, s12, v1
	s_delay_alu instid0(VALU_DEP_1) | instskip(NEXT) | instid1(VALU_DEP_1)
	v_sub_nc_u32_e32 v0, v0, v67
	v_lshrrev_b32_e32 v1, 5, v0
	s_delay_alu instid0(VALU_DEP_1) | instskip(NEXT) | instid1(VALU_DEP_1)
	v_add_nc_u32_e32 v1, 1, v1
	v_and_b32_e32 v1, 3, v1
	s_delay_alu instid0(VALU_DEP_1)
	v_cmpx_ne_u32_e32 0, v1
	s_cbranch_execz .LBB123_25
; %bb.22:
	v_dual_mov_b32 v16, v59 :: v_dual_mov_b32 v71, 0
	v_dual_mov_b32 v68, 0 :: v_dual_lshlrev_b32 v1, 6, v1
	v_dual_mov_b32 v18, v57 :: v_dual_mov_b32 v17, v60
	v_dual_mov_b32 v70, 0 :: v_dual_mov_b32 v73, 0
	;; [unrolled: 1-line block ×4, first 2 shown]
.LBB123_23:                             ; =>This Inner Loop Header: Depth=1
	s_delay_alu instid0(VALU_DEP_4) | instskip(SKIP_1) | instid1(VALU_DEP_2)
	v_ashrrev_i32_e32 v19, 31, v18
	v_subrev_nc_u32_e32 v1, 64, v1
	v_lshlrev_b64 v[2:3], 2, v[18:19]
	s_delay_alu instid0(VALU_DEP_1) | instskip(NEXT) | instid1(VALU_DEP_2)
	v_add_co_u32 v2, vcc_lo, s8, v2
	v_add_co_ci_u32_e32 v3, vcc_lo, s9, v3, vcc_lo
	global_load_b32 v14, v[2:3], off
	s_clause 0x3
	global_load_b128 v[2:5], v[16:17], off offset:48
	global_load_b128 v[6:9], v[16:17], off offset:32
	;; [unrolled: 1-line block ×3, first 2 shown]
	global_load_b128 v[21:24], v[16:17], off
	s_waitcnt vmcnt(4)
	v_subrev_nc_u32_e32 v14, s12, v14
	s_delay_alu instid0(VALU_DEP_1) | instskip(NEXT) | instid1(VALU_DEP_1)
	v_lshlrev_b32_e32 v14, 2, v14
	v_ashrrev_i32_e32 v15, 31, v14
	s_delay_alu instid0(VALU_DEP_1) | instskip(SKIP_1) | instid1(VALU_DEP_1)
	v_lshlrev_b64 v[14:15], 3, v[14:15]
	s_waitcnt lgkmcnt(0)
	v_add_co_u32 v14, vcc_lo, s4, v14
	s_delay_alu instid0(VALU_DEP_2)
	v_add_co_ci_u32_e32 v15, vcc_lo, s5, v15, vcc_lo
	v_add_co_u32 v16, vcc_lo, 0x800, v16
	v_add_co_ci_u32_e32 v17, vcc_lo, 0, v17, vcc_lo
	s_clause 0x1
	global_load_b128 v[25:28], v[14:15], off
	global_load_b128 v[29:32], v[14:15], off offset:16
	v_add_nc_u32_e32 v18, 32, v18
	v_cmp_eq_u32_e32 vcc_lo, 0, v1
	s_or_b32 s10, vcc_lo, s10
	s_waitcnt vmcnt(1)
	v_fmac_f32_e32 v73, 0, v25
	v_fmac_f32_e32 v71, 0, v25
	;; [unrolled: 1-line block ×3, first 2 shown]
	s_delay_alu instid0(VALU_DEP_3) | instskip(NEXT) | instid1(VALU_DEP_3)
	v_dual_fmac_f32 v68, 0, v25 :: v_dual_fmac_f32 v73, v6, v26
	v_fmac_f32_e32 v71, v10, v26
	s_delay_alu instid0(VALU_DEP_3) | instskip(SKIP_1) | instid1(VALU_DEP_3)
	v_dual_fmac_f32 v69, v2, v25 :: v_dual_fmac_f32 v70, 0x80000000, v26
	v_fmac_f32_e32 v72, v10, v25
	v_dual_fmac_f32 v74, v6, v25 :: v_dual_fmac_f32 v71, 0, v27
	v_dual_fmac_f32 v75, 0, v25 :: v_dual_fmac_f32 v68, v21, v26
	s_delay_alu instid0(VALU_DEP_4) | instskip(NEXT) | instid1(VALU_DEP_4)
	v_fmac_f32_e32 v69, 0x80000000, v26
	v_dual_fmac_f32 v72, 0x80000000, v26 :: v_dual_fmac_f32 v73, 0, v27
	s_delay_alu instid0(VALU_DEP_4) | instskip(NEXT) | instid1(VALU_DEP_4)
	v_fmac_f32_e32 v74, 0x80000000, v26
	;; [unrolled: 3-line block ×3, first 2 shown]
	v_fmac_f32_e32 v72, v11, v27
	v_dual_fmac_f32 v70, v22, v27 :: v_dual_fmac_f32 v71, v11, v28
	v_fmac_f32_e32 v74, v7, v27
	v_fmac_f32_e32 v75, 0, v27
	;; [unrolled: 1-line block ×3, first 2 shown]
	s_delay_alu instid0(VALU_DEP_4)
	v_fmac_f32_e32 v70, 0x80000000, v28
	v_fmac_f32_e32 v72, 0x80000000, v28
	;; [unrolled: 1-line block ×3, first 2 shown]
	s_waitcnt vmcnt(0)
	v_dual_fmac_f32 v68, v22, v28 :: v_dual_fmac_f32 v71, 0, v29
	v_fmac_f32_e32 v69, v4, v29
	v_dual_fmac_f32 v75, v3, v28 :: v_dual_fmac_f32 v72, v12, v29
	v_fmac_f32_e32 v74, 0x80000000, v28
	s_delay_alu instid0(VALU_DEP_4)
	v_dual_fmac_f32 v70, v23, v29 :: v_dual_fmac_f32 v71, v12, v30
	v_fmac_f32_e32 v73, 0, v29
	v_fmac_f32_e32 v68, 0, v29
	;; [unrolled: 1-line block ×3, first 2 shown]
	v_dual_fmac_f32 v74, v8, v29 :: v_dual_fmac_f32 v69, 0x80000000, v30
	v_fmac_f32_e32 v72, 0x80000000, v30
	v_dual_fmac_f32 v70, 0x80000000, v30 :: v_dual_fmac_f32 v71, 0, v31
	v_fmac_f32_e32 v73, v8, v30
	s_delay_alu instid0(VALU_DEP_4) | instskip(NEXT) | instid1(VALU_DEP_4)
	v_dual_fmac_f32 v68, v23, v30 :: v_dual_fmac_f32 v69, v5, v31
	v_dual_fmac_f32 v75, v4, v30 :: v_dual_fmac_f32 v72, v13, v31
	v_fmac_f32_e32 v74, 0x80000000, v30
	v_dual_fmac_f32 v70, v24, v31 :: v_dual_fmac_f32 v71, v13, v32
	v_fmac_f32_e32 v73, 0, v31
	v_fmac_f32_e32 v68, 0, v31
	;; [unrolled: 1-line block ×3, first 2 shown]
	v_dual_fmac_f32 v74, v9, v31 :: v_dual_fmac_f32 v69, 0x80000000, v32
	v_fmac_f32_e32 v70, 0x80000000, v32
	s_delay_alu instid0(VALU_DEP_4) | instskip(SKIP_1) | instid1(VALU_DEP_4)
	v_fmac_f32_e32 v68, v24, v32
	v_fmac_f32_e32 v72, 0x80000000, v32
	;; [unrolled: 1-line block ×5, first 2 shown]
	s_and_not1_b32 exec_lo, exec_lo, s10
	s_cbranch_execnz .LBB123_23
; %bb.24:
	s_or_b32 exec_lo, exec_lo, s10
.LBB123_25:
	s_delay_alu instid0(SALU_CYCLE_1) | instskip(NEXT) | instid1(SALU_CYCLE_1)
	s_or_b32 exec_lo, exec_lo, s7
	s_mov_b32 s7, exec_lo
	v_cmpx_lt_u32_e32 0x5f, v0
	s_cbranch_execz .LBB123_29
; %bb.26:
	s_mov_b32 s10, 0
.LBB123_27:                             ; =>This Inner Loop Header: Depth=1
	v_ashrrev_i32_e32 v19, 31, v18
	s_delay_alu instid0(VALU_DEP_1) | instskip(NEXT) | instid1(VALU_DEP_1)
	v_lshlrev_b64 v[0:1], 2, v[18:19]
	v_add_co_u32 v0, vcc_lo, s8, v0
	s_delay_alu instid0(VALU_DEP_2)
	v_add_co_ci_u32_e32 v1, vcc_lo, s9, v1, vcc_lo
	v_add_co_u32 v12, vcc_lo, 0x1000, v16
	v_add_co_ci_u32_e32 v13, vcc_lo, 0, v17, vcc_lo
	s_clause 0x3
	global_load_b32 v19, v[0:1], off
	global_load_b32 v53, v[0:1], off offset:128
	global_load_b32 v54, v[0:1], off offset:256
	;; [unrolled: 1-line block ×3, first 2 shown]
	s_clause 0xf
	global_load_b128 v[21:24], v[16:17], off offset:48
	global_load_b128 v[25:28], v[16:17], off offset:32
	;; [unrolled: 1-line block ×3, first 2 shown]
	global_load_b128 v[33:36], v[16:17], off
	global_load_b128 v[37:40], v[16:17], off offset:2096
	global_load_b128 v[41:44], v[16:17], off offset:2080
	;; [unrolled: 1-line block ×6, first 2 shown]
	global_load_b128 v[85:88], v[12:13], off
	global_load_b128 v[89:92], v[12:13], off offset:16
	global_load_b128 v[0:3], v[12:13], off offset:2096
	;; [unrolled: 1-line block ×5, first 2 shown]
	s_waitcnt vmcnt(19)
	v_subrev_nc_u32_e32 v19, s12, v19
	s_waitcnt vmcnt(18)
	v_subrev_nc_u32_e32 v58, s12, v53
	;; [unrolled: 2-line block ×4, first 2 shown]
	v_lshlrev_b32_e32 v53, 2, v19
	v_lshlrev_b32_e32 v61, 2, v58
	;; [unrolled: 1-line block ×3, first 2 shown]
	s_delay_alu instid0(VALU_DEP_4) | instskip(NEXT) | instid1(VALU_DEP_4)
	v_lshlrev_b32_e32 v95, 2, v55
	v_ashrrev_i32_e32 v54, 31, v53
	s_delay_alu instid0(VALU_DEP_4) | instskip(NEXT) | instid1(VALU_DEP_4)
	v_ashrrev_i32_e32 v62, 31, v61
	v_ashrrev_i32_e32 v94, 31, v93
	s_delay_alu instid0(VALU_DEP_4) | instskip(NEXT) | instid1(VALU_DEP_4)
	v_ashrrev_i32_e32 v96, 31, v95
	v_lshlrev_b64 v[53:54], 3, v[53:54]
	s_delay_alu instid0(VALU_DEP_4) | instskip(NEXT) | instid1(VALU_DEP_4)
	v_lshlrev_b64 v[61:62], 3, v[61:62]
	v_lshlrev_b64 v[93:94], 3, v[93:94]
	s_delay_alu instid0(VALU_DEP_4) | instskip(SKIP_1) | instid1(VALU_DEP_4)
	v_lshlrev_b64 v[95:96], 3, v[95:96]
	s_waitcnt lgkmcnt(0)
	v_add_co_u32 v53, vcc_lo, s4, v53
	v_add_co_ci_u32_e32 v54, vcc_lo, s5, v54, vcc_lo
	v_add_co_u32 v61, vcc_lo, s4, v61
	v_add_co_ci_u32_e32 v62, vcc_lo, s5, v62, vcc_lo
	;; [unrolled: 2-line block ×4, first 2 shown]
	s_clause 0x7
	global_load_b128 v[93:96], v[53:54], off
	global_load_b128 v[97:100], v[53:54], off offset:16
	global_load_b128 v[101:104], v[61:62], off
	global_load_b128 v[105:108], v[61:62], off offset:16
	;; [unrolled: 2-line block ×4, first 2 shown]
	v_add_nc_u32_e32 v18, 0x80, v18
	v_add_co_u32 v16, vcc_lo, 0x2000, v16
	v_add_co_ci_u32_e32 v17, vcc_lo, 0, v17, vcc_lo
	s_waitcnt vmcnt(7)
	v_fmac_f32_e32 v71, 0, v93
	v_fmac_f32_e32 v70, v33, v93
	;; [unrolled: 1-line block ×6, first 2 shown]
	s_delay_alu instid0(VALU_DEP_4) | instskip(SKIP_2) | instid1(VALU_DEP_4)
	v_dual_fmac_f32 v75, 0, v93 :: v_dual_fmac_f32 v68, v33, v94
	v_fmac_f32_e32 v70, 0x80000000, v94
	v_fmac_f32_e32 v72, 0x80000000, v94
	v_dual_fmac_f32 v74, v25, v93 :: v_dual_fmac_f32 v69, 0x80000000, v94
	s_delay_alu instid0(VALU_DEP_4) | instskip(NEXT) | instid1(VALU_DEP_3)
	v_dual_fmac_f32 v71, v29, v94 :: v_dual_fmac_f32 v68, 0, v95
	v_dual_fmac_f32 v73, v25, v94 :: v_dual_fmac_f32 v72, v30, v95
	s_delay_alu instid0(VALU_DEP_2) | instskip(SKIP_1) | instid1(VALU_DEP_3)
	v_dual_fmac_f32 v74, 0x80000000, v94 :: v_dual_fmac_f32 v71, 0, v95
	v_dual_fmac_f32 v75, v21, v94 :: v_dual_fmac_f32 v70, v34, v95
	v_fmac_f32_e32 v73, 0, v95
	s_delay_alu instid0(VALU_DEP_3) | instskip(SKIP_1) | instid1(VALU_DEP_4)
	v_fmac_f32_e32 v74, v26, v95
	v_dual_fmac_f32 v69, v22, v95 :: v_dual_fmac_f32 v72, 0x80000000, v96
	v_dual_fmac_f32 v75, 0, v95 :: v_dual_fmac_f32 v68, v34, v96
	v_fmac_f32_e32 v70, 0x80000000, v96
	v_fmac_f32_e32 v71, v30, v96
	;; [unrolled: 1-line block ×3, first 2 shown]
	s_waitcnt vmcnt(6)
	v_dual_fmac_f32 v69, 0x80000000, v96 :: v_dual_fmac_f32 v72, v31, v97
	v_fmac_f32_e32 v70, v35, v97
	v_dual_fmac_f32 v74, 0x80000000, v96 :: v_dual_fmac_f32 v71, 0, v97
	v_dual_fmac_f32 v75, v22, v96 :: v_dual_fmac_f32 v68, 0, v97
	s_delay_alu instid0(VALU_DEP_3) | instskip(NEXT) | instid1(VALU_DEP_3)
	v_dual_fmac_f32 v73, 0, v97 :: v_dual_fmac_f32 v70, 0x80000000, v98
	v_fmac_f32_e32 v74, v27, v97
	v_dual_fmac_f32 v69, v23, v97 :: v_dual_fmac_f32 v72, 0x80000000, v98
	s_delay_alu instid0(VALU_DEP_4) | instskip(NEXT) | instid1(VALU_DEP_4)
	v_dual_fmac_f32 v75, 0, v97 :: v_dual_fmac_f32 v68, v35, v98
	v_dual_fmac_f32 v71, v31, v98 :: v_dual_fmac_f32 v70, v36, v99
	s_delay_alu instid0(VALU_DEP_4) | instskip(NEXT) | instid1(VALU_DEP_3)
	v_fmac_f32_e32 v74, 0x80000000, v98
	v_dual_fmac_f32 v73, v27, v98 :: v_dual_fmac_f32 v68, 0, v99
	v_dual_fmac_f32 v69, 0x80000000, v98 :: v_dual_fmac_f32 v72, v32, v99
	s_delay_alu instid0(VALU_DEP_4) | instskip(NEXT) | instid1(VALU_DEP_4)
	v_fmac_f32_e32 v71, 0, v99
	v_dual_fmac_f32 v75, v23, v98 :: v_dual_fmac_f32 v74, v28, v99
	s_delay_alu instid0(VALU_DEP_4) | instskip(NEXT) | instid1(VALU_DEP_4)
	v_dual_fmac_f32 v73, 0, v99 :: v_dual_fmac_f32 v70, 0x80000000, v100
	v_dual_fmac_f32 v69, v24, v99 :: v_dual_fmac_f32 v72, 0x80000000, v100
	s_delay_alu instid0(VALU_DEP_3) | instskip(SKIP_1) | instid1(VALU_DEP_3)
	v_dual_fmac_f32 v75, 0, v99 :: v_dual_fmac_f32 v68, v36, v100
	s_waitcnt vmcnt(5)
	v_dual_fmac_f32 v71, v32, v100 :: v_dual_fmac_f32 v70, v49, v101
	v_fmac_f32_e32 v74, 0x80000000, v100
	s_delay_alu instid0(VALU_DEP_3) | instskip(SKIP_1) | instid1(VALU_DEP_4)
	v_dual_fmac_f32 v73, v28, v100 :: v_dual_fmac_f32 v68, 0, v101
	v_dual_fmac_f32 v69, 0x80000000, v100 :: v_dual_fmac_f32 v72, v45, v101
	v_fmac_f32_e32 v71, 0, v101
	s_delay_alu instid0(VALU_DEP_4) | instskip(NEXT) | instid1(VALU_DEP_4)
	v_dual_fmac_f32 v75, v24, v100 :: v_dual_fmac_f32 v74, v41, v101
	v_dual_fmac_f32 v73, 0, v101 :: v_dual_fmac_f32 v70, 0x80000000, v102
	s_delay_alu instid0(VALU_DEP_4) | instskip(NEXT) | instid1(VALU_DEP_3)
	v_dual_fmac_f32 v69, v37, v101 :: v_dual_fmac_f32 v72, 0x80000000, v102
	v_dual_fmac_f32 v75, 0, v101 :: v_dual_fmac_f32 v68, v49, v102
	s_delay_alu instid0(VALU_DEP_3) | instskip(SKIP_1) | instid1(VALU_DEP_3)
	v_dual_fmac_f32 v71, v45, v102 :: v_dual_fmac_f32 v70, v50, v103
	v_fmac_f32_e32 v74, 0x80000000, v102
	v_dual_fmac_f32 v73, v41, v102 :: v_dual_fmac_f32 v68, 0, v103
	v_dual_fmac_f32 v69, 0x80000000, v102 :: v_dual_fmac_f32 v72, v46, v103
	s_delay_alu instid0(VALU_DEP_4) | instskip(NEXT) | instid1(VALU_DEP_4)
	v_fmac_f32_e32 v71, 0, v103
	v_dual_fmac_f32 v75, v37, v102 :: v_dual_fmac_f32 v74, v42, v103
	s_delay_alu instid0(VALU_DEP_4) | instskip(NEXT) | instid1(VALU_DEP_4)
	v_dual_fmac_f32 v73, 0, v103 :: v_dual_fmac_f32 v70, 0x80000000, v104
	v_dual_fmac_f32 v69, v38, v103 :: v_dual_fmac_f32 v72, 0x80000000, v104
	s_delay_alu instid0(VALU_DEP_3) | instskip(SKIP_1) | instid1(VALU_DEP_3)
	v_dual_fmac_f32 v75, 0, v103 :: v_dual_fmac_f32 v68, v50, v104
	s_waitcnt vmcnt(4)
	v_dual_fmac_f32 v71, v46, v104 :: v_dual_fmac_f32 v70, v51, v105
	v_fmac_f32_e32 v74, 0x80000000, v104
	s_delay_alu instid0(VALU_DEP_3) | instskip(SKIP_1) | instid1(VALU_DEP_4)
	v_dual_fmac_f32 v73, v42, v104 :: v_dual_fmac_f32 v68, 0, v105
	v_dual_fmac_f32 v69, 0x80000000, v104 :: v_dual_fmac_f32 v72, v47, v105
	v_fmac_f32_e32 v71, 0, v105
	s_delay_alu instid0(VALU_DEP_4) | instskip(NEXT) | instid1(VALU_DEP_4)
	v_dual_fmac_f32 v75, v38, v104 :: v_dual_fmac_f32 v74, v43, v105
	v_dual_fmac_f32 v73, 0, v105 :: v_dual_fmac_f32 v70, 0x80000000, v106
	s_delay_alu instid0(VALU_DEP_4) | instskip(NEXT) | instid1(VALU_DEP_3)
	v_dual_fmac_f32 v69, v39, v105 :: v_dual_fmac_f32 v72, 0x80000000, v106
	v_dual_fmac_f32 v75, 0, v105 :: v_dual_fmac_f32 v68, v51, v106
	s_delay_alu instid0(VALU_DEP_3) | instskip(SKIP_1) | instid1(VALU_DEP_3)
	v_dual_fmac_f32 v71, v47, v106 :: v_dual_fmac_f32 v70, v52, v107
	;; [unrolled: 26-line block ×4, first 2 shown]
	v_fmac_f32_e32 v74, 0x80000000, v114
	v_dual_fmac_f32 v73, v83, v114 :: v_dual_fmac_f32 v68, 0, v115
	v_dual_fmac_f32 v69, 0x80000000, v114 :: v_dual_fmac_f32 v72, v92, v115
	s_delay_alu instid0(VALU_DEP_4) | instskip(NEXT) | instid1(VALU_DEP_4)
	v_fmac_f32_e32 v71, 0, v115
	v_dual_fmac_f32 v75, v79, v114 :: v_dual_fmac_f32 v74, v84, v115
	s_delay_alu instid0(VALU_DEP_4) | instskip(NEXT) | instid1(VALU_DEP_4)
	v_dual_fmac_f32 v73, 0, v115 :: v_dual_fmac_f32 v70, 0x80000000, v116
	v_dual_fmac_f32 v69, v80, v115 :: v_dual_fmac_f32 v72, 0x80000000, v116
	s_delay_alu instid0(VALU_DEP_3) | instskip(SKIP_2) | instid1(VALU_DEP_3)
	v_dual_fmac_f32 v75, 0, v115 :: v_dual_fmac_f32 v68, v88, v116
	v_fmac_f32_e32 v71, v92, v116
	s_waitcnt vmcnt(1)
	v_dual_fmac_f32 v69, 0x80000000, v116 :: v_dual_fmac_f32 v70, v12, v117
	s_delay_alu instid0(VALU_DEP_3) | instskip(NEXT) | instid1(VALU_DEP_3)
	v_dual_fmac_f32 v73, v84, v116 :: v_dual_fmac_f32 v68, 0, v117
	v_dual_fmac_f32 v74, 0x80000000, v116 :: v_dual_fmac_f32 v71, 0, v117
	s_delay_alu instid0(VALU_DEP_2) | instskip(NEXT) | instid1(VALU_DEP_3)
	v_dual_fmac_f32 v70, 0x80000000, v118 :: v_dual_fmac_f32 v73, 0, v117
	v_fmac_f32_e32 v68, v12, v118
	v_cmp_ge_i32_e32 vcc_lo, v18, v76
	s_delay_alu instid0(VALU_DEP_3) | instskip(NEXT) | instid1(VALU_DEP_3)
	v_dual_fmac_f32 v71, v8, v118 :: v_dual_fmac_f32 v70, v13, v119
	v_fmac_f32_e32 v68, 0, v119
	s_delay_alu instid0(VALU_DEP_2) | instskip(NEXT) | instid1(VALU_DEP_3)
	v_dual_fmac_f32 v74, v4, v117 :: v_dual_fmac_f32 v71, 0, v119
	v_dual_fmac_f32 v69, v0, v117 :: v_dual_fmac_f32 v70, 0x80000000, v120
	s_delay_alu instid0(VALU_DEP_3) | instskip(NEXT) | instid1(VALU_DEP_3)
	v_fmac_f32_e32 v68, v13, v120
	v_fmac_f32_e32 v74, 0x80000000, v118
	s_delay_alu instid0(VALU_DEP_3) | instskip(SKIP_3) | instid1(VALU_DEP_3)
	v_dual_fmac_f32 v72, v8, v117 :: v_dual_fmac_f32 v69, 0x80000000, v118
	v_fmac_f32_e32 v75, v80, v116
	s_waitcnt vmcnt(0)
	v_dual_fmac_f32 v71, v9, v120 :: v_dual_fmac_f32 v70, v14, v121
	v_fmac_f32_e32 v72, 0x80000000, v118
	v_fmac_f32_e32 v73, v4, v118
	v_dual_fmac_f32 v75, 0, v117 :: v_dual_fmac_f32 v74, v5, v119
	s_delay_alu instid0(VALU_DEP_3) | instskip(NEXT) | instid1(VALU_DEP_3)
	v_dual_fmac_f32 v71, 0, v121 :: v_dual_fmac_f32 v72, v9, v119
	v_fmac_f32_e32 v73, 0, v119
	s_delay_alu instid0(VALU_DEP_3) | instskip(NEXT) | instid1(VALU_DEP_4)
	v_fmac_f32_e32 v75, v0, v118
	v_dual_fmac_f32 v69, v1, v119 :: v_dual_fmac_f32 v74, 0x80000000, v120
	s_delay_alu instid0(VALU_DEP_4) | instskip(NEXT) | instid1(VALU_DEP_4)
	v_fmac_f32_e32 v72, 0x80000000, v120
	v_dual_fmac_f32 v73, v5, v120 :: v_dual_fmac_f32 v68, 0, v121
	s_delay_alu instid0(VALU_DEP_4) | instskip(NEXT) | instid1(VALU_DEP_3)
	v_fmac_f32_e32 v75, 0, v119
	v_dual_fmac_f32 v69, 0x80000000, v120 :: v_dual_fmac_f32 v72, v10, v121
	v_fmac_f32_e32 v74, v6, v121
	s_delay_alu instid0(VALU_DEP_4) | instskip(NEXT) | instid1(VALU_DEP_4)
	v_dual_fmac_f32 v73, 0, v121 :: v_dual_fmac_f32 v70, 0x80000000, v122
	v_fmac_f32_e32 v75, v1, v120
	s_delay_alu instid0(VALU_DEP_4) | instskip(NEXT) | instid1(VALU_DEP_3)
	v_dual_fmac_f32 v69, v2, v121 :: v_dual_fmac_f32 v72, 0x80000000, v122
	v_dual_fmac_f32 v71, v10, v122 :: v_dual_fmac_f32 v70, v15, v123
	s_delay_alu instid0(VALU_DEP_3) | instskip(NEXT) | instid1(VALU_DEP_2)
	v_dual_fmac_f32 v75, 0, v121 :: v_dual_fmac_f32 v68, v14, v122
	v_dual_fmac_f32 v74, 0x80000000, v122 :: v_dual_fmac_f32 v71, 0, v123
	v_fmac_f32_e32 v73, v6, v122
	v_dual_fmac_f32 v69, 0x80000000, v122 :: v_dual_fmac_f32 v72, v11, v123
	s_delay_alu instid0(VALU_DEP_3) | instskip(SKIP_1) | instid1(VALU_DEP_4)
	v_dual_fmac_f32 v75, v2, v122 :: v_dual_fmac_f32 v74, v7, v123
	v_fmac_f32_e32 v68, 0, v123
	v_dual_fmac_f32 v73, 0, v123 :: v_dual_fmac_f32 v70, 0x80000000, v124
	s_delay_alu instid0(VALU_DEP_4) | instskip(NEXT) | instid1(VALU_DEP_3)
	v_dual_fmac_f32 v69, v3, v123 :: v_dual_fmac_f32 v72, 0x80000000, v124
	v_dual_fmac_f32 v75, 0, v123 :: v_dual_fmac_f32 v68, v15, v124
	v_fmac_f32_e32 v71, v11, v124
	v_fmac_f32_e32 v74, 0x80000000, v124
	;; [unrolled: 1-line block ×5, first 2 shown]
	s_or_b32 s10, vcc_lo, s10
	s_delay_alu instid0(SALU_CYCLE_1)
	s_and_not1_b32 exec_lo, exec_lo, s10
	s_cbranch_execnz .LBB123_27
; %bb.28:
	s_or_b32 exec_lo, exec_lo, s10
.LBB123_29:
	s_delay_alu instid0(SALU_CYCLE_1)
	s_or_b32 exec_lo, exec_lo, s7
.LBB123_30:
	s_delay_alu instid0(SALU_CYCLE_1) | instskip(NEXT) | instid1(SALU_CYCLE_1)
	s_or_b32 exec_lo, exec_lo, s6
	s_and_not1_b32 vcc_lo, exec_lo, s3
	s_cbranch_vccz .LBB123_32
	s_branch .LBB123_43
.LBB123_31:
                                        ; implicit-def: $vgpr68
                                        ; implicit-def: $vgpr70
                                        ; implicit-def: $vgpr71
                                        ; implicit-def: $vgpr72
                                        ; implicit-def: $vgpr73
                                        ; implicit-def: $vgpr74
                                        ; implicit-def: $vgpr75
                                        ; implicit-def: $vgpr69
.LBB123_32:
	v_dual_mov_b32 v68, 0 :: v_dual_mov_b32 v71, 0
	v_dual_mov_b32 v70, 0 :: v_dual_mov_b32 v73, 0
	v_dual_mov_b32 v72, 0 :: v_dual_mov_b32 v75, 0
	v_dual_mov_b32 v74, 0 :: v_dual_mov_b32 v69, 0
	s_and_saveexec_b32 s3, s2
	s_cbranch_execz .LBB123_42
; %bb.33:
	v_dual_mov_b32 v69, 0 :: v_dual_add_nc_u32 v0, v20, v67
	v_not_b32_e32 v1, v20
	v_dual_mov_b32 v73, 0 :: v_dual_mov_b32 v70, 0
	s_delay_alu instid0(VALU_DEP_3) | instskip(SKIP_3) | instid1(VALU_DEP_2)
	v_subrev_nc_u32_e32 v0, s12, v0
	v_dual_mov_b32 v71, 0 :: v_dual_mov_b32 v68, 0
	s_mov_b32 s6, 0
	s_mov_b32 s2, exec_lo
	v_dual_mov_b32 v75, 0 :: v_dual_add_nc_u32 v0, 32, v0
	v_mov_b32_e32 v74, 0
	v_mov_b32_e32 v72, 0
	s_delay_alu instid0(VALU_DEP_3) | instskip(NEXT) | instid1(VALU_DEP_1)
	v_max_i32_e32 v0, v0, v76
	v_add3_u32 v0, v0, s12, v1
	s_delay_alu instid0(VALU_DEP_1) | instskip(NEXT) | instid1(VALU_DEP_1)
	v_sub_nc_u32_e32 v0, v0, v67
	v_lshrrev_b32_e32 v1, 5, v0
	s_delay_alu instid0(VALU_DEP_1) | instskip(NEXT) | instid1(VALU_DEP_1)
	v_add_nc_u32_e32 v1, 1, v1
	v_and_b32_e32 v1, 3, v1
	s_delay_alu instid0(VALU_DEP_1)
	v_cmpx_ne_u32_e32 0, v1
	s_cbranch_execz .LBB123_37
; %bb.34:
	v_dual_mov_b32 v68, 0 :: v_dual_lshlrev_b32 v1, 6, v1
	v_dual_mov_b32 v70, 0 :: v_dual_mov_b32 v71, 0
	v_dual_mov_b32 v72, 0 :: v_dual_mov_b32 v73, 0
	;; [unrolled: 1-line block ×3, first 2 shown]
	v_mov_b32_e32 v69, 0
.LBB123_35:                             ; =>This Inner Loop Header: Depth=1
	v_ashrrev_i32_e32 v58, 31, v57
	v_subrev_nc_u32_e32 v1, 64, v1
	s_delay_alu instid0(VALU_DEP_2) | instskip(NEXT) | instid1(VALU_DEP_1)
	v_lshlrev_b64 v[2:3], 2, v[57:58]
	v_add_co_u32 v2, vcc_lo, s8, v2
	s_delay_alu instid0(VALU_DEP_2)
	v_add_co_ci_u32_e32 v3, vcc_lo, s9, v3, vcc_lo
	global_load_b32 v10, v[2:3], off
	s_clause 0x1
	global_load_b128 v[2:5], v[59:60], off offset:16
	global_load_b128 v[6:9], v[59:60], off
	s_waitcnt vmcnt(2)
	v_subrev_nc_u32_e32 v10, s12, v10
	s_delay_alu instid0(VALU_DEP_1) | instskip(NEXT) | instid1(VALU_DEP_1)
	v_lshlrev_b32_e32 v10, 2, v10
	v_ashrrev_i32_e32 v11, 31, v10
	s_delay_alu instid0(VALU_DEP_1) | instskip(SKIP_1) | instid1(VALU_DEP_1)
	v_lshlrev_b64 v[10:11], 3, v[10:11]
	s_waitcnt lgkmcnt(0)
	v_add_co_u32 v14, vcc_lo, s4, v10
	s_delay_alu instid0(VALU_DEP_2)
	v_add_co_ci_u32_e32 v15, vcc_lo, s5, v11, vcc_lo
	s_clause 0x1
	global_load_b128 v[10:13], v[14:15], off
	global_load_b128 v[14:17], v[14:15], off offset:16
	s_clause 0x1
	global_load_b128 v[18:21], v[59:60], off offset:32
	global_load_b128 v[22:25], v[59:60], off offset:48
	v_add_nc_u32_e32 v57, 32, v57
	v_add_co_u32 v59, vcc_lo, 0x800, v59
	v_add_co_ci_u32_e32 v60, vcc_lo, 0, v60, vcc_lo
	v_cmp_eq_u32_e32 vcc_lo, 0, v1
	s_or_b32 s6, vcc_lo, s6
	s_waitcnt vmcnt(3)
	v_fmac_f32_e32 v70, v6, v10
	v_fmac_f32_e32 v71, 0, v10
	v_fmac_f32_e32 v73, 0, v10
	v_fmac_f32_e32 v68, 0, v10
	v_fmac_f32_e32 v69, v9, v10
	v_fmac_f32_e32 v72, v7, v10
	v_fmac_f32_e32 v75, 0, v10
	v_fmac_f32_e32 v74, v8, v10
	v_fmac_f32_e32 v70, 0x80000000, v11
	v_fmac_f32_e32 v71, v7, v11
	v_fmac_f32_e32 v73, v8, v11
	v_fmac_f32_e32 v75, v9, v11
	v_fmac_f32_e32 v68, v6, v11
	v_fmac_f32_e32 v74, 0x80000000, v11
	v_fmac_f32_e32 v69, 0x80000000, v11
	v_dual_fmac_f32 v72, 0x80000000, v11 :: v_dual_fmac_f32 v71, 0, v12
	v_fmac_f32_e32 v70, v2, v12
	v_fmac_f32_e32 v73, 0, v12
	;; [unrolled: 1-line block ×6, first 2 shown]
	v_dual_fmac_f32 v74, v4, v12 :: v_dual_fmac_f32 v71, v3, v13
	v_fmac_f32_e32 v70, 0x80000000, v13
	v_fmac_f32_e32 v73, v4, v13
	s_delay_alu instid0(VALU_DEP_4)
	v_fmac_f32_e32 v75, v5, v13
	v_fmac_f32_e32 v68, v2, v13
	;; [unrolled: 1-line block ×4, first 2 shown]
	s_waitcnt vmcnt(2)
	v_dual_fmac_f32 v72, 0x80000000, v13 :: v_dual_fmac_f32 v71, 0, v14
	s_waitcnt vmcnt(1)
	v_fmac_f32_e32 v70, v18, v14
	v_fmac_f32_e32 v73, 0, v14
	;; [unrolled: 1-line block ×6, first 2 shown]
	v_dual_fmac_f32 v74, v20, v14 :: v_dual_fmac_f32 v71, v19, v15
	v_fmac_f32_e32 v70, 0x80000000, v15
	v_fmac_f32_e32 v73, v20, v15
	s_delay_alu instid0(VALU_DEP_4)
	v_fmac_f32_e32 v75, v21, v15
	v_fmac_f32_e32 v68, v18, v15
	;; [unrolled: 1-line block ×4, first 2 shown]
	v_dual_fmac_f32 v72, 0x80000000, v15 :: v_dual_fmac_f32 v71, 0, v16
	s_waitcnt vmcnt(0)
	v_fmac_f32_e32 v70, v22, v16
	v_fmac_f32_e32 v73, 0, v16
	;; [unrolled: 1-line block ×6, first 2 shown]
	v_dual_fmac_f32 v74, v24, v16 :: v_dual_fmac_f32 v71, v23, v17
	v_fmac_f32_e32 v70, 0x80000000, v17
	v_fmac_f32_e32 v73, v24, v17
	s_delay_alu instid0(VALU_DEP_4)
	v_fmac_f32_e32 v75, v25, v17
	v_fmac_f32_e32 v68, v22, v17
	;; [unrolled: 1-line block ×5, first 2 shown]
	s_and_not1_b32 exec_lo, exec_lo, s6
	s_cbranch_execnz .LBB123_35
; %bb.36:
	s_or_b32 exec_lo, exec_lo, s6
.LBB123_37:
	s_delay_alu instid0(SALU_CYCLE_1) | instskip(NEXT) | instid1(SALU_CYCLE_1)
	s_or_b32 exec_lo, exec_lo, s2
	s_mov_b32 s2, exec_lo
	v_cmpx_lt_u32_e32 0x5f, v0
	s_cbranch_execz .LBB123_41
; %bb.38:
	s_mov_b32 s6, 0
.LBB123_39:                             ; =>This Inner Loop Header: Depth=1
	v_ashrrev_i32_e32 v58, 31, v57
	v_add_co_u32 v61, vcc_lo, 0x1000, v59
	v_add_co_ci_u32_e32 v62, vcc_lo, 0, v60, vcc_lo
	s_delay_alu instid0(VALU_DEP_3)
	v_lshlrev_b64 v[77:78], 2, v[57:58]
	s_clause 0xd
	global_load_b128 v[0:3], v[59:60], off offset:48
	global_load_b128 v[4:7], v[59:60], off offset:32
	;; [unrolled: 1-line block ×3, first 2 shown]
	global_load_b128 v[32:35], v[59:60], off
	global_load_b128 v[28:31], v[59:60], off offset:2096
	global_load_b128 v[36:39], v[59:60], off offset:2080
	;; [unrolled: 1-line block ×6, first 2 shown]
	global_load_b128 v[24:27], v[61:62], off
	global_load_b128 v[20:23], v[61:62], off offset:16
	global_load_b128 v[48:51], v[61:62], off offset:2064
	global_load_b128 v[52:55], v[61:62], off offset:2048
	v_add_co_u32 v77, vcc_lo, s8, v77
	v_add_co_ci_u32_e32 v78, vcc_lo, s9, v78, vcc_lo
	s_clause 0x3
	global_load_b32 v58, v[77:78], off
	global_load_b32 v79, v[77:78], off offset:128
	global_load_b32 v80, v[77:78], off offset:256
	;; [unrolled: 1-line block ×3, first 2 shown]
	s_waitcnt vmcnt(3)
	v_subrev_nc_u32_e32 v58, s12, v58
	s_waitcnt vmcnt(2)
	v_subrev_nc_u32_e32 v78, s12, v79
	;; [unrolled: 2-line block ×4, first 2 shown]
	v_lshlrev_b32_e32 v77, 2, v58
	v_lshlrev_b32_e32 v79, 2, v78
	;; [unrolled: 1-line block ×3, first 2 shown]
	s_delay_alu instid0(VALU_DEP_4) | instskip(NEXT) | instid1(VALU_DEP_4)
	v_lshlrev_b32_e32 v83, 2, v82
	v_ashrrev_i32_e32 v78, 31, v77
	s_delay_alu instid0(VALU_DEP_4) | instskip(NEXT) | instid1(VALU_DEP_4)
	v_ashrrev_i32_e32 v80, 31, v79
	v_ashrrev_i32_e32 v82, 31, v81
	s_delay_alu instid0(VALU_DEP_4) | instskip(NEXT) | instid1(VALU_DEP_4)
	v_ashrrev_i32_e32 v84, 31, v83
	v_lshlrev_b64 v[77:78], 3, v[77:78]
	s_delay_alu instid0(VALU_DEP_4) | instskip(NEXT) | instid1(VALU_DEP_4)
	v_lshlrev_b64 v[79:80], 3, v[79:80]
	v_lshlrev_b64 v[81:82], 3, v[81:82]
	s_delay_alu instid0(VALU_DEP_4) | instskip(SKIP_1) | instid1(VALU_DEP_4)
	v_lshlrev_b64 v[83:84], 3, v[83:84]
	s_waitcnt lgkmcnt(0)
	v_add_co_u32 v85, vcc_lo, s4, v77
	v_add_co_ci_u32_e32 v86, vcc_lo, s5, v78, vcc_lo
	v_add_co_u32 v89, vcc_lo, s4, v79
	v_add_co_ci_u32_e32 v90, vcc_lo, s5, v80, vcc_lo
	v_add_co_u32 v93, vcc_lo, s4, v81
	v_add_co_ci_u32_e32 v94, vcc_lo, s5, v82, vcc_lo
	v_add_co_u32 v95, vcc_lo, s4, v83
	v_add_co_ci_u32_e32 v96, vcc_lo, s5, v84, vcc_lo
	s_clause 0x3
	global_load_b128 v[77:80], v[85:86], off
	global_load_b128 v[81:84], v[85:86], off offset:16
	global_load_b128 v[85:88], v[89:90], off
	global_load_b128 v[89:92], v[89:90], off offset:16
	v_add_co_u32 v59, vcc_lo, 0x2000, v59
	v_add_co_ci_u32_e32 v60, vcc_lo, 0, v60, vcc_lo
	s_waitcnt vmcnt(3)
	v_fmac_f32_e32 v72, v33, v77
	v_fmac_f32_e32 v70, v32, v77
	;; [unrolled: 1-line block ×5, first 2 shown]
	v_dual_fmac_f32 v75, 0, v77 :: v_dual_fmac_f32 v72, 0x80000000, v78
	s_delay_alu instid0(VALU_DEP_4) | instskip(NEXT) | instid1(VALU_DEP_4)
	v_fmac_f32_e32 v68, v32, v78
	v_dual_fmac_f32 v74, v34, v77 :: v_dual_fmac_f32 v71, v33, v78
	v_fmac_f32_e32 v69, v35, v77
	s_delay_alu instid0(VALU_DEP_4)
	v_dual_fmac_f32 v75, v35, v78 :: v_dual_fmac_f32 v72, v17, v79
	v_fmac_f32_e32 v70, 0x80000000, v78
	v_dual_fmac_f32 v73, v34, v78 :: v_dual_fmac_f32 v68, 0, v79
	global_load_b128 v[32:35], v[93:94], off
	v_fmac_f32_e32 v74, 0x80000000, v78
	v_dual_fmac_f32 v69, 0x80000000, v78 :: v_dual_fmac_f32 v70, v16, v79
	v_dual_fmac_f32 v71, 0, v79 :: v_dual_fmac_f32 v68, v16, v80
	v_fmac_f32_e32 v73, 0, v79
	v_dual_fmac_f32 v75, 0, v79 :: v_dual_fmac_f32 v72, 0x80000000, v80
	v_fmac_f32_e32 v74, v18, v79
	;; [unrolled: 2-line block ×3, first 2 shown]
	s_waitcnt vmcnt(3)
	v_dual_fmac_f32 v73, v18, v80 :: v_dual_fmac_f32 v68, 0, v81
	v_dual_fmac_f32 v75, v19, v80 :: v_dual_fmac_f32 v72, v5, v81
	global_load_b128 v[16:19], v[93:94], off offset:16
	v_fmac_f32_e32 v74, 0x80000000, v80
	v_fmac_f32_e32 v69, 0x80000000, v80
	global_load_b128 v[77:80], v[95:96], off
	v_fmac_f32_e32 v70, v4, v81
	v_dual_fmac_f32 v71, 0, v81 :: v_dual_fmac_f32 v68, v4, v82
	v_fmac_f32_e32 v73, 0, v81
	v_dual_fmac_f32 v75, 0, v81 :: v_dual_fmac_f32 v72, 0x80000000, v82
	;; [unrolled: 2-line block ×4, first 2 shown]
	v_dual_fmac_f32 v75, v7, v82 :: v_dual_fmac_f32 v72, v1, v83
	global_load_b128 v[4:7], v[61:62], off offset:2080
	global_load_b128 v[93:96], v[95:96], off offset:16
	v_fmac_f32_e32 v74, 0x80000000, v82
	v_dual_fmac_f32 v69, 0x80000000, v82 :: v_dual_fmac_f32 v70, v0, v83
	v_dual_fmac_f32 v71, 0, v83 :: v_dual_fmac_f32 v68, v0, v84
	v_fmac_f32_e32 v73, 0, v83
	v_dual_fmac_f32 v75, 0, v83 :: v_dual_fmac_f32 v72, 0x80000000, v84
	v_fmac_f32_e32 v74, v2, v83
	;; [unrolled: 2-line block ×3, first 2 shown]
	s_waitcnt vmcnt(6)
	v_dual_fmac_f32 v73, v2, v84 :: v_dual_fmac_f32 v68, 0, v85
	v_dual_fmac_f32 v75, v3, v84 :: v_dual_fmac_f32 v72, v45, v85
	global_load_b128 v[0:3], v[61:62], off offset:2096
	v_fmac_f32_e32 v70, v44, v85
	v_fmac_f32_e32 v71, 0, v85
	v_dual_fmac_f32 v68, v44, v86 :: v_dual_add_nc_u32 v57, 0x80, v57
	v_dual_fmac_f32 v73, 0, v85 :: v_dual_fmac_f32 v72, 0x80000000, v86
	s_delay_alu instid0(VALU_DEP_4) | instskip(NEXT) | instid1(VALU_DEP_3)
	v_dual_fmac_f32 v70, 0x80000000, v86 :: v_dual_fmac_f32 v75, 0, v85
	v_dual_fmac_f32 v71, v45, v86 :: v_dual_fmac_f32 v68, 0, v87
	v_fmac_f32_e32 v74, 0x80000000, v84
	s_delay_alu instid0(VALU_DEP_3) | instskip(NEXT) | instid1(VALU_DEP_3)
	v_dual_fmac_f32 v70, v40, v87 :: v_dual_fmac_f32 v75, v47, v86
	v_dual_fmac_f32 v71, 0, v87 :: v_dual_fmac_f32 v68, v40, v88
	s_delay_alu instid0(VALU_DEP_3) | instskip(NEXT) | instid1(VALU_DEP_3)
	v_dual_fmac_f32 v69, 0x80000000, v84 :: v_dual_fmac_f32 v74, v46, v85
	v_dual_fmac_f32 v70, 0x80000000, v88 :: v_dual_fmac_f32 v73, v46, v86
	v_fmac_f32_e32 v72, v41, v87
	v_fmac_f32_e32 v75, 0, v87
	s_waitcnt vmcnt(6)
	v_dual_fmac_f32 v71, v41, v88 :: v_dual_fmac_f32 v68, 0, v89
	v_fmac_f32_e32 v70, v36, v89
	v_dual_fmac_f32 v69, v47, v85 :: v_dual_fmac_f32 v74, 0x80000000, v86
	v_dual_fmac_f32 v73, 0, v87 :: v_dual_fmac_f32 v72, 0x80000000, v88
	s_delay_alu instid0(VALU_DEP_3) | instskip(SKIP_1) | instid1(VALU_DEP_4)
	v_dual_fmac_f32 v75, v43, v88 :: v_dual_fmac_f32 v70, 0x80000000, v90
	v_dual_fmac_f32 v71, 0, v89 :: v_dual_fmac_f32 v68, v36, v90
	;; [unrolled: 1-line block ×3, first 2 shown]
	s_delay_alu instid0(VALU_DEP_4) | instskip(NEXT) | instid1(VALU_DEP_4)
	v_dual_fmac_f32 v73, v42, v88 :: v_dual_fmac_f32 v72, v37, v89
	v_dual_fmac_f32 v75, 0, v89 :: v_dual_fmac_f32 v70, v28, v91
	s_delay_alu instid0(VALU_DEP_4) | instskip(NEXT) | instid1(VALU_DEP_4)
	v_dual_fmac_f32 v71, v37, v90 :: v_dual_fmac_f32 v68, 0, v91
	v_dual_fmac_f32 v69, v43, v87 :: v_dual_fmac_f32 v74, 0x80000000, v88
	;; [unrolled: 3-line block ×4, first 2 shown]
	s_delay_alu instid0(VALU_DEP_4) | instskip(NEXT) | instid1(VALU_DEP_4)
	v_dual_fmac_f32 v73, v38, v90 :: v_dual_fmac_f32 v72, v29, v91
	v_fmac_f32_e32 v75, 0, v91
	s_delay_alu instid0(VALU_DEP_3) | instskip(NEXT) | instid1(VALU_DEP_3)
	v_dual_fmac_f32 v69, v39, v89 :: v_dual_fmac_f32 v74, 0x80000000, v90
	v_dual_fmac_f32 v73, 0, v91 :: v_dual_fmac_f32 v72, 0x80000000, v92
	v_cmp_ge_i32_e32 vcc_lo, v57, v76
	s_delay_alu instid0(VALU_DEP_3) | instskip(SKIP_1) | instid1(VALU_DEP_1)
	v_dual_fmac_f32 v69, 0x80000000, v90 :: v_dual_fmac_f32 v74, v30, v91
	s_or_b32 s6, vcc_lo, s6
	v_dual_fmac_f32 v69, v31, v91 :: v_dual_fmac_f32 v74, 0x80000000, v92
	s_waitcnt vmcnt(5)
	v_fmac_f32_e32 v70, v24, v32
	s_delay_alu instid0(VALU_DEP_1) | instskip(NEXT) | instid1(VALU_DEP_1)
	v_dual_fmac_f32 v71, v29, v92 :: v_dual_fmac_f32 v70, 0x80000000, v33
	v_dual_fmac_f32 v71, 0, v32 :: v_dual_fmac_f32 v70, v20, v34
	s_delay_alu instid0(VALU_DEP_1) | instskip(NEXT) | instid1(VALU_DEP_2)
	v_dual_fmac_f32 v68, 0, v32 :: v_dual_fmac_f32 v71, v25, v33
	v_dual_fmac_f32 v73, v30, v92 :: v_dual_fmac_f32 v70, 0x80000000, v35
	s_delay_alu instid0(VALU_DEP_1) | instskip(SKIP_1) | instid1(VALU_DEP_2)
	v_dual_fmac_f32 v68, v24, v33 :: v_dual_fmac_f32 v73, 0, v32
	s_waitcnt vmcnt(4)
	v_fmac_f32_e32 v70, v12, v16
	s_delay_alu instid0(VALU_DEP_2) | instskip(NEXT) | instid1(VALU_DEP_3)
	v_fmac_f32_e32 v68, 0, v34
	v_dual_fmac_f32 v72, v25, v32 :: v_dual_fmac_f32 v73, v26, v33
	v_fmac_f32_e32 v69, 0x80000000, v92
	s_delay_alu instid0(VALU_DEP_3) | instskip(NEXT) | instid1(VALU_DEP_3)
	v_dual_fmac_f32 v71, 0, v34 :: v_dual_fmac_f32 v68, v20, v35
	v_fmac_f32_e32 v72, 0x80000000, v33
	s_delay_alu instid0(VALU_DEP_3) | instskip(NEXT) | instid1(VALU_DEP_3)
	v_dual_fmac_f32 v70, 0x80000000, v17 :: v_dual_fmac_f32 v69, v27, v32
	v_dual_fmac_f32 v71, v21, v35 :: v_dual_fmac_f32 v68, 0, v16
	s_delay_alu instid0(VALU_DEP_3) | instskip(NEXT) | instid1(VALU_DEP_3)
	v_fmac_f32_e32 v72, v21, v34
	v_dual_fmac_f32 v74, v26, v32 :: v_dual_fmac_f32 v69, 0x80000000, v33
	v_fmac_f32_e32 v75, v31, v92
	s_delay_alu instid0(VALU_DEP_3) | instskip(NEXT) | instid1(VALU_DEP_3)
	v_dual_fmac_f32 v73, 0, v34 :: v_dual_fmac_f32 v72, 0x80000000, v35
	v_dual_fmac_f32 v74, 0x80000000, v33 :: v_dual_fmac_f32 v71, 0, v16
	s_delay_alu instid0(VALU_DEP_3) | instskip(NEXT) | instid1(VALU_DEP_3)
	v_dual_fmac_f32 v68, v12, v17 :: v_dual_fmac_f32 v75, 0, v32
	v_dual_fmac_f32 v73, v22, v35 :: v_dual_fmac_f32 v72, v13, v16
	s_delay_alu instid0(VALU_DEP_3) | instskip(SKIP_1) | instid1(VALU_DEP_4)
	v_fmac_f32_e32 v74, v22, v34
	v_fmac_f32_e32 v69, v23, v34
	;; [unrolled: 1-line block ×3, first 2 shown]
	s_delay_alu instid0(VALU_DEP_4) | instskip(NEXT) | instid1(VALU_DEP_4)
	v_dual_fmac_f32 v73, 0, v16 :: v_dual_fmac_f32 v72, 0x80000000, v17
	v_fmac_f32_e32 v74, 0x80000000, v35
	s_delay_alu instid0(VALU_DEP_4) | instskip(NEXT) | instid1(VALU_DEP_4)
	v_fmac_f32_e32 v69, 0x80000000, v35
	v_fmac_f32_e32 v75, 0, v34
	v_dual_fmac_f32 v71, v13, v17 :: v_dual_fmac_f32 v68, 0, v18
	s_delay_alu instid0(VALU_DEP_4) | instskip(NEXT) | instid1(VALU_DEP_4)
	v_fmac_f32_e32 v74, v14, v16
	v_fmac_f32_e32 v69, v15, v16
	s_delay_alu instid0(VALU_DEP_4) | instskip(SKIP_1) | instid1(VALU_DEP_4)
	v_fmac_f32_e32 v75, v23, v35
	v_dual_fmac_f32 v73, v14, v17 :: v_dual_fmac_f32 v72, v9, v18
	v_fmac_f32_e32 v74, 0x80000000, v17
	s_delay_alu instid0(VALU_DEP_4) | instskip(NEXT) | instid1(VALU_DEP_4)
	v_fmac_f32_e32 v69, 0x80000000, v17
	v_dual_fmac_f32 v75, 0, v16 :: v_dual_fmac_f32 v70, v8, v18
	v_dual_fmac_f32 v71, 0, v18 :: v_dual_fmac_f32 v68, v8, v19
	s_delay_alu instid0(VALU_DEP_2) | instskip(NEXT) | instid1(VALU_DEP_3)
	v_dual_fmac_f32 v74, v10, v18 :: v_dual_fmac_f32 v75, v15, v17
	v_dual_fmac_f32 v70, 0x80000000, v19 :: v_dual_fmac_f32 v73, 0, v18
	;; [unrolled: 1-line block ×3, first 2 shown]
	s_delay_alu instid0(VALU_DEP_3) | instskip(SKIP_1) | instid1(VALU_DEP_3)
	v_dual_fmac_f32 v74, 0x80000000, v19 :: v_dual_fmac_f32 v75, 0, v18
	s_waitcnt vmcnt(3)
	v_dual_fmac_f32 v70, v52, v77 :: v_dual_fmac_f32 v71, v9, v19
	v_dual_fmac_f32 v68, 0, v77 :: v_dual_fmac_f32 v73, v10, v19
	;; [unrolled: 1-line block ×4, first 2 shown]
	s_delay_alu instid0(VALU_DEP_4) | instskip(NEXT) | instid1(VALU_DEP_4)
	v_dual_fmac_f32 v70, 0x80000000, v78 :: v_dual_fmac_f32 v71, 0, v77
	v_dual_fmac_f32 v68, v52, v78 :: v_dual_fmac_f32 v73, 0, v77
	s_delay_alu instid0(VALU_DEP_4) | instskip(NEXT) | instid1(VALU_DEP_4)
	v_dual_fmac_f32 v72, 0x80000000, v78 :: v_dual_fmac_f32 v69, v55, v77
	v_dual_fmac_f32 v74, 0x80000000, v78 :: v_dual_fmac_f32 v75, 0, v77
	s_delay_alu instid0(VALU_DEP_4) | instskip(NEXT) | instid1(VALU_DEP_4)
	v_dual_fmac_f32 v70, v48, v79 :: v_dual_fmac_f32 v71, v53, v78
	v_dual_fmac_f32 v68, 0, v79 :: v_dual_fmac_f32 v73, v54, v78
	s_delay_alu instid0(VALU_DEP_4) | instskip(NEXT) | instid1(VALU_DEP_4)
	v_dual_fmac_f32 v72, v49, v79 :: v_dual_fmac_f32 v69, 0x80000000, v78
	v_dual_fmac_f32 v74, v50, v79 :: v_dual_fmac_f32 v75, v55, v78
	s_delay_alu instid0(VALU_DEP_4) | instskip(NEXT) | instid1(VALU_DEP_4)
	v_dual_fmac_f32 v70, 0x80000000, v80 :: v_dual_fmac_f32 v71, 0, v79
	v_dual_fmac_f32 v68, v48, v80 :: v_dual_fmac_f32 v73, 0, v79
	s_delay_alu instid0(VALU_DEP_4) | instskip(NEXT) | instid1(VALU_DEP_4)
	v_dual_fmac_f32 v72, 0x80000000, v80 :: v_dual_fmac_f32 v69, v51, v79
	v_dual_fmac_f32 v74, 0x80000000, v80 :: v_dual_fmac_f32 v75, 0, v79
	s_waitcnt vmcnt(1)
	v_dual_fmac_f32 v70, v4, v93 :: v_dual_fmac_f32 v71, v49, v80
	v_dual_fmac_f32 v68, 0, v93 :: v_dual_fmac_f32 v73, v50, v80
	;; [unrolled: 1-line block ×4, first 2 shown]
	s_delay_alu instid0(VALU_DEP_4) | instskip(NEXT) | instid1(VALU_DEP_4)
	v_dual_fmac_f32 v70, 0x80000000, v94 :: v_dual_fmac_f32 v71, 0, v93
	v_dual_fmac_f32 v68, v4, v94 :: v_dual_fmac_f32 v73, 0, v93
	s_delay_alu instid0(VALU_DEP_4) | instskip(NEXT) | instid1(VALU_DEP_4)
	v_dual_fmac_f32 v72, 0x80000000, v94 :: v_dual_fmac_f32 v69, v7, v93
	v_dual_fmac_f32 v74, 0x80000000, v94 :: v_dual_fmac_f32 v75, 0, v93
	s_waitcnt vmcnt(0)
	v_dual_fmac_f32 v70, v0, v95 :: v_dual_fmac_f32 v71, v5, v94
	v_dual_fmac_f32 v68, 0, v95 :: v_dual_fmac_f32 v73, v6, v94
	;; [unrolled: 1-line block ×4, first 2 shown]
	s_delay_alu instid0(VALU_DEP_4) | instskip(NEXT) | instid1(VALU_DEP_4)
	v_dual_fmac_f32 v70, 0x80000000, v96 :: v_dual_fmac_f32 v71, 0, v95
	v_dual_fmac_f32 v68, v0, v96 :: v_dual_fmac_f32 v73, 0, v95
	s_delay_alu instid0(VALU_DEP_4) | instskip(NEXT) | instid1(VALU_DEP_4)
	v_dual_fmac_f32 v72, 0x80000000, v96 :: v_dual_fmac_f32 v69, v3, v95
	v_dual_fmac_f32 v74, 0x80000000, v96 :: v_dual_fmac_f32 v75, 0, v95
	s_delay_alu instid0(VALU_DEP_4) | instskip(NEXT) | instid1(VALU_DEP_4)
	v_fmac_f32_e32 v71, v1, v96
	v_fmac_f32_e32 v73, v2, v96
	s_delay_alu instid0(VALU_DEP_4) | instskip(NEXT) | instid1(VALU_DEP_4)
	v_fmac_f32_e32 v69, 0x80000000, v96
	v_fmac_f32_e32 v75, v3, v96
	s_and_not1_b32 exec_lo, exec_lo, s6
	s_cbranch_execnz .LBB123_39
; %bb.40:
	s_or_b32 exec_lo, exec_lo, s6
.LBB123_41:
	s_delay_alu instid0(SALU_CYCLE_1)
	s_or_b32 exec_lo, exec_lo, s2
.LBB123_42:
	s_delay_alu instid0(SALU_CYCLE_1)
	s_or_b32 exec_lo, exec_lo, s3
.LBB123_43:
	v_mbcnt_lo_u32_b32 v0, -1, 0
	s_delay_alu instid0(VALU_DEP_1) | instskip(SKIP_2) | instid1(VALU_DEP_3)
	v_xor_b32_e32 v1, 16, v0
	v_xor_b32_e32 v9, 8, v0
	;; [unrolled: 1-line block ×3, first 2 shown]
	v_cmp_gt_i32_e32 vcc_lo, 32, v1
	v_cndmask_b32_e32 v1, v0, v1, vcc_lo
	s_delay_alu instid0(VALU_DEP_4) | instskip(NEXT) | instid1(VALU_DEP_2)
	v_cmp_gt_i32_e32 vcc_lo, 32, v9
	v_lshlrev_b32_e32 v1, 2, v1
	ds_bpermute_b32 v4, v1, v72
	s_waitcnt lgkmcnt(0)
	v_add_f32_e32 v4, v72, v4
	ds_bpermute_b32 v2, v1, v70
	ds_bpermute_b32 v6, v1, v74
	;; [unrolled: 1-line block ×3, first 2 shown]
	v_cndmask_b32_e32 v9, v0, v9, vcc_lo
	ds_bpermute_b32 v3, v1, v68
	ds_bpermute_b32 v5, v1, v71
	;; [unrolled: 1-line block ×4, first 2 shown]
	v_cmp_gt_i32_e32 vcc_lo, 32, v17
	s_waitcnt lgkmcnt(6)
	v_dual_cndmask_b32 v17, v0, v17 :: v_dual_add_f32 v2, v70, v2
	s_waitcnt lgkmcnt(5)
	v_dual_add_f32 v6, v74, v6 :: v_dual_lshlrev_b32 v9, 2, v9
	s_waitcnt lgkmcnt(4)
	v_add_f32_e32 v8, v69, v8
	ds_bpermute_b32 v10, v9, v2
	s_waitcnt lgkmcnt(4)
	v_add_f32_e32 v3, v68, v3
	ds_bpermute_b32 v12, v9, v4
	ds_bpermute_b32 v14, v9, v6
	;; [unrolled: 1-line block ×3, first 2 shown]
	s_waitcnt lgkmcnt(6)
	v_add_f32_e32 v5, v71, v5
	s_waitcnt lgkmcnt(5)
	v_add_f32_e32 v7, v73, v7
	s_waitcnt lgkmcnt(3)
	v_dual_add_f32 v1, v75, v1 :: v_dual_add_f32 v2, v2, v10
	ds_bpermute_b32 v11, v9, v3
	s_waitcnt lgkmcnt(3)
	v_dual_add_f32 v4, v4, v12 :: v_dual_lshlrev_b32 v17, 2, v17
	ds_bpermute_b32 v13, v9, v5
	s_waitcnt lgkmcnt(3)
	v_add_f32_e32 v6, v6, v14
	ds_bpermute_b32 v15, v9, v7
	s_waitcnt lgkmcnt(3)
	v_add_f32_e32 v8, v8, v16
	;; [unrolled: 3-line block ×4, first 2 shown]
	s_waitcnt lgkmcnt(0)
	v_dual_add_f32 v4, v4, v11 :: v_dual_add_f32 v1, v1, v9
	ds_bpermute_b32 v9, v17, v2
	ds_bpermute_b32 v15, v17, v8
	v_add_f32_e32 v5, v5, v13
	ds_bpermute_b32 v13, v17, v6
	ds_bpermute_b32 v16, v17, v1
	s_waitcnt lgkmcnt(3)
	v_add_f32_e32 v2, v2, v9
	s_waitcnt lgkmcnt(2)
	v_add_f32_e32 v8, v8, v15
	ds_bpermute_b32 v10, v17, v3
	ds_bpermute_b32 v12, v17, v5
	s_waitcnt lgkmcnt(3)
	v_add_f32_e32 v6, v6, v13
	ds_bpermute_b32 v14, v17, v7
	v_xor_b32_e32 v17, 2, v0
	s_waitcnt lgkmcnt(3)
	v_add_f32_e32 v9, v1, v16
	s_delay_alu instid0(VALU_DEP_2) | instskip(SKIP_1) | instid1(VALU_DEP_1)
	v_cmp_gt_i32_e32 vcc_lo, 32, v17
	v_cndmask_b32_e32 v17, v0, v17, vcc_lo
	v_lshlrev_b32_e32 v17, 2, v17
	s_waitcnt lgkmcnt(2)
	v_add_f32_e32 v3, v3, v10
	ds_bpermute_b32 v1, v17, v2
	s_waitcnt lgkmcnt(2)
	v_add_f32_e32 v5, v5, v12
	ds_bpermute_b32 v13, v17, v6
	;; [unrolled: 3-line block ×3, first 2 shown]
	ds_bpermute_b32 v11, v17, v4
	ds_bpermute_b32 v12, v17, v5
	;; [unrolled: 1-line block ×5, first 2 shown]
	v_xor_b32_e32 v17, 1, v0
	s_delay_alu instid0(VALU_DEP_1) | instskip(SKIP_3) | instid1(VALU_DEP_2)
	v_cmp_gt_i32_e32 vcc_lo, 32, v17
	v_cndmask_b32_e32 v0, v0, v17, vcc_lo
	v_cmp_eq_u32_e32 vcc_lo, 31, v67
	s_waitcnt lgkmcnt(7)
	v_dual_add_f32 v0, v2, v1 :: v_dual_lshlrev_b32 v17, 2, v0
	s_waitcnt lgkmcnt(4)
	v_dual_add_f32 v1, v3, v10 :: v_dual_add_f32 v2, v4, v11
	s_waitcnt lgkmcnt(3)
	v_dual_add_f32 v4, v6, v13 :: v_dual_add_f32 v3, v5, v12
	;; [unrolled: 2-line block ×3, first 2 shown]
	s_waitcnt lgkmcnt(0)
	v_add_f32_e32 v7, v9, v16
	ds_bpermute_b32 v8, v17, v0
	ds_bpermute_b32 v9, v17, v1
	;; [unrolled: 1-line block ×8, first 2 shown]
	s_and_b32 exec_lo, exec_lo, vcc_lo
	s_cbranch_execz .LBB123_13
; %bb.44:
	s_load_b64 s[2:3], s[0:1], 0x50
	s_waitcnt lgkmcnt(0)
	v_add_f32_e32 v8, v0, v8
	v_dual_add_f32 v0, v1, v9 :: v_dual_add_f32 v1, v3, v11
	v_dual_add_f32 v9, v2, v10 :: v_dual_add_f32 v2, v5, v13
	;; [unrolled: 1-line block ×3, first 2 shown]
	v_add_f32_e32 v11, v6, v14
	s_delay_alu instid0(VALU_DEP_4)
	v_mul_f32_e64 v4, v0, -v66
	v_mul_f32_e32 v5, v0, v65
	v_mul_f32_e64 v6, v1, -v66
	v_mul_f32_e32 v7, v1, v65
	;; [unrolled: 2-line block ×4, first 2 shown]
	v_cmp_eq_f32_e32 vcc_lo, 0, v63
	v_cmp_eq_f32_e64 s0, 0, v64
	v_fmac_f32_e32 v4, v65, v8
	v_dual_fmac_f32 v2, v65, v11 :: v_dual_fmac_f32 v5, v66, v8
	v_fmac_f32_e32 v6, v65, v9
	v_dual_fmac_f32 v7, v66, v9 :: v_dual_lshlrev_b32 v8, 2, v56
	v_fmac_f32_e32 v0, v65, v10
	v_fmac_f32_e32 v1, v66, v10
	;; [unrolled: 1-line block ×3, first 2 shown]
	s_and_b32 s0, vcc_lo, s0
	s_delay_alu instid0(SALU_CYCLE_1) | instskip(NEXT) | instid1(SALU_CYCLE_1)
	s_and_saveexec_b32 s1, s0
	s_xor_b32 s0, exec_lo, s1
; %bb.45:
	v_ashrrev_i32_e32 v9, 31, v8
                                        ; implicit-def: $vgpr63
                                        ; implicit-def: $vgpr64
	s_delay_alu instid0(VALU_DEP_1) | instskip(NEXT) | instid1(VALU_DEP_1)
	v_lshlrev_b64 v[8:9], 3, v[8:9]
	v_add_co_u32 v8, vcc_lo, s2, v8
	s_delay_alu instid0(VALU_DEP_2)
	v_add_co_ci_u32_e32 v9, vcc_lo, s3, v9, vcc_lo
	s_clause 0x1
	global_store_b128 v[8:9], v[4:7], off
	global_store_b128 v[8:9], v[0:3], off offset:16
                                        ; implicit-def: $vgpr4
                                        ; implicit-def: $vgpr8
                                        ; implicit-def: $vgpr0
; %bb.46:
	s_and_not1_saveexec_b32 s0, s0
	s_cbranch_execz .LBB123_13
; %bb.47:
	v_ashrrev_i32_e32 v9, 31, v8
	s_delay_alu instid0(VALU_DEP_1) | instskip(NEXT) | instid1(VALU_DEP_1)
	v_lshlrev_b64 v[8:9], 3, v[8:9]
	v_add_co_u32 v16, vcc_lo, s2, v8
	s_delay_alu instid0(VALU_DEP_2)
	v_add_co_ci_u32_e32 v17, vcc_lo, s3, v9, vcc_lo
	s_clause 0x1
	global_load_b128 v[8:11], v[16:17], off
	global_load_b128 v[12:15], v[16:17], off offset:16
	s_waitcnt vmcnt(1)
	v_dual_fmac_f32 v4, v63, v8 :: v_dual_fmac_f32 v7, v64, v10
	v_dual_fmac_f32 v5, v64, v8 :: v_dual_fmac_f32 v6, v63, v10
	s_waitcnt vmcnt(0)
	v_dual_fmac_f32 v0, v63, v12 :: v_dual_fmac_f32 v3, v64, v14
	v_dual_fmac_f32 v1, v64, v12 :: v_dual_fmac_f32 v2, v63, v14
	v_fma_f32 v4, -v64, v9, v4
	v_fmac_f32_e32 v5, v63, v9
	v_fma_f32 v6, -v64, v11, v6
	v_fmac_f32_e32 v7, v63, v11
	;; [unrolled: 2-line block ×4, first 2 shown]
	s_clause 0x1
	global_store_b128 v[16:17], v[4:7], off
	global_store_b128 v[16:17], v[0:3], off offset:16
	s_nop 0
	s_sendmsg sendmsg(MSG_DEALLOC_VGPRS)
	s_endpgm
	.section	.rodata,"a",@progbits
	.p2align	6, 0x0
	.amdhsa_kernel _ZN9rocsparseL18bsrxmvn_4x4_kernelILj128ELj32E21rocsparse_complex_numIfEiifS2_S2_EEvT3_20rocsparse_direction_NS_24const_host_device_scalarIT1_EES3_PKS3_PKT2_SC_S9_PKT4_PKT5_S7_PT6_21rocsparse_index_base_b
		.amdhsa_group_segment_fixed_size 0
		.amdhsa_private_segment_fixed_size 0
		.amdhsa_kernarg_size 96
		.amdhsa_user_sgpr_count 15
		.amdhsa_user_sgpr_dispatch_ptr 0
		.amdhsa_user_sgpr_queue_ptr 0
		.amdhsa_user_sgpr_kernarg_segment_ptr 1
		.amdhsa_user_sgpr_dispatch_id 0
		.amdhsa_user_sgpr_private_segment_size 0
		.amdhsa_wavefront_size32 1
		.amdhsa_uses_dynamic_stack 0
		.amdhsa_enable_private_segment 0
		.amdhsa_system_sgpr_workgroup_id_x 1
		.amdhsa_system_sgpr_workgroup_id_y 0
		.amdhsa_system_sgpr_workgroup_id_z 0
		.amdhsa_system_sgpr_workgroup_info 0
		.amdhsa_system_vgpr_workitem_id 0
		.amdhsa_next_free_vgpr 125
		.amdhsa_next_free_sgpr 16
		.amdhsa_reserve_vcc 1
		.amdhsa_float_round_mode_32 0
		.amdhsa_float_round_mode_16_64 0
		.amdhsa_float_denorm_mode_32 3
		.amdhsa_float_denorm_mode_16_64 3
		.amdhsa_dx10_clamp 1
		.amdhsa_ieee_mode 1
		.amdhsa_fp16_overflow 0
		.amdhsa_workgroup_processor_mode 1
		.amdhsa_memory_ordered 1
		.amdhsa_forward_progress 0
		.amdhsa_shared_vgpr_count 0
		.amdhsa_exception_fp_ieee_invalid_op 0
		.amdhsa_exception_fp_denorm_src 0
		.amdhsa_exception_fp_ieee_div_zero 0
		.amdhsa_exception_fp_ieee_overflow 0
		.amdhsa_exception_fp_ieee_underflow 0
		.amdhsa_exception_fp_ieee_inexact 0
		.amdhsa_exception_int_div_zero 0
	.end_amdhsa_kernel
	.section	.text._ZN9rocsparseL18bsrxmvn_4x4_kernelILj128ELj32E21rocsparse_complex_numIfEiifS2_S2_EEvT3_20rocsparse_direction_NS_24const_host_device_scalarIT1_EES3_PKS3_PKT2_SC_S9_PKT4_PKT5_S7_PT6_21rocsparse_index_base_b,"axG",@progbits,_ZN9rocsparseL18bsrxmvn_4x4_kernelILj128ELj32E21rocsparse_complex_numIfEiifS2_S2_EEvT3_20rocsparse_direction_NS_24const_host_device_scalarIT1_EES3_PKS3_PKT2_SC_S9_PKT4_PKT5_S7_PT6_21rocsparse_index_base_b,comdat
.Lfunc_end123:
	.size	_ZN9rocsparseL18bsrxmvn_4x4_kernelILj128ELj32E21rocsparse_complex_numIfEiifS2_S2_EEvT3_20rocsparse_direction_NS_24const_host_device_scalarIT1_EES3_PKS3_PKT2_SC_S9_PKT4_PKT5_S7_PT6_21rocsparse_index_base_b, .Lfunc_end123-_ZN9rocsparseL18bsrxmvn_4x4_kernelILj128ELj32E21rocsparse_complex_numIfEiifS2_S2_EEvT3_20rocsparse_direction_NS_24const_host_device_scalarIT1_EES3_PKS3_PKT2_SC_S9_PKT4_PKT5_S7_PT6_21rocsparse_index_base_b
                                        ; -- End function
	.section	.AMDGPU.csdata,"",@progbits
; Kernel info:
; codeLenInByte = 7356
; NumSgprs: 18
; NumVgprs: 125
; ScratchSize: 0
; MemoryBound: 0
; FloatMode: 240
; IeeeMode: 1
; LDSByteSize: 0 bytes/workgroup (compile time only)
; SGPRBlocks: 2
; VGPRBlocks: 15
; NumSGPRsForWavesPerEU: 18
; NumVGPRsForWavesPerEU: 125
; Occupancy: 10
; WaveLimiterHint : 1
; COMPUTE_PGM_RSRC2:SCRATCH_EN: 0
; COMPUTE_PGM_RSRC2:USER_SGPR: 15
; COMPUTE_PGM_RSRC2:TRAP_HANDLER: 0
; COMPUTE_PGM_RSRC2:TGID_X_EN: 1
; COMPUTE_PGM_RSRC2:TGID_Y_EN: 0
; COMPUTE_PGM_RSRC2:TGID_Z_EN: 0
; COMPUTE_PGM_RSRC2:TIDIG_COMP_CNT: 0
	.section	.text._ZN9rocsparseL18bsrxmvn_4x4_kernelILj128ELj64E21rocsparse_complex_numIfEiifS2_S2_EEvT3_20rocsparse_direction_NS_24const_host_device_scalarIT1_EES3_PKS3_PKT2_SC_S9_PKT4_PKT5_S7_PT6_21rocsparse_index_base_b,"axG",@progbits,_ZN9rocsparseL18bsrxmvn_4x4_kernelILj128ELj64E21rocsparse_complex_numIfEiifS2_S2_EEvT3_20rocsparse_direction_NS_24const_host_device_scalarIT1_EES3_PKS3_PKT2_SC_S9_PKT4_PKT5_S7_PT6_21rocsparse_index_base_b,comdat
	.globl	_ZN9rocsparseL18bsrxmvn_4x4_kernelILj128ELj64E21rocsparse_complex_numIfEiifS2_S2_EEvT3_20rocsparse_direction_NS_24const_host_device_scalarIT1_EES3_PKS3_PKT2_SC_S9_PKT4_PKT5_S7_PT6_21rocsparse_index_base_b ; -- Begin function _ZN9rocsparseL18bsrxmvn_4x4_kernelILj128ELj64E21rocsparse_complex_numIfEiifS2_S2_EEvT3_20rocsparse_direction_NS_24const_host_device_scalarIT1_EES3_PKS3_PKT2_SC_S9_PKT4_PKT5_S7_PT6_21rocsparse_index_base_b
	.p2align	8
	.type	_ZN9rocsparseL18bsrxmvn_4x4_kernelILj128ELj64E21rocsparse_complex_numIfEiifS2_S2_EEvT3_20rocsparse_direction_NS_24const_host_device_scalarIT1_EES3_PKS3_PKT2_SC_S9_PKT4_PKT5_S7_PT6_21rocsparse_index_base_b,@function
_ZN9rocsparseL18bsrxmvn_4x4_kernelILj128ELj64E21rocsparse_complex_numIfEiifS2_S2_EEvT3_20rocsparse_direction_NS_24const_host_device_scalarIT1_EES3_PKS3_PKT2_SC_S9_PKT4_PKT5_S7_PT6_21rocsparse_index_base_b: ; @_ZN9rocsparseL18bsrxmvn_4x4_kernelILj128ELj64E21rocsparse_complex_numIfEiifS2_S2_EEvT3_20rocsparse_direction_NS_24const_host_device_scalarIT1_EES3_PKS3_PKT2_SC_S9_PKT4_PKT5_S7_PT6_21rocsparse_index_base_b
; %bb.0:
	s_clause 0x2
	s_load_b64 s[12:13], s[0:1], 0x58
	s_load_b64 s[4:5], s[0:1], 0x8
	;; [unrolled: 1-line block ×3, first 2 shown]
	s_waitcnt lgkmcnt(0)
	s_bitcmp1_b32 s13, 0
	v_mov_b32_e32 v39, s4
	s_cselect_b32 s6, -1, 0
	s_delay_alu instid0(SALU_CYCLE_1)
	s_and_b32 vcc_lo, exec_lo, s6
	s_xor_b32 s6, s6, -1
	s_cbranch_vccz .LBB124_14
; %bb.1:
	v_cndmask_b32_e64 v1, 0, 1, s6
	v_mov_b32_e32 v40, s5
	s_and_not1_b32 vcc_lo, exec_lo, s6
	s_cbranch_vccz .LBB124_15
.LBB124_2:
	s_delay_alu instid0(VALU_DEP_2)
	v_cmp_ne_u32_e32 vcc_lo, 1, v1
	v_mov_b32_e32 v37, s2
	s_cbranch_vccz .LBB124_16
.LBB124_3:
	v_cmp_ne_u32_e32 vcc_lo, 1, v1
	v_mov_b32_e32 v38, s3
	s_cbranch_vccnz .LBB124_5
.LBB124_4:
	v_dual_mov_b32 v1, s2 :: v_dual_mov_b32 v2, s3
	flat_load_b32 v38, v[1:2] offset:4
.LBB124_5:
	s_waitcnt vmcnt(0) lgkmcnt(0)
	v_cmp_eq_f32_e32 vcc_lo, 0, v39
	v_cmp_eq_f32_e64 s2, 0, v40
	s_delay_alu instid0(VALU_DEP_1)
	s_and_b32 s4, vcc_lo, s2
	s_mov_b32 s2, -1
	s_and_saveexec_b32 s3, s4
; %bb.6:
	v_cmp_neq_f32_e32 vcc_lo, 1.0, v37
	v_cmp_neq_f32_e64 s2, 0, v38
	s_delay_alu instid0(VALU_DEP_1) | instskip(NEXT) | instid1(SALU_CYCLE_1)
	s_or_b32 s2, vcc_lo, s2
	s_or_not1_b32 s2, s2, exec_lo
; %bb.7:
	s_or_b32 exec_lo, exec_lo, s3
	s_and_saveexec_b32 s3, s2
	s_cbranch_execz .LBB124_13
; %bb.8:
	s_clause 0x1
	s_load_b64 s[4:5], s[0:1], 0x18
	s_load_b64 s[2:3], s[0:1], 0x0
	v_lshrrev_b32_e32 v1, 6, v0
	s_delay_alu instid0(VALU_DEP_1)
	v_lshl_or_b32 v32, s15, 1, v1
	s_waitcnt lgkmcnt(0)
	s_cmp_lg_u64 s[4:5], 0
	s_cbranch_scc0 .LBB124_17
; %bb.9:
	s_load_b32 s6, s[0:1], 0x10
	s_mov_b32 s7, 0
                                        ; implicit-def: $vgpr1
	s_waitcnt lgkmcnt(0)
	v_cmp_gt_i32_e32 vcc_lo, s6, v32
	s_mov_b32 s6, 0
	s_and_saveexec_b32 s8, vcc_lo
	s_delay_alu instid0(SALU_CYCLE_1)
	s_xor_b32 s8, exec_lo, s8
	s_cbranch_execz .LBB124_11
; %bb.10:
	v_ashrrev_i32_e32 v33, 31, v32
	s_mov_b32 s6, exec_lo
	s_delay_alu instid0(VALU_DEP_1) | instskip(NEXT) | instid1(VALU_DEP_1)
	v_lshlrev_b64 v[1:2], 2, v[32:33]
	v_add_co_u32 v1, vcc_lo, s4, v1
	s_delay_alu instid0(VALU_DEP_2)
	v_add_co_ci_u32_e32 v2, vcc_lo, s5, v2, vcc_lo
	global_load_b32 v1, v[1:2], off
	s_waitcnt vmcnt(0)
	v_subrev_nc_u32_e32 v1, s12, v1
.LBB124_11:
	s_or_b32 exec_lo, exec_lo, s8
	s_delay_alu instid0(SALU_CYCLE_1)
	s_and_b32 vcc_lo, exec_lo, s7
	s_cbranch_vccz .LBB124_18
.LBB124_12:
	v_cmp_gt_i32_e32 vcc_lo, s2, v32
	s_and_not1_b32 s2, s6, exec_lo
	s_and_b32 s4, vcc_lo, exec_lo
	s_delay_alu instid0(SALU_CYCLE_1) | instskip(NEXT) | instid1(SALU_CYCLE_1)
	s_or_b32 s6, s2, s4
	s_and_b32 exec_lo, exec_lo, s6
	s_cbranch_execnz .LBB124_19
.LBB124_13:
	s_nop 0
	s_sendmsg sendmsg(MSG_DEALLOC_VGPRS)
	s_endpgm
.LBB124_14:
	v_dual_mov_b32 v1, s4 :: v_dual_mov_b32 v2, s5
	flat_load_b32 v39, v[1:2]
	v_cndmask_b32_e64 v1, 0, 1, s6
	v_mov_b32_e32 v40, s5
	s_and_not1_b32 vcc_lo, exec_lo, s6
	s_cbranch_vccnz .LBB124_2
.LBB124_15:
	v_dual_mov_b32 v2, s4 :: v_dual_mov_b32 v3, s5
	flat_load_b32 v40, v[2:3] offset:4
	v_cmp_ne_u32_e32 vcc_lo, 1, v1
	v_mov_b32_e32 v37, s2
	s_cbranch_vccnz .LBB124_3
.LBB124_16:
	v_dual_mov_b32 v2, s2 :: v_dual_mov_b32 v3, s3
	flat_load_b32 v37, v[2:3]
	v_cmp_ne_u32_e32 vcc_lo, 1, v1
	v_mov_b32_e32 v38, s3
	s_cbranch_vccz .LBB124_4
	s_branch .LBB124_5
.LBB124_17:
	s_mov_b32 s6, 0
                                        ; implicit-def: $vgpr1
	s_cbranch_execnz .LBB124_12
.LBB124_18:
	s_delay_alu instid0(VALU_DEP_1)
	v_mov_b32_e32 v32, v1
	s_and_b32 exec_lo, exec_lo, s6
	s_cbranch_execz .LBB124_13
.LBB124_19:
	s_load_b256 s[4:11], s[0:1], 0x20
	s_delay_alu instid0(VALU_DEP_1) | instskip(SKIP_1) | instid1(VALU_DEP_2)
	v_ashrrev_i32_e32 v33, 31, v32
	v_and_b32_e32 v41, 63, v0
	v_lshlrev_b64 v[1:2], 2, v[32:33]
	s_waitcnt lgkmcnt(0)
	s_delay_alu instid0(VALU_DEP_1) | instskip(NEXT) | instid1(VALU_DEP_2)
	v_add_co_u32 v3, vcc_lo, s4, v1
	v_add_co_ci_u32_e32 v4, vcc_lo, s5, v2, vcc_lo
	v_add_co_u32 v1, vcc_lo, s6, v1
	v_add_co_ci_u32_e32 v2, vcc_lo, s7, v2, vcc_lo
	global_load_b32 v20, v[3:4], off
	v_add_co_u32 v3, vcc_lo, v3, 4
	v_add_co_ci_u32_e32 v4, vcc_lo, 0, v4, vcc_lo
	s_cmp_eq_u64 s[6:7], 0
	s_load_b64 s[4:5], s[0:1], 0x40
	s_cselect_b32 vcc_lo, -1, 0
	s_cmp_eq_u32 s3, 1
	v_dual_cndmask_b32 v2, v2, v4 :: v_dual_cndmask_b32 v1, v1, v3
	global_load_b32 v2, v[1:2], off
	s_waitcnt vmcnt(1)
	v_subrev_nc_u32_e32 v0, s12, v20
	s_delay_alu instid0(VALU_DEP_1) | instskip(NEXT) | instid1(VALU_DEP_1)
	v_add_nc_u32_e32 v33, v0, v41
	v_ashrrev_i32_e32 v34, 31, v33
	s_waitcnt vmcnt(0)
	v_subrev_nc_u32_e32 v50, s12, v2
	s_delay_alu instid0(VALU_DEP_2) | instskip(NEXT) | instid1(VALU_DEP_2)
	v_lshlrev_b64 v[0:1], 6, v[33:34]
	v_cmp_lt_i32_e64 s2, v33, v50
	s_delay_alu instid0(VALU_DEP_2) | instskip(NEXT) | instid1(VALU_DEP_3)
	v_add_co_u32 v35, vcc_lo, s10, v0
	v_add_co_ci_u32_e32 v36, vcc_lo, s11, v1, vcc_lo
	s_cbranch_scc1 .LBB124_31
; %bb.20:
	v_dual_mov_b32 v42, 0 :: v_dual_mov_b32 v45, 0
	v_dual_mov_b32 v44, 0 :: v_dual_mov_b32 v47, 0
	;; [unrolled: 1-line block ×4, first 2 shown]
	s_mov_b32 s3, 0
	s_and_saveexec_b32 s6, s2
	s_cbranch_execz .LBB124_30
; %bb.21:
	v_dual_mov_b32 v43, 0 :: v_dual_add_nc_u32 v0, v20, v41
	v_not_b32_e32 v1, v20
	v_dual_mov_b32 v47, 0 :: v_dual_mov_b32 v46, 0
	s_delay_alu instid0(VALU_DEP_3) | instskip(SKIP_2) | instid1(VALU_DEP_3)
	v_subrev_nc_u32_e32 v0, s12, v0
	v_dual_mov_b32 v45, 0 :: v_dual_mov_b32 v42, 0
	v_dual_mov_b32 v16, v35 :: v_dual_mov_b32 v17, v36
	v_dual_mov_b32 v49, 0 :: v_dual_add_nc_u32 v0, 64, v0
	v_mov_b32_e32 v18, v33
	s_mov_b32 s10, 0
	s_mov_b32 s7, exec_lo
	s_delay_alu instid0(VALU_DEP_2) | instskip(SKIP_2) | instid1(VALU_DEP_3)
	v_max_i32_e32 v0, v0, v50
	v_mov_b32_e32 v48, 0
	v_mov_b32_e32 v44, 0
	v_add3_u32 v0, v0, s12, v1
	s_delay_alu instid0(VALU_DEP_1) | instskip(NEXT) | instid1(VALU_DEP_1)
	v_sub_nc_u32_e32 v0, v0, v41
	v_lshrrev_b32_e32 v1, 6, v0
	s_delay_alu instid0(VALU_DEP_1) | instskip(NEXT) | instid1(VALU_DEP_1)
	v_add_nc_u32_e32 v1, 1, v1
	v_and_b32_e32 v1, 3, v1
	s_delay_alu instid0(VALU_DEP_1)
	v_cmpx_ne_u32_e32 0, v1
	s_cbranch_execz .LBB124_25
; %bb.22:
	v_dual_mov_b32 v16, v35 :: v_dual_mov_b32 v45, 0
	v_dual_mov_b32 v42, 0 :: v_dual_lshlrev_b32 v1, 6, v1
	v_dual_mov_b32 v18, v33 :: v_dual_mov_b32 v17, v36
	v_dual_mov_b32 v44, 0 :: v_dual_mov_b32 v47, 0
	;; [unrolled: 1-line block ×4, first 2 shown]
.LBB124_23:                             ; =>This Inner Loop Header: Depth=1
	s_delay_alu instid0(VALU_DEP_4) | instskip(SKIP_1) | instid1(VALU_DEP_2)
	v_ashrrev_i32_e32 v19, 31, v18
	v_subrev_nc_u32_e32 v1, 64, v1
	v_lshlrev_b64 v[2:3], 2, v[18:19]
	s_delay_alu instid0(VALU_DEP_1) | instskip(NEXT) | instid1(VALU_DEP_2)
	v_add_co_u32 v2, vcc_lo, s8, v2
	v_add_co_ci_u32_e32 v3, vcc_lo, s9, v3, vcc_lo
	global_load_b32 v14, v[2:3], off
	s_clause 0x3
	global_load_b128 v[2:5], v[16:17], off offset:48
	global_load_b128 v[6:9], v[16:17], off offset:32
	;; [unrolled: 1-line block ×3, first 2 shown]
	global_load_b128 v[21:24], v[16:17], off
	s_waitcnt vmcnt(4)
	v_subrev_nc_u32_e32 v14, s12, v14
	s_delay_alu instid0(VALU_DEP_1) | instskip(NEXT) | instid1(VALU_DEP_1)
	v_lshlrev_b32_e32 v14, 2, v14
	v_ashrrev_i32_e32 v15, 31, v14
	s_delay_alu instid0(VALU_DEP_1) | instskip(SKIP_1) | instid1(VALU_DEP_1)
	v_lshlrev_b64 v[14:15], 3, v[14:15]
	s_waitcnt lgkmcnt(0)
	v_add_co_u32 v14, vcc_lo, s4, v14
	s_delay_alu instid0(VALU_DEP_2)
	v_add_co_ci_u32_e32 v15, vcc_lo, s5, v15, vcc_lo
	v_add_co_u32 v16, vcc_lo, 0x1000, v16
	v_add_co_ci_u32_e32 v17, vcc_lo, 0, v17, vcc_lo
	s_clause 0x1
	global_load_b128 v[25:28], v[14:15], off
	global_load_b128 v[51:54], v[14:15], off offset:16
	v_add_nc_u32_e32 v18, 64, v18
	v_cmp_eq_u32_e32 vcc_lo, 0, v1
	s_or_b32 s10, vcc_lo, s10
	s_waitcnt vmcnt(1)
	v_fmac_f32_e32 v47, 0, v25
	v_fmac_f32_e32 v45, 0, v25
	;; [unrolled: 1-line block ×3, first 2 shown]
	s_delay_alu instid0(VALU_DEP_3) | instskip(NEXT) | instid1(VALU_DEP_3)
	v_dual_fmac_f32 v42, 0, v25 :: v_dual_fmac_f32 v47, v6, v26
	v_fmac_f32_e32 v45, v10, v26
	v_fmac_f32_e32 v48, v6, v25
	s_delay_alu instid0(VALU_DEP_4) | instskip(SKIP_3) | instid1(VALU_DEP_4)
	v_dual_fmac_f32 v43, v2, v25 :: v_dual_fmac_f32 v44, 0x80000000, v26
	v_fmac_f32_e32 v46, v10, v25
	v_dual_fmac_f32 v49, 0, v25 :: v_dual_fmac_f32 v42, v21, v26
	v_fmac_f32_e32 v45, 0, v27
	v_fmac_f32_e32 v43, 0x80000000, v26
	s_delay_alu instid0(VALU_DEP_4)
	v_dual_fmac_f32 v46, 0x80000000, v26 :: v_dual_fmac_f32 v47, 0, v27
	v_fmac_f32_e32 v48, 0x80000000, v26
	v_dual_fmac_f32 v49, v2, v26 :: v_dual_fmac_f32 v42, 0, v27
	v_dual_fmac_f32 v44, v22, v27 :: v_dual_fmac_f32 v45, v11, v28
	v_fmac_f32_e32 v43, v3, v27
	v_fmac_f32_e32 v46, v11, v27
	s_delay_alu instid0(VALU_DEP_3) | instskip(SKIP_4) | instid1(VALU_DEP_3)
	v_dual_fmac_f32 v49, 0, v27 :: v_dual_fmac_f32 v44, 0x80000000, v28
	s_waitcnt vmcnt(0)
	v_dual_fmac_f32 v42, v22, v28 :: v_dual_fmac_f32 v45, 0, v51
	v_fmac_f32_e32 v48, v7, v27
	v_fmac_f32_e32 v47, v7, v28
	v_dual_fmac_f32 v43, 0x80000000, v28 :: v_dual_fmac_f32 v42, 0, v51
	v_fmac_f32_e32 v46, 0x80000000, v28
	v_fmac_f32_e32 v45, v12, v52
	s_delay_alu instid0(VALU_DEP_4) | instskip(NEXT) | instid1(VALU_DEP_4)
	v_dual_fmac_f32 v47, 0, v51 :: v_dual_fmac_f32 v48, 0x80000000, v28
	v_fmac_f32_e32 v43, v4, v51
	s_delay_alu instid0(VALU_DEP_4) | instskip(NEXT) | instid1(VALU_DEP_3)
	v_dual_fmac_f32 v49, v3, v28 :: v_dual_fmac_f32 v46, v12, v51
	v_dual_fmac_f32 v44, v23, v51 :: v_dual_fmac_f32 v47, v8, v52
	s_delay_alu instid0(VALU_DEP_3) | instskip(NEXT) | instid1(VALU_DEP_2)
	v_dual_fmac_f32 v48, v8, v51 :: v_dual_fmac_f32 v43, 0x80000000, v52
	v_dual_fmac_f32 v49, 0, v51 :: v_dual_fmac_f32 v44, 0x80000000, v52
	;; [unrolled: 1-line block ×3, first 2 shown]
	s_delay_alu instid0(VALU_DEP_4) | instskip(NEXT) | instid1(VALU_DEP_4)
	v_dual_fmac_f32 v46, 0x80000000, v52 :: v_dual_fmac_f32 v47, 0, v53
	v_dual_fmac_f32 v48, 0x80000000, v52 :: v_dual_fmac_f32 v43, v5, v53
	s_delay_alu instid0(VALU_DEP_3) | instskip(NEXT) | instid1(VALU_DEP_4)
	v_dual_fmac_f32 v49, v4, v52 :: v_dual_fmac_f32 v42, 0, v53
	v_dual_fmac_f32 v44, v24, v53 :: v_dual_fmac_f32 v45, v13, v54
	s_delay_alu instid0(VALU_DEP_3) | instskip(NEXT) | instid1(VALU_DEP_4)
	v_dual_fmac_f32 v46, v13, v53 :: v_dual_fmac_f32 v43, 0x80000000, v54
	v_fmac_f32_e32 v48, v9, v53
	s_delay_alu instid0(VALU_DEP_3) | instskip(SKIP_1) | instid1(VALU_DEP_4)
	v_dual_fmac_f32 v49, 0, v53 :: v_dual_fmac_f32 v44, 0x80000000, v54
	v_fmac_f32_e32 v42, v24, v54
	v_fmac_f32_e32 v46, 0x80000000, v54
	s_delay_alu instid0(VALU_DEP_4)
	v_fmac_f32_e32 v48, 0x80000000, v54
	v_fmac_f32_e32 v47, v9, v54
	;; [unrolled: 1-line block ×3, first 2 shown]
	s_and_not1_b32 exec_lo, exec_lo, s10
	s_cbranch_execnz .LBB124_23
; %bb.24:
	s_or_b32 exec_lo, exec_lo, s10
.LBB124_25:
	s_delay_alu instid0(SALU_CYCLE_1) | instskip(NEXT) | instid1(SALU_CYCLE_1)
	s_or_b32 exec_lo, exec_lo, s7
	s_mov_b32 s7, exec_lo
	v_cmpx_lt_u32_e32 0xbf, v0
	s_cbranch_execz .LBB124_29
; %bb.26:
	s_mov_b32 s10, 0
.LBB124_27:                             ; =>This Inner Loop Header: Depth=1
	v_ashrrev_i32_e32 v19, 31, v18
	s_delay_alu instid0(VALU_DEP_1) | instskip(NEXT) | instid1(VALU_DEP_1)
	v_lshlrev_b64 v[0:1], 2, v[18:19]
	v_add_co_u32 v0, vcc_lo, s8, v0
	s_delay_alu instid0(VALU_DEP_2)
	v_add_co_ci_u32_e32 v1, vcc_lo, s9, v1, vcc_lo
	s_clause 0x3
	global_load_b32 v19, v[0:1], off
	global_load_b32 v29, v[0:1], off offset:256
	global_load_b32 v30, v[0:1], off offset:512
	;; [unrolled: 1-line block ×3, first 2 shown]
	s_clause 0x3
	global_load_b128 v[21:24], v[16:17], off offset:48
	global_load_b128 v[25:28], v[16:17], off offset:32
	;; [unrolled: 1-line block ×3, first 2 shown]
	global_load_b128 v[55:58], v[16:17], off
	v_add_co_u32 v0, vcc_lo, 0x1000, v16
	v_add_co_ci_u32_e32 v1, vcc_lo, 0, v17, vcc_lo
	v_add_co_u32 v2, vcc_lo, v16, 0x2000
	v_add_co_ci_u32_e32 v3, vcc_lo, 0, v17, vcc_lo
	;; [unrolled: 2-line block ×4, first 2 shown]
	s_clause 0xb
	global_load_b128 v[59:62], v[0:1], off offset:48
	global_load_b128 v[63:66], v[0:1], off offset:32
	;; [unrolled: 1-line block ×3, first 2 shown]
	global_load_b128 v[71:74], v[2:3], off offset:-4096
	global_load_b128 v[75:78], v[2:3], off
	global_load_b128 v[79:82], v[4:5], off offset:48
	global_load_b128 v[83:86], v[4:5], off offset:32
	;; [unrolled: 1-line block ×5, first 2 shown]
	global_load_b128 v[12:15], v[8:9], off
	global_load_b128 v[8:11], v[8:9], off offset:16
	s_waitcnt vmcnt(19)
	v_subrev_nc_u32_e32 v19, s12, v19
	s_waitcnt vmcnt(18)
	v_subrev_nc_u32_e32 v34, s12, v29
	;; [unrolled: 2-line block ×4, first 2 shown]
	v_lshlrev_b32_e32 v29, 2, v19
	v_lshlrev_b32_e32 v91, 2, v34
	;; [unrolled: 1-line block ×3, first 2 shown]
	s_delay_alu instid0(VALU_DEP_4) | instskip(NEXT) | instid1(VALU_DEP_4)
	v_lshlrev_b32_e32 v95, 2, v31
	v_ashrrev_i32_e32 v30, 31, v29
	s_delay_alu instid0(VALU_DEP_4) | instskip(NEXT) | instid1(VALU_DEP_4)
	v_ashrrev_i32_e32 v92, 31, v91
	v_ashrrev_i32_e32 v94, 31, v93
	s_delay_alu instid0(VALU_DEP_4) | instskip(NEXT) | instid1(VALU_DEP_4)
	v_ashrrev_i32_e32 v96, 31, v95
	v_lshlrev_b64 v[29:30], 3, v[29:30]
	s_delay_alu instid0(VALU_DEP_4) | instskip(NEXT) | instid1(VALU_DEP_4)
	v_lshlrev_b64 v[91:92], 3, v[91:92]
	v_lshlrev_b64 v[93:94], 3, v[93:94]
	s_delay_alu instid0(VALU_DEP_4) | instskip(SKIP_1) | instid1(VALU_DEP_4)
	v_lshlrev_b64 v[95:96], 3, v[95:96]
	s_waitcnt lgkmcnt(0)
	v_add_co_u32 v29, vcc_lo, s4, v29
	v_add_co_ci_u32_e32 v30, vcc_lo, s5, v30, vcc_lo
	v_add_co_u32 v103, vcc_lo, s4, v91
	v_add_co_ci_u32_e32 v104, vcc_lo, s5, v92, vcc_lo
	;; [unrolled: 2-line block ×4, first 2 shown]
	s_clause 0x7
	global_load_b128 v[91:94], v[29:30], off
	global_load_b128 v[95:98], v[29:30], off offset:16
	global_load_b128 v[99:102], v[103:104], off
	global_load_b128 v[103:106], v[103:104], off offset:16
	;; [unrolled: 2-line block ×4, first 2 shown]
	v_add_nc_u32_e32 v18, 0x100, v18
	v_add_co_u32 v16, vcc_lo, 0x4000, v16
	v_add_co_ci_u32_e32 v17, vcc_lo, 0, v17, vcc_lo
	s_waitcnt vmcnt(7)
	v_fmac_f32_e32 v45, 0, v91
	v_fmac_f32_e32 v44, v55, v91
	;; [unrolled: 1-line block ×3, first 2 shown]
	v_cmp_ge_i32_e32 vcc_lo, v18, v50
	s_delay_alu instid0(VALU_DEP_4) | instskip(NEXT) | instid1(VALU_DEP_4)
	v_fmac_f32_e32 v45, v51, v92
	v_dual_fmac_f32 v44, 0x80000000, v92 :: v_dual_fmac_f32 v43, v21, v91
	s_delay_alu instid0(VALU_DEP_4) | instskip(SKIP_1) | instid1(VALU_DEP_2)
	v_dual_fmac_f32 v42, v55, v92 :: v_dual_fmac_f32 v49, 0, v91
	s_or_b32 s10, vcc_lo, s10
	v_fmac_f32_e32 v44, v56, v93
	s_delay_alu instid0(VALU_DEP_3) | instskip(NEXT) | instid1(VALU_DEP_3)
	v_dual_fmac_f32 v48, v25, v91 :: v_dual_fmac_f32 v43, 0x80000000, v92
	v_dual_fmac_f32 v47, 0, v91 :: v_dual_fmac_f32 v42, 0, v93
	s_delay_alu instid0(VALU_DEP_3) | instskip(NEXT) | instid1(VALU_DEP_3)
	v_dual_fmac_f32 v45, 0, v93 :: v_dual_fmac_f32 v44, 0x80000000, v94
	v_fmac_f32_e32 v48, 0x80000000, v92
	s_delay_alu instid0(VALU_DEP_3) | instskip(NEXT) | instid1(VALU_DEP_4)
	v_dual_fmac_f32 v46, v51, v91 :: v_dual_fmac_f32 v47, v25, v92
	v_fmac_f32_e32 v42, v56, v94
	s_delay_alu instid0(VALU_DEP_3) | instskip(NEXT) | instid1(VALU_DEP_3)
	v_dual_fmac_f32 v45, v52, v94 :: v_dual_fmac_f32 v48, v26, v93
	v_fmac_f32_e32 v46, 0x80000000, v92
	v_fmac_f32_e32 v49, v21, v92
	s_waitcnt vmcnt(6)
	v_dual_fmac_f32 v47, 0, v93 :: v_dual_fmac_f32 v44, v57, v95
	v_fmac_f32_e32 v48, 0x80000000, v94
	v_fmac_f32_e32 v46, v52, v93
	;; [unrolled: 1-line block ×4, first 2 shown]
	v_dual_fmac_f32 v47, v26, v94 :: v_dual_fmac_f32 v42, 0, v95
	s_delay_alu instid0(VALU_DEP_4) | instskip(NEXT) | instid1(VALU_DEP_4)
	v_fmac_f32_e32 v46, 0x80000000, v94
	v_fmac_f32_e32 v43, 0x80000000, v94
	s_delay_alu instid0(VALU_DEP_4) | instskip(SKIP_1) | instid1(VALU_DEP_4)
	v_fmac_f32_e32 v49, v22, v94
	v_dual_fmac_f32 v45, 0, v95 :: v_dual_fmac_f32 v44, 0x80000000, v96
	v_fmac_f32_e32 v46, v53, v95
	s_delay_alu instid0(VALU_DEP_4) | instskip(NEXT) | instid1(VALU_DEP_3)
	v_fmac_f32_e32 v43, v23, v95
	v_dual_fmac_f32 v48, v27, v95 :: v_dual_fmac_f32 v45, v53, v96
	v_dual_fmac_f32 v47, 0, v95 :: v_dual_fmac_f32 v42, v57, v96
	s_delay_alu instid0(VALU_DEP_2) | instskip(SKIP_1) | instid1(VALU_DEP_3)
	v_dual_fmac_f32 v49, 0, v95 :: v_dual_fmac_f32 v48, 0x80000000, v96
	v_fmac_f32_e32 v46, 0x80000000, v96
	v_dual_fmac_f32 v43, 0x80000000, v96 :: v_dual_fmac_f32 v42, 0, v97
	s_delay_alu instid0(VALU_DEP_4) | instskip(NEXT) | instid1(VALU_DEP_3)
	v_dual_fmac_f32 v47, v27, v96 :: v_dual_fmac_f32 v44, v58, v97
	v_dual_fmac_f32 v49, v23, v96 :: v_dual_fmac_f32 v46, v54, v97
	v_fmac_f32_e32 v45, 0, v97
	s_delay_alu instid0(VALU_DEP_4) | instskip(NEXT) | instid1(VALU_DEP_4)
	v_fmac_f32_e32 v43, v24, v97
	v_dual_fmac_f32 v47, 0, v97 :: v_dual_fmac_f32 v42, v58, v98
	v_fmac_f32_e32 v44, 0x80000000, v98
	s_delay_alu instid0(VALU_DEP_4) | instskip(SKIP_3) | instid1(VALU_DEP_3)
	v_dual_fmac_f32 v48, v28, v97 :: v_dual_fmac_f32 v45, v54, v98
	v_dual_fmac_f32 v49, 0, v97 :: v_dual_fmac_f32 v46, 0x80000000, v98
	s_waitcnt vmcnt(5)
	v_dual_fmac_f32 v43, 0x80000000, v98 :: v_dual_fmac_f32 v42, 0, v99
	v_fmac_f32_e32 v48, 0x80000000, v98
	v_dual_fmac_f32 v47, v28, v98 :: v_dual_fmac_f32 v44, v71, v99
	v_dual_fmac_f32 v49, v24, v98 :: v_dual_fmac_f32 v46, v67, v99
	s_delay_alu instid0(VALU_DEP_4) | instskip(NEXT) | instid1(VALU_DEP_3)
	v_fmac_f32_e32 v43, v59, v99
	v_dual_fmac_f32 v45, 0, v99 :: v_dual_fmac_f32 v44, 0x80000000, v100
	s_delay_alu instid0(VALU_DEP_4) | instskip(NEXT) | instid1(VALU_DEP_4)
	v_dual_fmac_f32 v47, 0, v99 :: v_dual_fmac_f32 v42, v71, v100
	v_fmac_f32_e32 v46, 0x80000000, v100
	s_delay_alu instid0(VALU_DEP_4) | instskip(SKIP_2) | instid1(VALU_DEP_3)
	v_dual_fmac_f32 v48, v63, v99 :: v_dual_fmac_f32 v43, 0x80000000, v100
	v_fmac_f32_e32 v49, 0, v99
	v_dual_fmac_f32 v45, v67, v100 :: v_dual_fmac_f32 v44, v72, v101
	v_fmac_f32_e32 v48, 0x80000000, v100
	v_dual_fmac_f32 v47, v63, v100 :: v_dual_fmac_f32 v42, 0, v101
	s_delay_alu instid0(VALU_DEP_4) | instskip(SKIP_2) | instid1(VALU_DEP_4)
	v_dual_fmac_f32 v49, v59, v100 :: v_dual_fmac_f32 v46, v68, v101
	v_fmac_f32_e32 v43, v60, v101
	v_dual_fmac_f32 v45, 0, v101 :: v_dual_fmac_f32 v44, 0x80000000, v102
	v_dual_fmac_f32 v47, 0, v101 :: v_dual_fmac_f32 v42, v72, v102
	s_delay_alu instid0(VALU_DEP_4) | instskip(NEXT) | instid1(VALU_DEP_4)
	v_fmac_f32_e32 v46, 0x80000000, v102
	v_dual_fmac_f32 v48, v64, v101 :: v_dual_fmac_f32 v43, 0x80000000, v102
	v_fmac_f32_e32 v49, 0, v101
	s_waitcnt vmcnt(4)
	v_dual_fmac_f32 v45, v68, v102 :: v_dual_fmac_f32 v44, v73, v103
	s_delay_alu instid0(VALU_DEP_3) | instskip(SKIP_4) | instid1(VALU_DEP_4)
	v_fmac_f32_e32 v48, 0x80000000, v102
	v_dual_fmac_f32 v47, v64, v102 :: v_dual_fmac_f32 v42, 0, v103
	v_dual_fmac_f32 v49, v60, v102 :: v_dual_fmac_f32 v46, v69, v103
	v_fmac_f32_e32 v43, v61, v103
	v_dual_fmac_f32 v45, 0, v103 :: v_dual_fmac_f32 v44, 0x80000000, v104
	v_dual_fmac_f32 v47, 0, v103 :: v_dual_fmac_f32 v42, v73, v104
	s_delay_alu instid0(VALU_DEP_4) | instskip(NEXT) | instid1(VALU_DEP_4)
	v_fmac_f32_e32 v46, 0x80000000, v104
	v_dual_fmac_f32 v48, v65, v103 :: v_dual_fmac_f32 v43, 0x80000000, v104
	v_fmac_f32_e32 v49, 0, v103
	v_dual_fmac_f32 v45, v69, v104 :: v_dual_fmac_f32 v44, v74, v105
	s_delay_alu instid0(VALU_DEP_3) | instskip(SKIP_1) | instid1(VALU_DEP_4)
	v_fmac_f32_e32 v48, 0x80000000, v104
	v_dual_fmac_f32 v47, v65, v104 :: v_dual_fmac_f32 v42, 0, v105
	v_dual_fmac_f32 v49, v61, v104 :: v_dual_fmac_f32 v46, v70, v105
	v_fmac_f32_e32 v43, v62, v105
	v_dual_fmac_f32 v45, 0, v105 :: v_dual_fmac_f32 v44, 0x80000000, v106
	s_delay_alu instid0(VALU_DEP_4) | instskip(NEXT) | instid1(VALU_DEP_4)
	v_dual_fmac_f32 v47, 0, v105 :: v_dual_fmac_f32 v42, v74, v106
	v_fmac_f32_e32 v46, 0x80000000, v106
	s_delay_alu instid0(VALU_DEP_4) | instskip(SKIP_3) | instid1(VALU_DEP_3)
	v_dual_fmac_f32 v48, v66, v105 :: v_dual_fmac_f32 v43, 0x80000000, v106
	v_fmac_f32_e32 v49, 0, v105
	s_waitcnt vmcnt(3)
	v_dual_fmac_f32 v45, v70, v106 :: v_dual_fmac_f32 v44, v75, v107
	v_fmac_f32_e32 v48, 0x80000000, v106
	v_dual_fmac_f32 v47, v66, v106 :: v_dual_fmac_f32 v42, 0, v107
	v_dual_fmac_f32 v49, v62, v106 :: v_dual_fmac_f32 v46, v87, v107
	v_fmac_f32_e32 v43, v79, v107
	v_dual_fmac_f32 v45, 0, v107 :: v_dual_fmac_f32 v44, 0x80000000, v108
	s_delay_alu instid0(VALU_DEP_4) | instskip(NEXT) | instid1(VALU_DEP_4)
	v_dual_fmac_f32 v47, 0, v107 :: v_dual_fmac_f32 v42, v75, v108
	v_fmac_f32_e32 v46, 0x80000000, v108
	s_delay_alu instid0(VALU_DEP_4) | instskip(SKIP_2) | instid1(VALU_DEP_3)
	v_dual_fmac_f32 v48, v83, v107 :: v_dual_fmac_f32 v43, 0x80000000, v108
	v_fmac_f32_e32 v49, 0, v107
	v_dual_fmac_f32 v45, v87, v108 :: v_dual_fmac_f32 v44, v76, v109
	v_fmac_f32_e32 v48, 0x80000000, v108
	v_dual_fmac_f32 v47, v83, v108 :: v_dual_fmac_f32 v42, 0, v109
	s_delay_alu instid0(VALU_DEP_4) | instskip(SKIP_2) | instid1(VALU_DEP_4)
	v_dual_fmac_f32 v49, v79, v108 :: v_dual_fmac_f32 v46, v88, v109
	v_fmac_f32_e32 v43, v80, v109
	v_dual_fmac_f32 v45, 0, v109 :: v_dual_fmac_f32 v44, 0x80000000, v110
	v_dual_fmac_f32 v47, 0, v109 :: v_dual_fmac_f32 v42, v76, v110
	s_delay_alu instid0(VALU_DEP_4) | instskip(NEXT) | instid1(VALU_DEP_4)
	v_fmac_f32_e32 v46, 0x80000000, v110
	v_dual_fmac_f32 v48, v84, v109 :: v_dual_fmac_f32 v43, 0x80000000, v110
	v_fmac_f32_e32 v49, 0, v109
	s_waitcnt vmcnt(2)
	v_dual_fmac_f32 v45, v88, v110 :: v_dual_fmac_f32 v44, v77, v111
	s_delay_alu instid0(VALU_DEP_3) | instskip(SKIP_4) | instid1(VALU_DEP_4)
	v_fmac_f32_e32 v48, 0x80000000, v110
	v_dual_fmac_f32 v47, v84, v110 :: v_dual_fmac_f32 v42, 0, v111
	v_dual_fmac_f32 v49, v80, v110 :: v_dual_fmac_f32 v46, v89, v111
	v_fmac_f32_e32 v43, v81, v111
	v_dual_fmac_f32 v45, 0, v111 :: v_dual_fmac_f32 v44, 0x80000000, v112
	v_dual_fmac_f32 v47, 0, v111 :: v_dual_fmac_f32 v42, v77, v112
	s_delay_alu instid0(VALU_DEP_4) | instskip(NEXT) | instid1(VALU_DEP_4)
	v_fmac_f32_e32 v46, 0x80000000, v112
	v_dual_fmac_f32 v48, v85, v111 :: v_dual_fmac_f32 v43, 0x80000000, v112
	v_fmac_f32_e32 v49, 0, v111
	v_dual_fmac_f32 v45, v89, v112 :: v_dual_fmac_f32 v44, v78, v113
	s_delay_alu instid0(VALU_DEP_3) | instskip(SKIP_1) | instid1(VALU_DEP_4)
	v_fmac_f32_e32 v48, 0x80000000, v112
	v_dual_fmac_f32 v47, v85, v112 :: v_dual_fmac_f32 v42, 0, v113
	v_dual_fmac_f32 v49, v81, v112 :: v_dual_fmac_f32 v46, v90, v113
	v_fmac_f32_e32 v43, v82, v113
	v_dual_fmac_f32 v45, 0, v113 :: v_dual_fmac_f32 v44, 0x80000000, v114
	s_delay_alu instid0(VALU_DEP_4) | instskip(NEXT) | instid1(VALU_DEP_4)
	v_dual_fmac_f32 v47, 0, v113 :: v_dual_fmac_f32 v42, v78, v114
	v_fmac_f32_e32 v46, 0x80000000, v114
	s_delay_alu instid0(VALU_DEP_4) | instskip(SKIP_3) | instid1(VALU_DEP_3)
	v_dual_fmac_f32 v48, v86, v113 :: v_dual_fmac_f32 v43, 0x80000000, v114
	v_fmac_f32_e32 v49, 0, v113
	s_waitcnt vmcnt(1)
	v_dual_fmac_f32 v45, v90, v114 :: v_dual_fmac_f32 v44, v12, v115
	v_fmac_f32_e32 v48, 0x80000000, v114
	v_dual_fmac_f32 v47, v86, v114 :: v_dual_fmac_f32 v42, 0, v115
	v_dual_fmac_f32 v49, v82, v114 :: v_dual_fmac_f32 v46, v8, v115
	v_fmac_f32_e32 v43, v0, v115
	v_dual_fmac_f32 v45, 0, v115 :: v_dual_fmac_f32 v44, 0x80000000, v116
	s_delay_alu instid0(VALU_DEP_4) | instskip(NEXT) | instid1(VALU_DEP_4)
	v_dual_fmac_f32 v47, 0, v115 :: v_dual_fmac_f32 v42, v12, v116
	v_fmac_f32_e32 v46, 0x80000000, v116
	s_delay_alu instid0(VALU_DEP_4) | instskip(SKIP_2) | instid1(VALU_DEP_3)
	v_dual_fmac_f32 v48, v4, v115 :: v_dual_fmac_f32 v43, 0x80000000, v116
	v_fmac_f32_e32 v49, 0, v115
	v_dual_fmac_f32 v45, v8, v116 :: v_dual_fmac_f32 v44, v13, v117
	v_fmac_f32_e32 v48, 0x80000000, v116
	v_dual_fmac_f32 v47, v4, v116 :: v_dual_fmac_f32 v42, 0, v117
	s_delay_alu instid0(VALU_DEP_4) | instskip(SKIP_2) | instid1(VALU_DEP_4)
	v_dual_fmac_f32 v49, v0, v116 :: v_dual_fmac_f32 v46, v9, v117
	v_fmac_f32_e32 v43, v1, v117
	v_dual_fmac_f32 v45, 0, v117 :: v_dual_fmac_f32 v44, 0x80000000, v118
	v_dual_fmac_f32 v47, 0, v117 :: v_dual_fmac_f32 v42, v13, v118
	s_delay_alu instid0(VALU_DEP_4) | instskip(NEXT) | instid1(VALU_DEP_4)
	v_fmac_f32_e32 v46, 0x80000000, v118
	v_dual_fmac_f32 v48, v5, v117 :: v_dual_fmac_f32 v43, 0x80000000, v118
	v_fmac_f32_e32 v49, 0, v117
	s_waitcnt vmcnt(0)
	v_dual_fmac_f32 v45, v9, v118 :: v_dual_fmac_f32 v44, v14, v119
	s_delay_alu instid0(VALU_DEP_3) | instskip(SKIP_4) | instid1(VALU_DEP_4)
	v_fmac_f32_e32 v48, 0x80000000, v118
	v_dual_fmac_f32 v47, v5, v118 :: v_dual_fmac_f32 v42, 0, v119
	v_dual_fmac_f32 v49, v1, v118 :: v_dual_fmac_f32 v46, v10, v119
	v_fmac_f32_e32 v43, v2, v119
	v_dual_fmac_f32 v45, 0, v119 :: v_dual_fmac_f32 v44, 0x80000000, v120
	v_dual_fmac_f32 v47, 0, v119 :: v_dual_fmac_f32 v42, v14, v120
	s_delay_alu instid0(VALU_DEP_4) | instskip(NEXT) | instid1(VALU_DEP_4)
	v_fmac_f32_e32 v46, 0x80000000, v120
	v_dual_fmac_f32 v48, v6, v119 :: v_dual_fmac_f32 v43, 0x80000000, v120
	v_fmac_f32_e32 v49, 0, v119
	v_dual_fmac_f32 v45, v10, v120 :: v_dual_fmac_f32 v44, v15, v121
	s_delay_alu instid0(VALU_DEP_3) | instskip(SKIP_1) | instid1(VALU_DEP_4)
	v_fmac_f32_e32 v48, 0x80000000, v120
	v_dual_fmac_f32 v47, v6, v120 :: v_dual_fmac_f32 v42, 0, v121
	v_dual_fmac_f32 v49, v2, v120 :: v_dual_fmac_f32 v46, v11, v121
	v_fmac_f32_e32 v43, v3, v121
	v_dual_fmac_f32 v45, 0, v121 :: v_dual_fmac_f32 v44, 0x80000000, v122
	s_delay_alu instid0(VALU_DEP_4) | instskip(NEXT) | instid1(VALU_DEP_4)
	v_dual_fmac_f32 v47, 0, v121 :: v_dual_fmac_f32 v42, v15, v122
	v_fmac_f32_e32 v46, 0x80000000, v122
	s_delay_alu instid0(VALU_DEP_4) | instskip(SKIP_3) | instid1(VALU_DEP_4)
	v_dual_fmac_f32 v48, v7, v121 :: v_dual_fmac_f32 v43, 0x80000000, v122
	v_fmac_f32_e32 v49, 0, v121
	v_fmac_f32_e32 v45, v11, v122
	;; [unrolled: 1-line block ×4, first 2 shown]
	s_delay_alu instid0(VALU_DEP_4)
	v_fmac_f32_e32 v49, v3, v122
	s_and_not1_b32 exec_lo, exec_lo, s10
	s_cbranch_execnz .LBB124_27
; %bb.28:
	s_or_b32 exec_lo, exec_lo, s10
.LBB124_29:
	s_delay_alu instid0(SALU_CYCLE_1)
	s_or_b32 exec_lo, exec_lo, s7
.LBB124_30:
	s_delay_alu instid0(SALU_CYCLE_1) | instskip(NEXT) | instid1(SALU_CYCLE_1)
	s_or_b32 exec_lo, exec_lo, s6
	s_and_not1_b32 vcc_lo, exec_lo, s3
	s_cbranch_vccz .LBB124_32
	s_branch .LBB124_43
.LBB124_31:
                                        ; implicit-def: $vgpr42
                                        ; implicit-def: $vgpr44
                                        ; implicit-def: $vgpr45
                                        ; implicit-def: $vgpr46
                                        ; implicit-def: $vgpr47
                                        ; implicit-def: $vgpr48
                                        ; implicit-def: $vgpr49
                                        ; implicit-def: $vgpr43
.LBB124_32:
	v_dual_mov_b32 v42, 0 :: v_dual_mov_b32 v45, 0
	v_dual_mov_b32 v44, 0 :: v_dual_mov_b32 v47, 0
	;; [unrolled: 1-line block ×4, first 2 shown]
	s_and_saveexec_b32 s3, s2
	s_cbranch_execz .LBB124_42
; %bb.33:
	v_dual_mov_b32 v43, 0 :: v_dual_add_nc_u32 v0, v20, v41
	v_not_b32_e32 v1, v20
	v_dual_mov_b32 v47, 0 :: v_dual_mov_b32 v44, 0
	s_delay_alu instid0(VALU_DEP_3) | instskip(SKIP_3) | instid1(VALU_DEP_2)
	v_subrev_nc_u32_e32 v0, s12, v0
	v_dual_mov_b32 v45, 0 :: v_dual_mov_b32 v42, 0
	s_mov_b32 s6, 0
	s_mov_b32 s2, exec_lo
	v_dual_mov_b32 v49, 0 :: v_dual_add_nc_u32 v0, 64, v0
	v_mov_b32_e32 v48, 0
	v_mov_b32_e32 v46, 0
	s_delay_alu instid0(VALU_DEP_3) | instskip(NEXT) | instid1(VALU_DEP_1)
	v_max_i32_e32 v0, v0, v50
	v_add3_u32 v0, v0, s12, v1
	s_delay_alu instid0(VALU_DEP_1) | instskip(NEXT) | instid1(VALU_DEP_1)
	v_sub_nc_u32_e32 v0, v0, v41
	v_lshrrev_b32_e32 v1, 6, v0
	s_delay_alu instid0(VALU_DEP_1) | instskip(NEXT) | instid1(VALU_DEP_1)
	v_add_nc_u32_e32 v1, 1, v1
	v_and_b32_e32 v1, 3, v1
	s_delay_alu instid0(VALU_DEP_1)
	v_cmpx_ne_u32_e32 0, v1
	s_cbranch_execz .LBB124_37
; %bb.34:
	v_dual_mov_b32 v42, 0 :: v_dual_lshlrev_b32 v1, 6, v1
	v_dual_mov_b32 v44, 0 :: v_dual_mov_b32 v45, 0
	v_dual_mov_b32 v46, 0 :: v_dual_mov_b32 v47, 0
	;; [unrolled: 1-line block ×3, first 2 shown]
	v_mov_b32_e32 v43, 0
.LBB124_35:                             ; =>This Inner Loop Header: Depth=1
	v_ashrrev_i32_e32 v34, 31, v33
	v_subrev_nc_u32_e32 v1, 64, v1
	s_delay_alu instid0(VALU_DEP_2) | instskip(NEXT) | instid1(VALU_DEP_1)
	v_lshlrev_b64 v[2:3], 2, v[33:34]
	v_add_co_u32 v2, vcc_lo, s8, v2
	s_delay_alu instid0(VALU_DEP_2)
	v_add_co_ci_u32_e32 v3, vcc_lo, s9, v3, vcc_lo
	global_load_b32 v10, v[2:3], off
	s_clause 0x1
	global_load_b128 v[2:5], v[35:36], off offset:16
	global_load_b128 v[6:9], v[35:36], off
	s_waitcnt vmcnt(2)
	v_subrev_nc_u32_e32 v10, s12, v10
	s_delay_alu instid0(VALU_DEP_1) | instskip(NEXT) | instid1(VALU_DEP_1)
	v_lshlrev_b32_e32 v10, 2, v10
	v_ashrrev_i32_e32 v11, 31, v10
	s_delay_alu instid0(VALU_DEP_1) | instskip(SKIP_1) | instid1(VALU_DEP_1)
	v_lshlrev_b64 v[10:11], 3, v[10:11]
	s_waitcnt lgkmcnt(0)
	v_add_co_u32 v14, vcc_lo, s4, v10
	s_delay_alu instid0(VALU_DEP_2)
	v_add_co_ci_u32_e32 v15, vcc_lo, s5, v11, vcc_lo
	s_clause 0x1
	global_load_b128 v[10:13], v[14:15], off
	global_load_b128 v[14:17], v[14:15], off offset:16
	s_clause 0x1
	global_load_b128 v[18:21], v[35:36], off offset:32
	global_load_b128 v[22:25], v[35:36], off offset:48
	v_add_nc_u32_e32 v33, 64, v33
	v_add_co_u32 v35, vcc_lo, 0x1000, v35
	v_add_co_ci_u32_e32 v36, vcc_lo, 0, v36, vcc_lo
	v_cmp_eq_u32_e32 vcc_lo, 0, v1
	s_or_b32 s6, vcc_lo, s6
	s_waitcnt vmcnt(3)
	v_fmac_f32_e32 v44, v6, v10
	v_fmac_f32_e32 v45, 0, v10
	;; [unrolled: 1-line block ×15, first 2 shown]
	v_dual_fmac_f32 v46, 0x80000000, v11 :: v_dual_fmac_f32 v45, 0, v12
	v_fmac_f32_e32 v44, v2, v12
	v_fmac_f32_e32 v47, 0, v12
	;; [unrolled: 1-line block ×6, first 2 shown]
	v_dual_fmac_f32 v48, v4, v12 :: v_dual_fmac_f32 v45, v3, v13
	v_fmac_f32_e32 v44, 0x80000000, v13
	v_fmac_f32_e32 v47, v4, v13
	s_delay_alu instid0(VALU_DEP_4)
	v_fmac_f32_e32 v49, v5, v13
	v_fmac_f32_e32 v42, v2, v13
	v_fmac_f32_e32 v48, 0x80000000, v13
	v_fmac_f32_e32 v43, 0x80000000, v13
	s_waitcnt vmcnt(2)
	v_dual_fmac_f32 v46, 0x80000000, v13 :: v_dual_fmac_f32 v45, 0, v14
	s_waitcnt vmcnt(1)
	v_fmac_f32_e32 v44, v18, v14
	v_fmac_f32_e32 v47, 0, v14
	;; [unrolled: 1-line block ×6, first 2 shown]
	v_dual_fmac_f32 v48, v20, v14 :: v_dual_fmac_f32 v45, v19, v15
	v_fmac_f32_e32 v44, 0x80000000, v15
	v_fmac_f32_e32 v47, v20, v15
	s_delay_alu instid0(VALU_DEP_4)
	v_fmac_f32_e32 v49, v21, v15
	v_fmac_f32_e32 v42, v18, v15
	;; [unrolled: 1-line block ×4, first 2 shown]
	v_dual_fmac_f32 v46, 0x80000000, v15 :: v_dual_fmac_f32 v45, 0, v16
	s_waitcnt vmcnt(0)
	v_fmac_f32_e32 v44, v22, v16
	v_fmac_f32_e32 v47, 0, v16
	;; [unrolled: 1-line block ×6, first 2 shown]
	v_dual_fmac_f32 v48, v24, v16 :: v_dual_fmac_f32 v45, v23, v17
	v_fmac_f32_e32 v44, 0x80000000, v17
	v_fmac_f32_e32 v47, v24, v17
	s_delay_alu instid0(VALU_DEP_4)
	v_fmac_f32_e32 v49, v25, v17
	v_fmac_f32_e32 v42, v22, v17
	;; [unrolled: 1-line block ×5, first 2 shown]
	s_and_not1_b32 exec_lo, exec_lo, s6
	s_cbranch_execnz .LBB124_35
; %bb.36:
	s_or_b32 exec_lo, exec_lo, s6
.LBB124_37:
	s_delay_alu instid0(SALU_CYCLE_1) | instskip(NEXT) | instid1(SALU_CYCLE_1)
	s_or_b32 exec_lo, exec_lo, s2
	s_mov_b32 s2, exec_lo
	v_cmpx_lt_u32_e32 0xbf, v0
	s_cbranch_execz .LBB124_41
; %bb.38:
	s_mov_b32 s6, 0
.LBB124_39:                             ; =>This Inner Loop Header: Depth=1
	v_add_co_u32 v16, vcc_lo, 0x1000, v35
	v_ashrrev_i32_e32 v34, 31, v33
	v_add_co_ci_u32_e32 v17, vcc_lo, 0, v36, vcc_lo
	v_add_co_u32 v18, vcc_lo, v35, 0x2000
	v_add_co_ci_u32_e32 v19, vcc_lo, 0, v36, vcc_lo
	v_add_co_u32 v20, vcc_lo, 0x2000, v35
	v_lshlrev_b64 v[75:76], 2, v[33:34]
	v_add_co_ci_u32_e32 v21, vcc_lo, 0, v36, vcc_lo
	v_add_co_u32 v95, vcc_lo, 0x3000, v35
	v_add_co_ci_u32_e32 v96, vcc_lo, 0, v36, vcc_lo
	s_delay_alu instid0(VALU_DEP_4)
	v_add_co_u32 v75, vcc_lo, s8, v75
	v_add_co_ci_u32_e32 v76, vcc_lo, s9, v76, vcc_lo
	s_clause 0xd
	global_load_b128 v[0:3], v[35:36], off offset:48
	global_load_b128 v[4:7], v[35:36], off offset:32
	;; [unrolled: 1-line block ×3, first 2 shown]
	global_load_b128 v[12:15], v[35:36], off
	global_load_b128 v[51:54], v[16:17], off offset:48
	global_load_b128 v[55:58], v[16:17], off offset:32
	;; [unrolled: 1-line block ×3, first 2 shown]
	global_load_b128 v[63:66], v[18:19], off offset:-4096
	global_load_b128 v[67:70], v[18:19], off
	global_load_b128 v[24:27], v[20:21], off offset:48
	global_load_b128 v[28:31], v[20:21], off offset:32
	;; [unrolled: 1-line block ×3, first 2 shown]
	global_load_b128 v[20:23], v[95:96], off
	global_load_b128 v[16:19], v[95:96], off offset:16
	s_clause 0x3
	global_load_b32 v34, v[75:76], off
	global_load_b32 v77, v[75:76], off offset:256
	global_load_b32 v78, v[75:76], off offset:512
	;; [unrolled: 1-line block ×3, first 2 shown]
	s_waitcnt vmcnt(3)
	v_subrev_nc_u32_e32 v34, s12, v34
	s_waitcnt vmcnt(2)
	v_subrev_nc_u32_e32 v76, s12, v77
	s_waitcnt vmcnt(1)
	v_subrev_nc_u32_e32 v78, s12, v78
	s_waitcnt vmcnt(0)
	v_subrev_nc_u32_e32 v80, s12, v75
	v_lshlrev_b32_e32 v75, 2, v34
	v_lshlrev_b32_e32 v77, 2, v76
	;; [unrolled: 1-line block ×3, first 2 shown]
	s_delay_alu instid0(VALU_DEP_4) | instskip(NEXT) | instid1(VALU_DEP_4)
	v_lshlrev_b32_e32 v81, 2, v80
	v_ashrrev_i32_e32 v76, 31, v75
	s_delay_alu instid0(VALU_DEP_4) | instskip(NEXT) | instid1(VALU_DEP_4)
	v_ashrrev_i32_e32 v78, 31, v77
	v_ashrrev_i32_e32 v80, 31, v79
	s_delay_alu instid0(VALU_DEP_4) | instskip(NEXT) | instid1(VALU_DEP_4)
	v_ashrrev_i32_e32 v82, 31, v81
	v_lshlrev_b64 v[75:76], 3, v[75:76]
	s_delay_alu instid0(VALU_DEP_4) | instskip(NEXT) | instid1(VALU_DEP_4)
	v_lshlrev_b64 v[77:78], 3, v[77:78]
	v_lshlrev_b64 v[79:80], 3, v[79:80]
	s_delay_alu instid0(VALU_DEP_4) | instskip(SKIP_1) | instid1(VALU_DEP_4)
	v_lshlrev_b64 v[81:82], 3, v[81:82]
	s_waitcnt lgkmcnt(0)
	v_add_co_u32 v83, vcc_lo, s4, v75
	v_add_co_ci_u32_e32 v84, vcc_lo, s5, v76, vcc_lo
	v_add_co_u32 v87, vcc_lo, s4, v77
	v_add_co_ci_u32_e32 v88, vcc_lo, s5, v78, vcc_lo
	;; [unrolled: 2-line block ×4, first 2 shown]
	s_clause 0x3
	global_load_b128 v[75:78], v[83:84], off
	global_load_b128 v[79:82], v[83:84], off offset:16
	global_load_b128 v[83:86], v[87:88], off
	global_load_b128 v[87:90], v[87:88], off offset:16
	v_add_co_u32 v35, vcc_lo, 0x4000, v35
	v_add_co_ci_u32_e32 v36, vcc_lo, 0, v36, vcc_lo
	s_waitcnt vmcnt(3)
	v_fmac_f32_e32 v46, v13, v75
	v_fmac_f32_e32 v44, v12, v75
	;; [unrolled: 1-line block ×4, first 2 shown]
	s_delay_alu instid0(VALU_DEP_4) | instskip(NEXT) | instid1(VALU_DEP_4)
	v_dual_fmac_f32 v47, 0, v75 :: v_dual_fmac_f32 v46, 0x80000000, v76
	v_fmac_f32_e32 v44, 0x80000000, v76
	s_delay_alu instid0(VALU_DEP_4) | instskip(SKIP_1) | instid1(VALU_DEP_3)
	v_dual_fmac_f32 v48, v14, v75 :: v_dual_fmac_f32 v45, v13, v76
	v_fmac_f32_e32 v49, 0, v75
	v_dual_fmac_f32 v43, v15, v75 :: v_dual_fmac_f32 v44, v8, v77
	v_fmac_f32_e32 v42, v12, v76
	v_fmac_f32_e32 v47, v14, v76
	;; [unrolled: 1-line block ×3, first 2 shown]
	v_dual_fmac_f32 v49, v15, v76 :: v_dual_fmac_f32 v46, v9, v77
	global_load_b128 v[12:15], v[91:92], off
	v_dual_fmac_f32 v43, 0x80000000, v76 :: v_dual_fmac_f32 v48, v10, v77
	v_fmac_f32_e32 v42, 0, v77
	v_fmac_f32_e32 v45, 0, v77
	v_dual_fmac_f32 v47, 0, v77 :: v_dual_fmac_f32 v44, 0x80000000, v78
	v_dual_fmac_f32 v49, 0, v77 :: v_dual_fmac_f32 v46, 0x80000000, v78
	;; [unrolled: 1-line block ×3, first 2 shown]
	v_fmac_f32_e32 v42, v8, v78
	s_waitcnt vmcnt(3)
	v_dual_fmac_f32 v45, v9, v78 :: v_dual_fmac_f32 v44, v4, v79
	v_fmac_f32_e32 v47, v10, v78
	v_dual_fmac_f32 v49, v11, v78 :: v_dual_fmac_f32 v46, v5, v79
	global_load_b128 v[8:11], v[91:92], off offset:16
	v_dual_fmac_f32 v43, 0x80000000, v78 :: v_dual_fmac_f32 v48, v6, v79
	global_load_b128 v[75:78], v[93:94], off
	v_fmac_f32_e32 v42, 0, v79
	v_fmac_f32_e32 v45, 0, v79
	v_dual_fmac_f32 v47, 0, v79 :: v_dual_fmac_f32 v44, 0x80000000, v80
	v_dual_fmac_f32 v49, 0, v79 :: v_dual_fmac_f32 v46, 0x80000000, v80
	v_dual_fmac_f32 v43, v7, v79 :: v_dual_fmac_f32 v48, 0x80000000, v80
	v_fmac_f32_e32 v42, v4, v80
	s_delay_alu instid0(VALU_DEP_4)
	v_dual_fmac_f32 v45, v5, v80 :: v_dual_fmac_f32 v44, v0, v81
	v_fmac_f32_e32 v47, v6, v80
	v_dual_fmac_f32 v49, v7, v80 :: v_dual_fmac_f32 v46, v1, v81
	global_load_b128 v[4:7], v[95:96], off offset:32
	global_load_b128 v[91:94], v[93:94], off offset:16
	v_dual_fmac_f32 v43, 0x80000000, v80 :: v_dual_fmac_f32 v48, v2, v81
	v_fmac_f32_e32 v42, 0, v81
	v_fmac_f32_e32 v45, 0, v81
	v_dual_fmac_f32 v47, 0, v81 :: v_dual_fmac_f32 v44, 0x80000000, v82
	v_dual_fmac_f32 v49, 0, v81 :: v_dual_fmac_f32 v46, 0x80000000, v82
	;; [unrolled: 1-line block ×3, first 2 shown]
	v_fmac_f32_e32 v42, v0, v82
	s_waitcnt vmcnt(6)
	v_dual_fmac_f32 v45, v1, v82 :: v_dual_fmac_f32 v44, v63, v83
	v_fmac_f32_e32 v47, v2, v82
	v_dual_fmac_f32 v49, v3, v82 :: v_dual_fmac_f32 v46, v64, v83
	global_load_b128 v[0:3], v[95:96], off offset:48
	v_dual_fmac_f32 v43, 0x80000000, v82 :: v_dual_fmac_f32 v44, 0x80000000, v84
	v_fmac_f32_e32 v42, 0, v83
	v_fmac_f32_e32 v45, 0, v83
	v_fmac_f32_e32 v49, 0, v83
	v_dual_fmac_f32 v48, v65, v83 :: v_dual_add_nc_u32 v33, 0x100, v33
	s_delay_alu instid0(VALU_DEP_4) | instskip(NEXT) | instid1(VALU_DEP_4)
	v_fmac_f32_e32 v42, v63, v84
	v_dual_fmac_f32 v45, v64, v84 :: v_dual_fmac_f32 v44, v59, v85
	v_dual_fmac_f32 v47, 0, v83 :: v_dual_fmac_f32 v46, 0x80000000, v84
	s_delay_alu instid0(VALU_DEP_3) | instskip(NEXT) | instid1(VALU_DEP_3)
	v_dual_fmac_f32 v49, v66, v84 :: v_dual_fmac_f32 v42, 0, v85
	v_dual_fmac_f32 v44, 0x80000000, v86 :: v_dual_fmac_f32 v45, 0, v85
	;; [unrolled: 1-line block ×3, first 2 shown]
	s_delay_alu instid0(VALU_DEP_4) | instskip(SKIP_1) | instid1(VALU_DEP_3)
	v_dual_fmac_f32 v47, v65, v84 :: v_dual_fmac_f32 v46, v60, v85
	s_waitcnt vmcnt(6)
	v_dual_fmac_f32 v49, 0, v85 :: v_dual_fmac_f32 v44, v55, v87
	v_fmac_f32_e32 v42, v59, v86
	v_fmac_f32_e32 v45, v60, v86
	v_dual_fmac_f32 v43, 0x80000000, v84 :: v_dual_fmac_f32 v48, v61, v85
	v_dual_fmac_f32 v47, 0, v85 :: v_dual_fmac_f32 v46, 0x80000000, v86
	v_dual_fmac_f32 v49, v62, v86 :: v_dual_fmac_f32 v44, 0x80000000, v88
	v_fmac_f32_e32 v42, 0, v87
	v_fmac_f32_e32 v45, 0, v87
	v_dual_fmac_f32 v43, v62, v85 :: v_dual_fmac_f32 v48, 0x80000000, v86
	v_dual_fmac_f32 v47, v61, v86 :: v_dual_fmac_f32 v46, v56, v87
	;; [unrolled: 5-line block ×4, first 2 shown]
	s_delay_alu instid0(VALU_DEP_4) | instskip(NEXT) | instid1(VALU_DEP_4)
	v_dual_fmac_f32 v49, 0, v89 :: v_dual_fmac_f32 v42, v51, v90
	v_fmac_f32_e32 v45, v52, v90
	s_delay_alu instid0(VALU_DEP_4) | instskip(NEXT) | instid1(VALU_DEP_4)
	v_dual_fmac_f32 v43, 0x80000000, v88 :: v_dual_fmac_f32 v48, v53, v89
	v_dual_fmac_f32 v47, 0, v89 :: v_dual_fmac_f32 v46, 0x80000000, v90
	v_cmp_ge_i32_e32 vcc_lo, v33, v50
	s_delay_alu instid0(VALU_DEP_3) | instskip(NEXT) | instid1(VALU_DEP_3)
	v_dual_fmac_f32 v43, v54, v89 :: v_dual_fmac_f32 v48, 0x80000000, v90
	v_fmac_f32_e32 v47, v53, v90
	s_or_b32 s6, vcc_lo, s6
	s_waitcnt vmcnt(5)
	s_delay_alu instid0(VALU_DEP_2) | instskip(SKIP_4) | instid1(VALU_DEP_4)
	v_dual_fmac_f32 v43, 0x80000000, v90 :: v_dual_fmac_f32 v48, v69, v12
	v_dual_fmac_f32 v44, v67, v12 :: v_dual_fmac_f32 v49, v54, v90
	v_fmac_f32_e32 v42, 0, v12
	v_fmac_f32_e32 v45, 0, v12
	;; [unrolled: 1-line block ×3, first 2 shown]
	v_dual_fmac_f32 v44, 0x80000000, v13 :: v_dual_fmac_f32 v49, 0, v12
	s_delay_alu instid0(VALU_DEP_4) | instskip(NEXT) | instid1(VALU_DEP_4)
	v_fmac_f32_e32 v42, v67, v13
	v_fmac_f32_e32 v45, v68, v13
	s_delay_alu instid0(VALU_DEP_4) | instskip(NEXT) | instid1(VALU_DEP_4)
	v_dual_fmac_f32 v47, 0, v12 :: v_dual_fmac_f32 v46, 0x80000000, v13
	v_dual_fmac_f32 v44, v71, v14 :: v_dual_fmac_f32 v49, v70, v13
	s_delay_alu instid0(VALU_DEP_4) | instskip(NEXT) | instid1(VALU_DEP_4)
	v_fmac_f32_e32 v42, 0, v14
	v_fmac_f32_e32 v45, 0, v14
	v_dual_fmac_f32 v43, v70, v12 :: v_dual_fmac_f32 v48, 0x80000000, v13
	s_delay_alu instid0(VALU_DEP_4) | instskip(SKIP_3) | instid1(VALU_DEP_3)
	v_dual_fmac_f32 v44, 0x80000000, v15 :: v_dual_fmac_f32 v47, v69, v13
	v_fmac_f32_e32 v46, v72, v14
	v_dual_fmac_f32 v49, 0, v14 :: v_dual_fmac_f32 v42, v71, v15
	s_waitcnt vmcnt(4)
	v_fmac_f32_e32 v44, v28, v8
	v_fmac_f32_e32 v45, v72, v15
	v_dual_fmac_f32 v43, 0x80000000, v13 :: v_dual_fmac_f32 v48, v73, v14
	v_dual_fmac_f32 v47, 0, v14 :: v_dual_fmac_f32 v46, 0x80000000, v15
	s_delay_alu instid0(VALU_DEP_4)
	v_dual_fmac_f32 v49, v74, v15 :: v_dual_fmac_f32 v44, 0x80000000, v9
	v_fmac_f32_e32 v42, 0, v8
	v_fmac_f32_e32 v45, 0, v8
	v_dual_fmac_f32 v43, v74, v14 :: v_dual_fmac_f32 v48, 0x80000000, v15
	v_fmac_f32_e32 v47, v73, v15
	v_dual_fmac_f32 v49, 0, v8 :: v_dual_fmac_f32 v44, v24, v10
	v_fmac_f32_e32 v42, v28, v9
	v_fmac_f32_e32 v45, v29, v9
	v_dual_fmac_f32 v43, 0x80000000, v15 :: v_dual_fmac_f32 v46, v29, v8
	v_fmac_f32_e32 v48, v30, v8
	;; [unrolled: 3-line block ×3, first 2 shown]
	v_dual_fmac_f32 v45, 0, v10 :: v_dual_fmac_f32 v46, 0x80000000, v9
	s_delay_alu instid0(VALU_DEP_4)
	v_fmac_f32_e32 v47, v30, v9
	s_waitcnt vmcnt(3)
	v_dual_fmac_f32 v49, 0, v10 :: v_dual_fmac_f32 v44, v20, v75
	v_fmac_f32_e32 v42, v24, v11
	v_fmac_f32_e32 v45, v25, v11
	v_dual_fmac_f32 v43, v31, v8 :: v_dual_fmac_f32 v48, 0x80000000, v9
	v_fmac_f32_e32 v46, v25, v10
	v_dual_fmac_f32 v47, 0, v10 :: v_dual_fmac_f32 v44, 0x80000000, v76
	s_delay_alu instid0(VALU_DEP_4) | instskip(NEXT) | instid1(VALU_DEP_4)
	v_fmac_f32_e32 v45, 0, v75
	v_dual_fmac_f32 v43, 0x80000000, v9 :: v_dual_fmac_f32 v48, v26, v10
	s_delay_alu instid0(VALU_DEP_4) | instskip(NEXT) | instid1(VALU_DEP_4)
	v_fmac_f32_e32 v46, 0x80000000, v11
	v_fmac_f32_e32 v44, v16, v77
	s_delay_alu instid0(VALU_DEP_4) | instskip(SKIP_2) | instid1(VALU_DEP_3)
	v_dual_fmac_f32 v42, 0, v75 :: v_dual_fmac_f32 v45, v21, v76
	v_fmac_f32_e32 v47, v26, v11
	v_dual_fmac_f32 v43, v27, v10 :: v_dual_fmac_f32 v48, 0x80000000, v11
	v_fmac_f32_e32 v42, v20, v76
	s_delay_alu instid0(VALU_DEP_3) | instskip(NEXT) | instid1(VALU_DEP_2)
	v_dual_fmac_f32 v44, 0x80000000, v78 :: v_dual_fmac_f32 v47, 0, v75
	v_fmac_f32_e32 v42, 0, v77
	s_delay_alu instid0(VALU_DEP_2) | instskip(SKIP_1) | instid1(VALU_DEP_3)
	v_dual_fmac_f32 v46, v21, v75 :: v_dual_fmac_f32 v47, v22, v76
	v_fmac_f32_e32 v43, 0x80000000, v11
	v_dual_fmac_f32 v45, 0, v77 :: v_dual_fmac_f32 v42, v16, v78
	s_delay_alu instid0(VALU_DEP_3)
	v_fmac_f32_e32 v46, 0x80000000, v76
	s_waitcnt vmcnt(1)
	v_fmac_f32_e32 v44, v4, v91
	v_fmac_f32_e32 v43, v23, v75
	v_dual_fmac_f32 v45, v17, v78 :: v_dual_fmac_f32 v42, 0, v91
	v_fmac_f32_e32 v46, v17, v77
	s_delay_alu instid0(VALU_DEP_3) | instskip(SKIP_1) | instid1(VALU_DEP_3)
	v_dual_fmac_f32 v48, v22, v75 :: v_dual_fmac_f32 v43, 0x80000000, v76
	v_fmac_f32_e32 v49, v27, v11
	v_dual_fmac_f32 v47, 0, v77 :: v_dual_fmac_f32 v46, 0x80000000, v78
	s_delay_alu instid0(VALU_DEP_3) | instskip(NEXT) | instid1(VALU_DEP_3)
	v_dual_fmac_f32 v48, 0x80000000, v76 :: v_dual_fmac_f32 v45, 0, v91
	v_dual_fmac_f32 v42, v4, v92 :: v_dual_fmac_f32 v49, 0, v75
	s_delay_alu instid0(VALU_DEP_3) | instskip(NEXT) | instid1(VALU_DEP_3)
	v_dual_fmac_f32 v47, v18, v78 :: v_dual_fmac_f32 v46, v5, v91
	v_fmac_f32_e32 v48, v18, v77
	v_fmac_f32_e32 v43, v19, v77
	s_delay_alu instid0(VALU_DEP_4) | instskip(NEXT) | instid1(VALU_DEP_4)
	v_fmac_f32_e32 v49, v23, v76
	v_dual_fmac_f32 v47, 0, v91 :: v_dual_fmac_f32 v46, 0x80000000, v92
	s_delay_alu instid0(VALU_DEP_4) | instskip(NEXT) | instid1(VALU_DEP_4)
	v_fmac_f32_e32 v48, 0x80000000, v78
	v_fmac_f32_e32 v43, 0x80000000, v78
	s_delay_alu instid0(VALU_DEP_4) | instskip(SKIP_1) | instid1(VALU_DEP_2)
	v_dual_fmac_f32 v49, 0, v77 :: v_dual_fmac_f32 v44, 0x80000000, v92
	v_dual_fmac_f32 v45, v5, v92 :: v_dual_fmac_f32 v42, 0, v93
	;; [unrolled: 1-line block ×3, first 2 shown]
	s_delay_alu instid0(VALU_DEP_4) | instskip(SKIP_2) | instid1(VALU_DEP_3)
	v_fmac_f32_e32 v43, v7, v91
	s_waitcnt vmcnt(0)
	v_dual_fmac_f32 v47, v6, v92 :: v_dual_fmac_f32 v46, v1, v93
	v_dual_fmac_f32 v48, 0x80000000, v92 :: v_dual_fmac_f32 v49, 0, v91
	s_delay_alu instid0(VALU_DEP_3) | instskip(SKIP_1) | instid1(VALU_DEP_2)
	v_dual_fmac_f32 v44, v0, v93 :: v_dual_fmac_f32 v43, 0x80000000, v92
	v_dual_fmac_f32 v45, 0, v93 :: v_dual_fmac_f32 v42, v0, v94
	;; [unrolled: 1-line block ×3, first 2 shown]
	s_delay_alu instid0(VALU_DEP_4) | instskip(SKIP_2) | instid1(VALU_DEP_3)
	v_fmac_f32_e32 v48, v2, v93
	v_dual_fmac_f32 v47, 0, v93 :: v_dual_fmac_f32 v46, 0x80000000, v94
	v_fmac_f32_e32 v43, v3, v93
	v_dual_fmac_f32 v49, 0, v93 :: v_dual_fmac_f32 v48, 0x80000000, v94
	v_fmac_f32_e32 v45, v1, v94
	s_delay_alu instid0(VALU_DEP_4) | instskip(NEXT) | instid1(VALU_DEP_4)
	v_fmac_f32_e32 v47, v2, v94
	v_fmac_f32_e32 v43, 0x80000000, v94
	s_delay_alu instid0(VALU_DEP_4)
	v_fmac_f32_e32 v49, v3, v94
	s_and_not1_b32 exec_lo, exec_lo, s6
	s_cbranch_execnz .LBB124_39
; %bb.40:
	s_or_b32 exec_lo, exec_lo, s6
.LBB124_41:
	s_delay_alu instid0(SALU_CYCLE_1)
	s_or_b32 exec_lo, exec_lo, s2
.LBB124_42:
	s_delay_alu instid0(SALU_CYCLE_1)
	s_or_b32 exec_lo, exec_lo, s3
.LBB124_43:
	v_mbcnt_lo_u32_b32 v0, -1, 0
	s_delay_alu instid0(VALU_DEP_1) | instskip(SKIP_2) | instid1(VALU_DEP_3)
	v_or_b32_e32 v1, 32, v0
	v_xor_b32_e32 v9, 16, v0
	v_xor_b32_e32 v17, 8, v0
	v_cmp_gt_i32_e32 vcc_lo, 32, v1
	v_cndmask_b32_e32 v1, v0, v1, vcc_lo
	s_delay_alu instid0(VALU_DEP_4) | instskip(NEXT) | instid1(VALU_DEP_2)
	v_cmp_gt_i32_e32 vcc_lo, 32, v9
	v_lshlrev_b32_e32 v1, 2, v1
	ds_bpermute_b32 v2, v1, v44
	s_waitcnt lgkmcnt(0)
	v_add_f32_e32 v2, v44, v2
	ds_bpermute_b32 v4, v1, v46
	ds_bpermute_b32 v8, v1, v43
	;; [unrolled: 1-line block ×3, first 2 shown]
	v_cndmask_b32_e32 v9, v0, v9, vcc_lo
	ds_bpermute_b32 v3, v1, v42
	ds_bpermute_b32 v5, v1, v45
	;; [unrolled: 1-line block ×4, first 2 shown]
	v_cmp_gt_i32_e32 vcc_lo, 32, v17
	s_waitcnt lgkmcnt(6)
	v_dual_cndmask_b32 v17, v0, v17 :: v_dual_add_f32 v4, v46, v4
	s_waitcnt lgkmcnt(5)
	v_dual_add_f32 v8, v43, v8 :: v_dual_lshlrev_b32 v9, 2, v9
	s_waitcnt lgkmcnt(4)
	v_add_f32_e32 v6, v48, v6
	ds_bpermute_b32 v12, v9, v4
	s_waitcnt lgkmcnt(4)
	v_add_f32_e32 v3, v42, v3
	ds_bpermute_b32 v10, v9, v2
	ds_bpermute_b32 v14, v9, v6
	;; [unrolled: 1-line block ×3, first 2 shown]
	s_waitcnt lgkmcnt(6)
	v_add_f32_e32 v5, v45, v5
	s_waitcnt lgkmcnt(5)
	v_add_f32_e32 v7, v47, v7
	s_waitcnt lgkmcnt(3)
	v_dual_add_f32 v1, v49, v1 :: v_dual_add_f32 v4, v4, v12
	ds_bpermute_b32 v11, v9, v3
	s_waitcnt lgkmcnt(3)
	v_dual_add_f32 v2, v2, v10 :: v_dual_lshlrev_b32 v17, 2, v17
	ds_bpermute_b32 v13, v9, v5
	s_waitcnt lgkmcnt(3)
	v_add_f32_e32 v6, v6, v14
	ds_bpermute_b32 v15, v9, v7
	s_waitcnt lgkmcnt(3)
	v_add_f32_e32 v8, v8, v16
	;; [unrolled: 3-line block ×4, first 2 shown]
	s_waitcnt lgkmcnt(0)
	v_dual_add_f32 v4, v4, v11 :: v_dual_add_f32 v1, v1, v9
	ds_bpermute_b32 v9, v17, v2
	ds_bpermute_b32 v15, v17, v8
	v_add_f32_e32 v5, v5, v13
	ds_bpermute_b32 v13, v17, v6
	ds_bpermute_b32 v16, v17, v1
	s_waitcnt lgkmcnt(3)
	v_add_f32_e32 v2, v2, v9
	s_waitcnt lgkmcnt(2)
	v_add_f32_e32 v8, v8, v15
	ds_bpermute_b32 v10, v17, v3
	ds_bpermute_b32 v12, v17, v5
	s_waitcnt lgkmcnt(3)
	v_add_f32_e32 v6, v6, v13
	ds_bpermute_b32 v14, v17, v7
	v_xor_b32_e32 v17, 4, v0
	s_delay_alu instid0(VALU_DEP_1) | instskip(SKIP_1) | instid1(VALU_DEP_1)
	v_cmp_gt_i32_e32 vcc_lo, 32, v17
	v_cndmask_b32_e32 v17, v0, v17, vcc_lo
	v_lshlrev_b32_e32 v17, 2, v17
	s_waitcnt lgkmcnt(0)
	v_add_f32_e32 v7, v7, v14
	ds_bpermute_b32 v15, v17, v8
	s_waitcnt lgkmcnt(0)
	v_add_f32_e32 v8, v8, v15
	ds_bpermute_b32 v11, v17, v4
	ds_bpermute_b32 v9, v17, v2
	;; [unrolled: 1-line block ×3, first 2 shown]
	v_add_f32_e32 v3, v3, v10
	v_add_f32_e32 v5, v5, v12
	ds_bpermute_b32 v14, v17, v7
	s_waitcnt lgkmcnt(3)
	v_dual_add_f32 v4, v4, v11 :: v_dual_add_f32 v1, v1, v16
	s_waitcnt lgkmcnt(2)
	v_add_f32_e32 v2, v2, v9
	ds_bpermute_b32 v10, v17, v3
	s_waitcnt lgkmcnt(2)
	v_add_f32_e32 v6, v6, v13
	ds_bpermute_b32 v12, v17, v5
	ds_bpermute_b32 v16, v17, v1
	v_xor_b32_e32 v17, 2, v0
	s_waitcnt lgkmcnt(3)
	v_add_f32_e32 v7, v7, v14
	s_delay_alu instid0(VALU_DEP_2) | instskip(SKIP_1) | instid1(VALU_DEP_1)
	v_cmp_gt_i32_e32 vcc_lo, 32, v17
	v_cndmask_b32_e32 v17, v0, v17, vcc_lo
	v_lshlrev_b32_e32 v17, 2, v17
	s_waitcnt lgkmcnt(0)
	v_add_f32_e32 v9, v1, v16
	ds_bpermute_b32 v1, v17, v2
	v_add_f32_e32 v3, v3, v10
	ds_bpermute_b32 v13, v17, v6
	;; [unrolled: 2-line block ×3, first 2 shown]
	ds_bpermute_b32 v14, v17, v7
	ds_bpermute_b32 v10, v17, v3
	;; [unrolled: 1-line block ×5, first 2 shown]
	v_xor_b32_e32 v17, 1, v0
	s_delay_alu instid0(VALU_DEP_1) | instskip(SKIP_3) | instid1(VALU_DEP_2)
	v_cmp_gt_i32_e32 vcc_lo, 32, v17
	v_cndmask_b32_e32 v0, v0, v17, vcc_lo
	v_cmp_eq_u32_e32 vcc_lo, 63, v41
	s_waitcnt lgkmcnt(7)
	v_dual_add_f32 v0, v2, v1 :: v_dual_lshlrev_b32 v17, 2, v0
	s_waitcnt lgkmcnt(3)
	v_dual_add_f32 v1, v3, v10 :: v_dual_add_f32 v2, v4, v11
	s_waitcnt lgkmcnt(1)
	v_dual_add_f32 v4, v6, v13 :: v_dual_add_f32 v3, v5, v12
	v_dual_add_f32 v5, v7, v14 :: v_dual_add_f32 v6, v8, v15
	s_waitcnt lgkmcnt(0)
	v_add_f32_e32 v7, v9, v16
	ds_bpermute_b32 v8, v17, v0
	ds_bpermute_b32 v9, v17, v1
	;; [unrolled: 1-line block ×8, first 2 shown]
	s_and_b32 exec_lo, exec_lo, vcc_lo
	s_cbranch_execz .LBB124_13
; %bb.44:
	s_load_b64 s[2:3], s[0:1], 0x50
	s_waitcnt lgkmcnt(0)
	v_add_f32_e32 v8, v0, v8
	v_dual_add_f32 v0, v1, v9 :: v_dual_add_f32 v1, v3, v11
	v_dual_add_f32 v9, v2, v10 :: v_dual_add_f32 v2, v5, v13
	;; [unrolled: 1-line block ×3, first 2 shown]
	v_add_f32_e32 v11, v6, v14
	s_delay_alu instid0(VALU_DEP_4)
	v_mul_f32_e64 v4, v0, -v40
	v_mul_f32_e32 v5, v0, v39
	v_mul_f32_e64 v6, v1, -v40
	v_mul_f32_e32 v7, v1, v39
	;; [unrolled: 2-line block ×3, first 2 shown]
	v_mul_f32_e64 v2, v3, -v40
	v_fmac_f32_e32 v6, v39, v9
	v_mul_f32_e32 v3, v3, v39
	v_cmp_eq_f32_e32 vcc_lo, 0, v37
	v_cmp_eq_f32_e64 s0, 0, v38
	v_fmac_f32_e32 v4, v39, v8
	v_dual_fmac_f32 v5, v40, v8 :: v_dual_fmac_f32 v0, v39, v10
	v_dual_fmac_f32 v7, v40, v9 :: v_dual_lshlrev_b32 v8, 2, v32
	v_dual_fmac_f32 v2, v39, v11 :: v_dual_fmac_f32 v1, v40, v10
	v_fmac_f32_e32 v3, v40, v11
	s_and_b32 s0, vcc_lo, s0
	s_delay_alu instid0(SALU_CYCLE_1) | instskip(NEXT) | instid1(SALU_CYCLE_1)
	s_and_saveexec_b32 s1, s0
	s_xor_b32 s0, exec_lo, s1
; %bb.45:
	v_ashrrev_i32_e32 v9, 31, v8
                                        ; implicit-def: $vgpr37
                                        ; implicit-def: $vgpr38
	s_delay_alu instid0(VALU_DEP_1) | instskip(NEXT) | instid1(VALU_DEP_1)
	v_lshlrev_b64 v[8:9], 3, v[8:9]
	v_add_co_u32 v8, vcc_lo, s2, v8
	s_delay_alu instid0(VALU_DEP_2)
	v_add_co_ci_u32_e32 v9, vcc_lo, s3, v9, vcc_lo
	s_clause 0x1
	global_store_b128 v[8:9], v[4:7], off
	global_store_b128 v[8:9], v[0:3], off offset:16
                                        ; implicit-def: $vgpr4
                                        ; implicit-def: $vgpr8
                                        ; implicit-def: $vgpr0
; %bb.46:
	s_and_not1_saveexec_b32 s0, s0
	s_cbranch_execz .LBB124_13
; %bb.47:
	v_ashrrev_i32_e32 v9, 31, v8
	s_delay_alu instid0(VALU_DEP_1) | instskip(NEXT) | instid1(VALU_DEP_1)
	v_lshlrev_b64 v[8:9], 3, v[8:9]
	v_add_co_u32 v16, vcc_lo, s2, v8
	s_delay_alu instid0(VALU_DEP_2)
	v_add_co_ci_u32_e32 v17, vcc_lo, s3, v9, vcc_lo
	s_clause 0x1
	global_load_b128 v[8:11], v[16:17], off
	global_load_b128 v[12:15], v[16:17], off offset:16
	s_waitcnt vmcnt(1)
	v_dual_fmac_f32 v4, v37, v8 :: v_dual_fmac_f32 v7, v38, v10
	v_dual_fmac_f32 v5, v38, v8 :: v_dual_fmac_f32 v6, v37, v10
	s_waitcnt vmcnt(0)
	v_dual_fmac_f32 v0, v37, v12 :: v_dual_fmac_f32 v3, v38, v14
	v_dual_fmac_f32 v1, v38, v12 :: v_dual_fmac_f32 v2, v37, v14
	v_fma_f32 v4, -v38, v9, v4
	v_fmac_f32_e32 v5, v37, v9
	v_fma_f32 v6, -v38, v11, v6
	v_fmac_f32_e32 v7, v37, v11
	;; [unrolled: 2-line block ×4, first 2 shown]
	s_clause 0x1
	global_store_b128 v[16:17], v[4:7], off
	global_store_b128 v[16:17], v[0:3], off offset:16
	s_nop 0
	s_sendmsg sendmsg(MSG_DEALLOC_VGPRS)
	s_endpgm
	.section	.rodata,"a",@progbits
	.p2align	6, 0x0
	.amdhsa_kernel _ZN9rocsparseL18bsrxmvn_4x4_kernelILj128ELj64E21rocsparse_complex_numIfEiifS2_S2_EEvT3_20rocsparse_direction_NS_24const_host_device_scalarIT1_EES3_PKS3_PKT2_SC_S9_PKT4_PKT5_S7_PT6_21rocsparse_index_base_b
		.amdhsa_group_segment_fixed_size 0
		.amdhsa_private_segment_fixed_size 0
		.amdhsa_kernarg_size 96
		.amdhsa_user_sgpr_count 15
		.amdhsa_user_sgpr_dispatch_ptr 0
		.amdhsa_user_sgpr_queue_ptr 0
		.amdhsa_user_sgpr_kernarg_segment_ptr 1
		.amdhsa_user_sgpr_dispatch_id 0
		.amdhsa_user_sgpr_private_segment_size 0
		.amdhsa_wavefront_size32 1
		.amdhsa_uses_dynamic_stack 0
		.amdhsa_enable_private_segment 0
		.amdhsa_system_sgpr_workgroup_id_x 1
		.amdhsa_system_sgpr_workgroup_id_y 0
		.amdhsa_system_sgpr_workgroup_id_z 0
		.amdhsa_system_sgpr_workgroup_info 0
		.amdhsa_system_vgpr_workitem_id 0
		.amdhsa_next_free_vgpr 123
		.amdhsa_next_free_sgpr 16
		.amdhsa_reserve_vcc 1
		.amdhsa_float_round_mode_32 0
		.amdhsa_float_round_mode_16_64 0
		.amdhsa_float_denorm_mode_32 3
		.amdhsa_float_denorm_mode_16_64 3
		.amdhsa_dx10_clamp 1
		.amdhsa_ieee_mode 1
		.amdhsa_fp16_overflow 0
		.amdhsa_workgroup_processor_mode 1
		.amdhsa_memory_ordered 1
		.amdhsa_forward_progress 0
		.amdhsa_shared_vgpr_count 0
		.amdhsa_exception_fp_ieee_invalid_op 0
		.amdhsa_exception_fp_denorm_src 0
		.amdhsa_exception_fp_ieee_div_zero 0
		.amdhsa_exception_fp_ieee_overflow 0
		.amdhsa_exception_fp_ieee_underflow 0
		.amdhsa_exception_fp_ieee_inexact 0
		.amdhsa_exception_int_div_zero 0
	.end_amdhsa_kernel
	.section	.text._ZN9rocsparseL18bsrxmvn_4x4_kernelILj128ELj64E21rocsparse_complex_numIfEiifS2_S2_EEvT3_20rocsparse_direction_NS_24const_host_device_scalarIT1_EES3_PKS3_PKT2_SC_S9_PKT4_PKT5_S7_PT6_21rocsparse_index_base_b,"axG",@progbits,_ZN9rocsparseL18bsrxmvn_4x4_kernelILj128ELj64E21rocsparse_complex_numIfEiifS2_S2_EEvT3_20rocsparse_direction_NS_24const_host_device_scalarIT1_EES3_PKS3_PKT2_SC_S9_PKT4_PKT5_S7_PT6_21rocsparse_index_base_b,comdat
.Lfunc_end124:
	.size	_ZN9rocsparseL18bsrxmvn_4x4_kernelILj128ELj64E21rocsparse_complex_numIfEiifS2_S2_EEvT3_20rocsparse_direction_NS_24const_host_device_scalarIT1_EES3_PKS3_PKT2_SC_S9_PKT4_PKT5_S7_PT6_21rocsparse_index_base_b, .Lfunc_end124-_ZN9rocsparseL18bsrxmvn_4x4_kernelILj128ELj64E21rocsparse_complex_numIfEiifS2_S2_EEvT3_20rocsparse_direction_NS_24const_host_device_scalarIT1_EES3_PKS3_PKT2_SC_S9_PKT4_PKT5_S7_PT6_21rocsparse_index_base_b
                                        ; -- End function
	.section	.AMDGPU.csdata,"",@progbits
; Kernel info:
; codeLenInByte = 7504
; NumSgprs: 18
; NumVgprs: 123
; ScratchSize: 0
; MemoryBound: 0
; FloatMode: 240
; IeeeMode: 1
; LDSByteSize: 0 bytes/workgroup (compile time only)
; SGPRBlocks: 2
; VGPRBlocks: 15
; NumSGPRsForWavesPerEU: 18
; NumVGPRsForWavesPerEU: 123
; Occupancy: 10
; WaveLimiterHint : 1
; COMPUTE_PGM_RSRC2:SCRATCH_EN: 0
; COMPUTE_PGM_RSRC2:USER_SGPR: 15
; COMPUTE_PGM_RSRC2:TRAP_HANDLER: 0
; COMPUTE_PGM_RSRC2:TGID_X_EN: 1
; COMPUTE_PGM_RSRC2:TGID_Y_EN: 0
; COMPUTE_PGM_RSRC2:TGID_Z_EN: 0
; COMPUTE_PGM_RSRC2:TIDIG_COMP_CNT: 0
	.section	.text._ZN9rocsparseL18bsrxmvn_4x4_kernelILj128ELj4E21rocsparse_complex_numIfElifS2_S2_EEvT3_20rocsparse_direction_NS_24const_host_device_scalarIT1_EES3_PKS3_PKT2_SC_S9_PKT4_PKT5_S7_PT6_21rocsparse_index_base_b,"axG",@progbits,_ZN9rocsparseL18bsrxmvn_4x4_kernelILj128ELj4E21rocsparse_complex_numIfElifS2_S2_EEvT3_20rocsparse_direction_NS_24const_host_device_scalarIT1_EES3_PKS3_PKT2_SC_S9_PKT4_PKT5_S7_PT6_21rocsparse_index_base_b,comdat
	.globl	_ZN9rocsparseL18bsrxmvn_4x4_kernelILj128ELj4E21rocsparse_complex_numIfElifS2_S2_EEvT3_20rocsparse_direction_NS_24const_host_device_scalarIT1_EES3_PKS3_PKT2_SC_S9_PKT4_PKT5_S7_PT6_21rocsparse_index_base_b ; -- Begin function _ZN9rocsparseL18bsrxmvn_4x4_kernelILj128ELj4E21rocsparse_complex_numIfElifS2_S2_EEvT3_20rocsparse_direction_NS_24const_host_device_scalarIT1_EES3_PKS3_PKT2_SC_S9_PKT4_PKT5_S7_PT6_21rocsparse_index_base_b
	.p2align	8
	.type	_ZN9rocsparseL18bsrxmvn_4x4_kernelILj128ELj4E21rocsparse_complex_numIfElifS2_S2_EEvT3_20rocsparse_direction_NS_24const_host_device_scalarIT1_EES3_PKS3_PKT2_SC_S9_PKT4_PKT5_S7_PT6_21rocsparse_index_base_b,@function
_ZN9rocsparseL18bsrxmvn_4x4_kernelILj128ELj4E21rocsparse_complex_numIfElifS2_S2_EEvT3_20rocsparse_direction_NS_24const_host_device_scalarIT1_EES3_PKS3_PKT2_SC_S9_PKT4_PKT5_S7_PT6_21rocsparse_index_base_b: ; @_ZN9rocsparseL18bsrxmvn_4x4_kernelILj128ELj4E21rocsparse_complex_numIfElifS2_S2_EEvT3_20rocsparse_direction_NS_24const_host_device_scalarIT1_EES3_PKS3_PKT2_SC_S9_PKT4_PKT5_S7_PT6_21rocsparse_index_base_b
; %bb.0:
	s_clause 0x2
	s_load_b64 s[12:13], s[0:1], 0x58
	s_load_b64 s[4:5], s[0:1], 0x8
	;; [unrolled: 1-line block ×3, first 2 shown]
	s_waitcnt lgkmcnt(0)
	s_bitcmp1_b32 s13, 0
	v_mov_b32_e32 v21, s4
	s_cselect_b32 s6, -1, 0
	s_delay_alu instid0(SALU_CYCLE_1)
	s_and_b32 vcc_lo, exec_lo, s6
	s_xor_b32 s6, s6, -1
	s_cbranch_vccz .LBB125_14
; %bb.1:
	v_cndmask_b32_e64 v1, 0, 1, s6
	v_mov_b32_e32 v22, s5
	s_and_not1_b32 vcc_lo, exec_lo, s6
	s_cbranch_vccz .LBB125_15
.LBB125_2:
	s_delay_alu instid0(VALU_DEP_2)
	v_cmp_ne_u32_e32 vcc_lo, 1, v1
	v_mov_b32_e32 v19, s2
	s_cbranch_vccz .LBB125_16
.LBB125_3:
	v_cmp_ne_u32_e32 vcc_lo, 1, v1
	v_mov_b32_e32 v20, s3
	s_cbranch_vccnz .LBB125_5
.LBB125_4:
	v_dual_mov_b32 v1, s2 :: v_dual_mov_b32 v2, s3
	flat_load_b32 v20, v[1:2] offset:4
.LBB125_5:
	s_waitcnt vmcnt(0) lgkmcnt(0)
	v_cmp_eq_f32_e32 vcc_lo, 0, v21
	v_cmp_eq_f32_e64 s2, 0, v22
	s_delay_alu instid0(VALU_DEP_1)
	s_and_b32 s4, vcc_lo, s2
	s_mov_b32 s2, -1
	s_and_saveexec_b32 s3, s4
; %bb.6:
	v_cmp_neq_f32_e32 vcc_lo, 1.0, v19
	v_cmp_neq_f32_e64 s2, 0, v20
	s_delay_alu instid0(VALU_DEP_1) | instskip(NEXT) | instid1(SALU_CYCLE_1)
	s_or_b32 s2, vcc_lo, s2
	s_or_not1_b32 s2, s2, exec_lo
; %bb.7:
	s_or_b32 exec_lo, exec_lo, s3
	s_and_saveexec_b32 s3, s2
	s_cbranch_execz .LBB125_13
; %bb.8:
	s_clause 0x1
	s_load_b64 s[4:5], s[0:1], 0x18
	s_load_b64 s[2:3], s[0:1], 0x0
	v_lshrrev_b32_e32 v1, 2, v0
	s_delay_alu instid0(VALU_DEP_1)
	v_lshl_or_b32 v8, s15, 5, v1
	s_waitcnt lgkmcnt(0)
	s_cmp_lg_u64 s[4:5], 0
	s_cbranch_scc0 .LBB125_17
; %bb.9:
	s_load_b32 s6, s[0:1], 0x10
	s_mov_b32 s7, 0
                                        ; implicit-def: $vgpr1
	s_waitcnt lgkmcnt(0)
	v_cmp_gt_i32_e32 vcc_lo, s6, v8
	s_mov_b32 s6, 0
	s_and_saveexec_b32 s8, vcc_lo
	s_delay_alu instid0(SALU_CYCLE_1)
	s_xor_b32 s8, exec_lo, s8
	s_cbranch_execz .LBB125_11
; %bb.10:
	v_ashrrev_i32_e32 v9, 31, v8
	s_mov_b32 s6, exec_lo
	s_delay_alu instid0(VALU_DEP_1) | instskip(NEXT) | instid1(VALU_DEP_1)
	v_lshlrev_b64 v[1:2], 2, v[8:9]
	v_add_co_u32 v1, vcc_lo, s4, v1
	s_delay_alu instid0(VALU_DEP_2)
	v_add_co_ci_u32_e32 v2, vcc_lo, s5, v2, vcc_lo
	global_load_b32 v1, v[1:2], off
	s_waitcnt vmcnt(0)
	v_subrev_nc_u32_e32 v1, s12, v1
.LBB125_11:
	s_or_b32 exec_lo, exec_lo, s8
	s_delay_alu instid0(SALU_CYCLE_1)
	s_and_b32 vcc_lo, exec_lo, s7
	s_cbranch_vccz .LBB125_18
.LBB125_12:
	v_cmp_gt_i32_e32 vcc_lo, s2, v8
	s_and_not1_b32 s2, s6, exec_lo
	s_and_b32 s4, vcc_lo, exec_lo
	s_delay_alu instid0(SALU_CYCLE_1) | instskip(NEXT) | instid1(SALU_CYCLE_1)
	s_or_b32 s6, s2, s4
	s_and_b32 exec_lo, exec_lo, s6
	s_cbranch_execnz .LBB125_19
.LBB125_13:
	s_nop 0
	s_sendmsg sendmsg(MSG_DEALLOC_VGPRS)
	s_endpgm
.LBB125_14:
	v_dual_mov_b32 v1, s4 :: v_dual_mov_b32 v2, s5
	flat_load_b32 v21, v[1:2]
	v_cndmask_b32_e64 v1, 0, 1, s6
	v_mov_b32_e32 v22, s5
	s_and_not1_b32 vcc_lo, exec_lo, s6
	s_cbranch_vccnz .LBB125_2
.LBB125_15:
	v_dual_mov_b32 v2, s4 :: v_dual_mov_b32 v3, s5
	flat_load_b32 v22, v[2:3] offset:4
	v_cmp_ne_u32_e32 vcc_lo, 1, v1
	v_mov_b32_e32 v19, s2
	s_cbranch_vccnz .LBB125_3
.LBB125_16:
	v_dual_mov_b32 v2, s2 :: v_dual_mov_b32 v3, s3
	flat_load_b32 v19, v[2:3]
	v_cmp_ne_u32_e32 vcc_lo, 1, v1
	v_mov_b32_e32 v20, s3
	s_cbranch_vccz .LBB125_4
	s_branch .LBB125_5
.LBB125_17:
	s_mov_b32 s6, 0
                                        ; implicit-def: $vgpr1
	s_cbranch_execnz .LBB125_12
.LBB125_18:
	s_delay_alu instid0(VALU_DEP_1)
	v_mov_b32_e32 v8, v1
	s_and_b32 exec_lo, exec_lo, s6
	s_cbranch_execz .LBB125_13
.LBB125_19:
	s_load_b256 s[4:11], s[0:1], 0x20
	s_delay_alu instid0(VALU_DEP_1) | instskip(SKIP_1) | instid1(VALU_DEP_2)
	v_ashrrev_i32_e32 v9, 31, v8
	v_dual_mov_b32 v24, 0 :: v_dual_and_b32 v23, 3, v0
	v_lshlrev_b64 v[1:2], 3, v[8:9]
	s_waitcnt lgkmcnt(0)
	s_delay_alu instid0(VALU_DEP_1) | instskip(NEXT) | instid1(VALU_DEP_2)
	v_add_co_u32 v3, vcc_lo, s4, v1
	v_add_co_ci_u32_e32 v4, vcc_lo, s5, v2, vcc_lo
	v_add_co_u32 v1, vcc_lo, s6, v1
	v_add_co_ci_u32_e32 v2, vcc_lo, s7, v2, vcc_lo
	s_delay_alu instid0(VALU_DEP_4)
	v_add_co_u32 v5, vcc_lo, v3, 8
	global_load_b64 v[6:7], v[3:4], off
	v_add_co_ci_u32_e32 v9, vcc_lo, 0, v4, vcc_lo
	s_cmp_eq_u64 s[6:7], 0
	s_load_b64 s[4:5], s[0:1], 0x40
	s_cselect_b32 vcc_lo, -1, 0
	s_cmp_eq_u32 s3, 1
	v_cndmask_b32_e32 v2, v2, v9, vcc_lo
	v_cndmask_b32_e32 v1, v1, v5, vcc_lo
	s_mov_b32 s3, 0
	global_load_b64 v[2:3], v[1:2], off
	s_waitcnt vmcnt(1)
	v_sub_co_u32 v0, vcc_lo, v6, s12
	v_subrev_co_ci_u32_e32 v1, vcc_lo, 0, v7, vcc_lo
	s_delay_alu instid0(VALU_DEP_2) | instskip(NEXT) | instid1(VALU_DEP_2)
	v_add_co_u32 v0, vcc_lo, v0, v23
	v_add_co_ci_u32_e32 v1, vcc_lo, 0, v1, vcc_lo
	s_delay_alu instid0(VALU_DEP_1) | instskip(SKIP_3) | instid1(VALU_DEP_3)
	v_lshlrev_b64 v[4:5], 6, v[0:1]
	s_waitcnt vmcnt(0)
	v_sub_co_u32 v2, vcc_lo, v2, s12
	v_subrev_co_ci_u32_e32 v3, vcc_lo, 0, v3, vcc_lo
	v_add_co_u32 v4, vcc_lo, s10, v4
	s_delay_alu instid0(VALU_DEP_2)
	v_cmp_lt_i64_e64 s2, v[0:1], v[2:3]
	v_add_co_ci_u32_e32 v5, vcc_lo, s11, v5, vcc_lo
	s_cbranch_scc1 .LBB125_31
; %bb.20:
	v_dual_mov_b32 v26, 0 :: v_dual_mov_b32 v27, 0
	v_dual_mov_b32 v28, 0 :: v_dual_mov_b32 v29, 0
	v_dual_mov_b32 v30, 0 :: v_dual_mov_b32 v31, 0
	v_mov_b32_e32 v25, 0
	s_and_saveexec_b32 s6, s2
	s_cbranch_execz .LBB125_30
; %bb.21:
	v_or_b32_e32 v9, 4, v23
	v_not_b32_e32 v12, v6
	v_not_b32_e32 v11, v7
	v_mov_b32_e32 v27, 0
	v_dual_mov_b32 v25, 0 :: v_dual_mov_b32 v30, 0
	v_sub_co_u32 v9, s7, v9, s12
	s_delay_alu instid0(VALU_DEP_1) | instskip(SKIP_1) | instid1(VALU_DEP_3)
	v_sub_co_ci_u32_e64 v10, null, 0, 0, s7
	v_sub_co_u32 v13, s7, s12, v23
	v_add_co_u32 v9, vcc_lo, v9, v6
	s_delay_alu instid0(VALU_DEP_3) | instskip(SKIP_2) | instid1(VALU_DEP_3)
	v_add_co_ci_u32_e32 v10, vcc_lo, v10, v7, vcc_lo
	v_sub_co_ci_u32_e64 v14, null, 0, 0, s7
	v_dual_mov_b32 v31, 0 :: v_dual_mov_b32 v26, 0
	v_cmp_gt_i64_e32 vcc_lo, v[9:10], v[2:3]
	v_dual_mov_b32 v29, 0 :: v_dual_mov_b32 v24, 0
	s_mov_b32 s10, 0
	s_mov_b32 s7, exec_lo
	v_mov_b32_e32 v28, 0
	v_dual_cndmask_b32 v10, v3, v10 :: v_dual_cndmask_b32 v9, v2, v9
	v_add_co_u32 v12, vcc_lo, v13, v12
	v_add_co_ci_u32_e32 v11, vcc_lo, v14, v11, vcc_lo
	s_delay_alu instid0(VALU_DEP_2) | instskip(NEXT) | instid1(VALU_DEP_2)
	v_add_co_u32 v13, vcc_lo, v12, v9
	v_add_co_ci_u32_e32 v14, vcc_lo, v11, v10, vcc_lo
	v_mov_b32_e32 v12, v1
	s_delay_alu instid0(VALU_DEP_3) | instskip(SKIP_1) | instid1(VALU_DEP_2)
	v_lshrrev_b32_e32 v9, 2, v13
	v_mov_b32_e32 v11, v0
	v_add_nc_u32_e32 v9, 1, v9
	s_delay_alu instid0(VALU_DEP_1) | instskip(SKIP_1) | instid1(VALU_DEP_2)
	v_dual_mov_b32 v10, v5 :: v_dual_and_b32 v15, 3, v9
	v_mov_b32_e32 v9, v4
	v_cmpx_ne_u32_e32 0, v15
	s_cbranch_execz .LBB125_25
; %bb.22:
	v_lshlrev_b64 v[9:10], 2, v[0:1]
	v_dual_mov_b32 v16, 0 :: v_dual_lshlrev_b32 v15, 2, v15
	v_dual_mov_b32 v12, v1 :: v_dual_mov_b32 v11, v0
	s_delay_alu instid0(VALU_DEP_2) | instskip(NEXT) | instid1(VALU_DEP_4)
	v_mov_b32_e32 v24, v16
	v_add_co_u32 v17, vcc_lo, s8, v9
	v_add_co_ci_u32_e32 v18, vcc_lo, s9, v10, vcc_lo
	v_dual_mov_b32 v10, v5 :: v_dual_mov_b32 v9, v4
	v_mov_b32_e32 v26, v16
	v_mov_b32_e32 v27, v16
	;; [unrolled: 1-line block ×7, first 2 shown]
.LBB125_23:                             ; =>This Inner Loop Header: Depth=1
	global_load_b32 v48, v[17:18], off
	s_clause 0x3
	global_load_b128 v[32:35], v[9:10], off offset:48
	global_load_b128 v[36:39], v[9:10], off offset:32
	global_load_b128 v[40:43], v[9:10], off offset:16
	global_load_b128 v[44:47], v[9:10], off
	s_waitcnt vmcnt(4)
	v_subrev_nc_u32_e32 v48, s12, v48
	s_delay_alu instid0(VALU_DEP_1) | instskip(NEXT) | instid1(VALU_DEP_1)
	v_lshlrev_b32_e32 v48, 2, v48
	v_ashrrev_i32_e32 v49, 31, v48
	s_delay_alu instid0(VALU_DEP_1) | instskip(SKIP_1) | instid1(VALU_DEP_1)
	v_lshlrev_b64 v[48:49], 3, v[48:49]
	s_waitcnt lgkmcnt(0)
	v_add_co_u32 v52, vcc_lo, s4, v48
	s_delay_alu instid0(VALU_DEP_2)
	v_add_co_ci_u32_e32 v53, vcc_lo, s5, v49, vcc_lo
	v_add_co_u32 v9, vcc_lo, 0x100, v9
	v_add_co_ci_u32_e32 v10, vcc_lo, 0, v10, vcc_lo
	s_clause 0x1
	global_load_b128 v[48:51], v[52:53], off
	global_load_b128 v[52:55], v[52:53], off offset:16
	v_add_co_u32 v11, vcc_lo, v11, 4
	v_add_co_ci_u32_e32 v12, vcc_lo, 0, v12, vcc_lo
	v_add_co_u32 v15, vcc_lo, v15, -4
	v_add_co_ci_u32_e32 v16, vcc_lo, -1, v16, vcc_lo
	v_add_co_u32 v17, vcc_lo, v17, 16
	v_add_co_ci_u32_e32 v18, vcc_lo, 0, v18, vcc_lo
	s_delay_alu instid0(VALU_DEP_3)
	v_cmp_eq_u64_e32 vcc_lo, 0, v[15:16]
	s_or_b32 s10, vcc_lo, s10
	s_waitcnt vmcnt(1)
	v_fmac_f32_e32 v29, 0, v48
	v_fmac_f32_e32 v25, v32, v48
	;; [unrolled: 1-line block ×3, first 2 shown]
	s_delay_alu instid0(VALU_DEP_3) | instskip(NEXT) | instid1(VALU_DEP_3)
	v_dual_fmac_f32 v24, 0, v48 :: v_dual_fmac_f32 v29, v36, v49
	v_fmac_f32_e32 v25, 0x80000000, v49
	s_delay_alu instid0(VALU_DEP_3) | instskip(NEXT) | instid1(VALU_DEP_3)
	v_dual_fmac_f32 v27, 0, v48 :: v_dual_fmac_f32 v26, 0x80000000, v49
	v_dual_fmac_f32 v30, v36, v48 :: v_dual_fmac_f32 v29, 0, v50
	v_fmac_f32_e32 v31, 0, v48
	s_delay_alu instid0(VALU_DEP_3) | instskip(SKIP_4) | instid1(VALU_DEP_4)
	v_fmac_f32_e32 v27, v40, v49
	v_fmac_f32_e32 v28, v40, v48
	v_fmac_f32_e32 v24, v44, v49
	v_fmac_f32_e32 v30, 0x80000000, v49
	v_dual_fmac_f32 v31, v32, v49 :: v_dual_fmac_f32 v26, v45, v50
	v_dual_fmac_f32 v27, 0, v50 :: v_dual_fmac_f32 v28, 0x80000000, v49
	s_delay_alu instid0(VALU_DEP_4) | instskip(NEXT) | instid1(VALU_DEP_3)
	v_fmac_f32_e32 v24, 0, v50
	v_dual_fmac_f32 v25, v33, v50 :: v_dual_fmac_f32 v26, 0x80000000, v51
	s_delay_alu instid0(VALU_DEP_3) | instskip(NEXT) | instid1(VALU_DEP_4)
	v_fmac_f32_e32 v27, v41, v51
	v_fmac_f32_e32 v28, v41, v50
	s_delay_alu instid0(VALU_DEP_4) | instskip(SKIP_1) | instid1(VALU_DEP_3)
	v_dual_fmac_f32 v31, 0, v50 :: v_dual_fmac_f32 v24, v45, v51
	s_waitcnt vmcnt(0)
	v_dual_fmac_f32 v30, v37, v50 :: v_dual_fmac_f32 v27, 0, v52
	v_dual_fmac_f32 v29, v37, v51 :: v_dual_fmac_f32 v26, v46, v52
	v_fmac_f32_e32 v25, 0x80000000, v51
	v_fmac_f32_e32 v28, 0x80000000, v51
	v_dual_fmac_f32 v31, v33, v51 :: v_dual_fmac_f32 v24, 0, v52
	s_delay_alu instid0(VALU_DEP_3) | instskip(SKIP_1) | instid1(VALU_DEP_4)
	v_dual_fmac_f32 v30, 0x80000000, v51 :: v_dual_fmac_f32 v25, v34, v52
	v_fmac_f32_e32 v29, 0, v52
	v_fmac_f32_e32 v28, v42, v52
	s_delay_alu instid0(VALU_DEP_4) | instskip(SKIP_2) | instid1(VALU_DEP_4)
	v_dual_fmac_f32 v31, 0, v52 :: v_dual_fmac_f32 v26, 0x80000000, v53
	v_fmac_f32_e32 v27, v42, v53
	v_fmac_f32_e32 v25, 0x80000000, v53
	;; [unrolled: 1-line block ×3, first 2 shown]
	s_delay_alu instid0(VALU_DEP_4) | instskip(NEXT) | instid1(VALU_DEP_4)
	v_dual_fmac_f32 v29, v38, v53 :: v_dual_fmac_f32 v26, v47, v54
	v_dual_fmac_f32 v30, v38, v52 :: v_dual_fmac_f32 v27, 0, v54
	s_delay_alu instid0(VALU_DEP_2) | instskip(SKIP_2) | instid1(VALU_DEP_4)
	v_dual_fmac_f32 v24, v46, v53 :: v_dual_fmac_f32 v29, 0, v54
	v_fmac_f32_e32 v25, v35, v54
	v_dual_fmac_f32 v31, v34, v53 :: v_dual_fmac_f32 v28, v43, v54
	v_fmac_f32_e32 v30, 0x80000000, v53
	s_delay_alu instid0(VALU_DEP_4) | instskip(NEXT) | instid1(VALU_DEP_3)
	v_fmac_f32_e32 v24, 0, v54
	v_dual_fmac_f32 v26, 0x80000000, v55 :: v_dual_fmac_f32 v31, 0, v54
	s_delay_alu instid0(VALU_DEP_4) | instskip(NEXT) | instid1(VALU_DEP_4)
	v_fmac_f32_e32 v28, 0x80000000, v55
	v_dual_fmac_f32 v30, v39, v54 :: v_dual_fmac_f32 v25, 0x80000000, v55
	s_delay_alu instid0(VALU_DEP_4) | instskip(SKIP_2) | instid1(VALU_DEP_4)
	v_fmac_f32_e32 v24, v47, v55
	v_fmac_f32_e32 v27, v43, v55
	;; [unrolled: 1-line block ×5, first 2 shown]
	s_and_not1_b32 exec_lo, exec_lo, s10
	s_cbranch_execnz .LBB125_23
; %bb.24:
	s_or_b32 exec_lo, exec_lo, s10
.LBB125_25:
	s_delay_alu instid0(SALU_CYCLE_1) | instskip(NEXT) | instid1(SALU_CYCLE_1)
	s_or_b32 exec_lo, exec_lo, s7
	s_mov_b32 s7, exec_lo
	v_cmpx_lt_u64_e32 11, v[13:14]
	s_cbranch_execz .LBB125_29
; %bb.26:
	v_lshlrev_b64 v[13:14], 2, v[11:12]
	s_mov_b32 s10, 0
	s_delay_alu instid0(VALU_DEP_1) | instskip(NEXT) | instid1(VALU_DEP_2)
	v_add_co_u32 v13, vcc_lo, v13, s8
	v_add_co_ci_u32_e32 v14, vcc_lo, s9, v14, vcc_lo
	s_delay_alu instid0(VALU_DEP_2) | instskip(NEXT) | instid1(VALU_DEP_2)
	v_add_co_u32 v13, vcc_lo, v13, 32
	v_add_co_ci_u32_e32 v14, vcc_lo, 0, v14, vcc_lo
.LBB125_27:                             ; =>This Inner Loop Header: Depth=1
	s_clause 0x3
	global_load_b32 v92, v[13:14], off offset:-32
	global_load_b32 v93, v[13:14], off offset:-16
	global_load_b32 v94, v[13:14], off
	global_load_b32 v95, v[13:14], off offset:16
	s_clause 0xf
	global_load_b128 v[15:18], v[9:10], off offset:48
	global_load_b128 v[32:35], v[9:10], off offset:32
	;; [unrolled: 1-line block ×3, first 2 shown]
	global_load_b128 v[40:43], v[9:10], off
	global_load_b128 v[44:47], v[9:10], off offset:304
	global_load_b128 v[48:51], v[9:10], off offset:288
	;; [unrolled: 1-line block ×12, first 2 shown]
	s_waitcnt vmcnt(19)
	v_subrev_nc_u32_e32 v92, s12, v92
	s_waitcnt vmcnt(18)
	v_subrev_nc_u32_e32 v93, s12, v93
	s_waitcnt vmcnt(17)
	v_subrev_nc_u32_e32 v96, s12, v94
	s_waitcnt vmcnt(16)
	v_subrev_nc_u32_e32 v95, s12, v95
	v_lshlrev_b32_e32 v92, 2, v92
	v_lshlrev_b32_e32 v94, 2, v93
	;; [unrolled: 1-line block ×3, first 2 shown]
	s_delay_alu instid0(VALU_DEP_4) | instskip(NEXT) | instid1(VALU_DEP_4)
	v_lshlrev_b32_e32 v98, 2, v95
	v_ashrrev_i32_e32 v93, 31, v92
	s_delay_alu instid0(VALU_DEP_4) | instskip(NEXT) | instid1(VALU_DEP_4)
	v_ashrrev_i32_e32 v95, 31, v94
	v_ashrrev_i32_e32 v97, 31, v96
	s_delay_alu instid0(VALU_DEP_4) | instskip(NEXT) | instid1(VALU_DEP_4)
	v_ashrrev_i32_e32 v99, 31, v98
	v_lshlrev_b64 v[92:93], 3, v[92:93]
	s_delay_alu instid0(VALU_DEP_4) | instskip(NEXT) | instid1(VALU_DEP_4)
	v_lshlrev_b64 v[94:95], 3, v[94:95]
	v_lshlrev_b64 v[96:97], 3, v[96:97]
	s_delay_alu instid0(VALU_DEP_4) | instskip(SKIP_1) | instid1(VALU_DEP_4)
	v_lshlrev_b64 v[98:99], 3, v[98:99]
	s_waitcnt lgkmcnt(0)
	v_add_co_u32 v100, vcc_lo, s4, v92
	v_add_co_ci_u32_e32 v101, vcc_lo, s5, v93, vcc_lo
	v_add_co_u32 v104, vcc_lo, s4, v94
	v_add_co_ci_u32_e32 v105, vcc_lo, s5, v95, vcc_lo
	;; [unrolled: 2-line block ×4, first 2 shown]
	s_clause 0x7
	global_load_b128 v[92:95], v[100:101], off
	global_load_b128 v[96:99], v[100:101], off offset:16
	global_load_b128 v[100:103], v[104:105], off
	global_load_b128 v[104:107], v[104:105], off offset:16
	;; [unrolled: 2-line block ×4, first 2 shown]
	v_add_co_u32 v11, vcc_lo, v11, 16
	v_add_co_ci_u32_e32 v12, vcc_lo, 0, v12, vcc_lo
	v_add_co_u32 v9, vcc_lo, 0x400, v9
	v_add_co_ci_u32_e32 v10, vcc_lo, 0, v10, vcc_lo
	;; [unrolled: 2-line block ×3, first 2 shown]
	v_cmp_ge_i64_e32 vcc_lo, v[11:12], v[2:3]
	s_or_b32 s10, vcc_lo, s10
	s_waitcnt vmcnt(7)
	v_fmac_f32_e32 v29, 0, v92
	v_fmac_f32_e32 v27, 0, v92
	;; [unrolled: 1-line block ×5, first 2 shown]
	s_delay_alu instid0(VALU_DEP_4)
	v_dual_fmac_f32 v24, 0, v92 :: v_dual_fmac_f32 v27, v36, v93
	v_fmac_f32_e32 v28, v36, v92
	v_fmac_f32_e32 v29, v32, v93
	v_dual_fmac_f32 v30, v32, v92 :: v_dual_fmac_f32 v25, 0x80000000, v93
	v_fmac_f32_e32 v26, 0x80000000, v93
	v_fmac_f32_e32 v31, v15, v93
	s_delay_alu instid0(VALU_DEP_4) | instskip(NEXT) | instid1(VALU_DEP_4)
	v_dual_fmac_f32 v29, 0, v94 :: v_dual_fmac_f32 v24, v40, v93
	v_dual_fmac_f32 v30, 0x80000000, v93 :: v_dual_fmac_f32 v27, 0, v94
	s_delay_alu instid0(VALU_DEP_3) | instskip(SKIP_2) | instid1(VALU_DEP_4)
	v_dual_fmac_f32 v31, 0, v94 :: v_dual_fmac_f32 v28, 0x80000000, v93
	v_fmac_f32_e32 v25, v16, v94
	v_fmac_f32_e32 v26, v41, v94
	v_dual_fmac_f32 v24, 0, v94 :: v_dual_fmac_f32 v27, v37, v95
	s_delay_alu instid0(VALU_DEP_4)
	v_dual_fmac_f32 v28, v37, v94 :: v_dual_fmac_f32 v31, v16, v95
	v_fmac_f32_e32 v30, v33, v94
	v_fmac_f32_e32 v29, v33, v95
	;; [unrolled: 1-line block ×4, first 2 shown]
	s_waitcnt vmcnt(6)
	v_dual_fmac_f32 v24, v41, v95 :: v_dual_fmac_f32 v31, 0, v96
	s_delay_alu instid0(VALU_DEP_3)
	v_dual_fmac_f32 v28, 0x80000000, v95 :: v_dual_fmac_f32 v25, v17, v96
	v_dual_fmac_f32 v27, 0, v96 :: v_dual_fmac_f32 v30, 0x80000000, v95
	v_fmac_f32_e32 v29, 0, v96
	v_fmac_f32_e32 v26, v42, v96
	;; [unrolled: 1-line block ×3, first 2 shown]
	v_dual_fmac_f32 v28, v38, v96 :: v_dual_fmac_f32 v25, 0x80000000, v97
	v_fmac_f32_e32 v27, v38, v97
	v_dual_fmac_f32 v30, v34, v96 :: v_dual_fmac_f32 v31, v17, v97
	v_fmac_f32_e32 v26, 0x80000000, v97
	v_fmac_f32_e32 v29, v34, v97
	s_delay_alu instid0(VALU_DEP_4) | instskip(SKIP_4) | instid1(VALU_DEP_4)
	v_dual_fmac_f32 v27, 0, v98 :: v_dual_fmac_f32 v24, v42, v97
	v_dual_fmac_f32 v28, 0x80000000, v97 :: v_dual_fmac_f32 v25, v18, v98
	;; [unrolled: 1-line block ×3, first 2 shown]
	v_fmac_f32_e32 v26, v43, v98
	v_fmac_f32_e32 v29, 0, v98
	v_dual_fmac_f32 v25, 0x80000000, v99 :: v_dual_fmac_f32 v24, 0, v98
	v_fmac_f32_e32 v27, v39, v99
	v_dual_fmac_f32 v28, v39, v98 :: v_dual_fmac_f32 v31, v18, v99
	v_fmac_f32_e32 v30, v35, v98
	v_fmac_f32_e32 v29, v35, v99
	;; [unrolled: 1-line block ×3, first 2 shown]
	s_waitcnt vmcnt(5)
	v_dual_fmac_f32 v24, v43, v99 :: v_dual_fmac_f32 v25, v44, v100
	v_dual_fmac_f32 v28, 0x80000000, v99 :: v_dual_fmac_f32 v31, 0, v100
	;; [unrolled: 1-line block ×3, first 2 shown]
	v_fmac_f32_e32 v29, 0, v100
	v_fmac_f32_e32 v26, v56, v100
	;; [unrolled: 1-line block ×3, first 2 shown]
	v_dual_fmac_f32 v28, v52, v100 :: v_dual_fmac_f32 v25, 0x80000000, v101
	v_fmac_f32_e32 v27, v52, v101
	v_fmac_f32_e32 v30, v48, v100
	v_fmac_f32_e32 v29, v48, v101
	v_fmac_f32_e32 v26, 0x80000000, v101
	v_dual_fmac_f32 v24, v56, v101 :: v_dual_fmac_f32 v25, v45, v102
	s_delay_alu instid0(VALU_DEP_4) | instskip(NEXT) | instid1(VALU_DEP_4)
	v_dual_fmac_f32 v27, 0, v102 :: v_dual_fmac_f32 v30, 0x80000000, v101
	v_fmac_f32_e32 v29, 0, v102
	s_delay_alu instid0(VALU_DEP_4) | instskip(SKIP_1) | instid1(VALU_DEP_3)
	v_dual_fmac_f32 v31, v44, v101 :: v_dual_fmac_f32 v26, v57, v102
	v_fmac_f32_e32 v28, 0x80000000, v101
	v_dual_fmac_f32 v24, 0, v102 :: v_dual_fmac_f32 v29, v49, v103
	s_delay_alu instid0(VALU_DEP_3) | instskip(NEXT) | instid1(VALU_DEP_3)
	v_dual_fmac_f32 v31, 0, v102 :: v_dual_fmac_f32 v26, 0x80000000, v103
	v_dual_fmac_f32 v28, v53, v102 :: v_dual_fmac_f32 v25, 0x80000000, v103
	v_fmac_f32_e32 v27, v53, v103
	v_fmac_f32_e32 v30, v49, v102
	s_waitcnt vmcnt(4)
	v_dual_fmac_f32 v24, v57, v103 :: v_dual_fmac_f32 v29, 0, v104
	v_fmac_f32_e32 v25, v46, v104
	v_dual_fmac_f32 v31, v45, v103 :: v_dual_fmac_f32 v26, v58, v104
	v_dual_fmac_f32 v28, 0x80000000, v103 :: v_dual_fmac_f32 v27, 0, v104
	v_fmac_f32_e32 v30, 0x80000000, v103
	v_dual_fmac_f32 v24, 0, v104 :: v_dual_fmac_f32 v29, v50, v105
	s_delay_alu instid0(VALU_DEP_4) | instskip(NEXT) | instid1(VALU_DEP_4)
	v_fmac_f32_e32 v31, 0, v104
	v_dual_fmac_f32 v28, v54, v104 :: v_dual_fmac_f32 v25, 0x80000000, v105
	s_delay_alu instid0(VALU_DEP_3) | instskip(SKIP_2) | instid1(VALU_DEP_4)
	v_dual_fmac_f32 v26, 0x80000000, v105 :: v_dual_fmac_f32 v29, 0, v106
	v_fmac_f32_e32 v27, v54, v105
	v_fmac_f32_e32 v30, v50, v104
	v_dual_fmac_f32 v24, v58, v105 :: v_dual_fmac_f32 v25, v47, v106
	s_delay_alu instid0(VALU_DEP_4) | instskip(NEXT) | instid1(VALU_DEP_4)
	v_dual_fmac_f32 v31, v46, v105 :: v_dual_fmac_f32 v26, v59, v106
	v_dual_fmac_f32 v28, 0x80000000, v105 :: v_dual_fmac_f32 v27, 0, v106
	s_delay_alu instid0(VALU_DEP_4) | instskip(NEXT) | instid1(VALU_DEP_4)
	v_fmac_f32_e32 v30, 0x80000000, v105
	v_dual_fmac_f32 v24, 0, v106 :: v_dual_fmac_f32 v29, v51, v107
	s_delay_alu instid0(VALU_DEP_4) | instskip(NEXT) | instid1(VALU_DEP_4)
	v_fmac_f32_e32 v31, 0, v106
	v_dual_fmac_f32 v28, v55, v106 :: v_dual_fmac_f32 v25, 0x80000000, v107
	s_waitcnt vmcnt(3)
	s_delay_alu instid0(VALU_DEP_3) | instskip(SKIP_3) | instid1(VALU_DEP_4)
	v_dual_fmac_f32 v26, 0x80000000, v107 :: v_dual_fmac_f32 v29, 0, v108
	v_fmac_f32_e32 v27, v55, v107
	v_fmac_f32_e32 v30, v51, v106
	v_dual_fmac_f32 v24, v59, v107 :: v_dual_fmac_f32 v25, v60, v108
	v_dual_fmac_f32 v31, v47, v107 :: v_dual_fmac_f32 v26, v72, v108
	s_delay_alu instid0(VALU_DEP_4) | instskip(NEXT) | instid1(VALU_DEP_4)
	v_dual_fmac_f32 v28, 0x80000000, v107 :: v_dual_fmac_f32 v27, 0, v108
	v_fmac_f32_e32 v30, 0x80000000, v107
	s_delay_alu instid0(VALU_DEP_4) | instskip(NEXT) | instid1(VALU_DEP_4)
	v_dual_fmac_f32 v24, 0, v108 :: v_dual_fmac_f32 v29, v64, v109
	v_fmac_f32_e32 v31, 0, v108
	s_delay_alu instid0(VALU_DEP_4) | instskip(NEXT) | instid1(VALU_DEP_3)
	v_dual_fmac_f32 v28, v68, v108 :: v_dual_fmac_f32 v25, 0x80000000, v109
	v_dual_fmac_f32 v26, 0x80000000, v109 :: v_dual_fmac_f32 v29, 0, v110
	v_fmac_f32_e32 v27, v68, v109
	v_fmac_f32_e32 v30, v64, v108
	s_delay_alu instid0(VALU_DEP_4) | instskip(NEXT) | instid1(VALU_DEP_4)
	v_dual_fmac_f32 v24, v72, v109 :: v_dual_fmac_f32 v25, v61, v110
	v_dual_fmac_f32 v31, v60, v109 :: v_dual_fmac_f32 v26, v73, v110
	s_delay_alu instid0(VALU_DEP_4) | instskip(NEXT) | instid1(VALU_DEP_4)
	v_dual_fmac_f32 v28, 0x80000000, v109 :: v_dual_fmac_f32 v27, 0, v110
	v_fmac_f32_e32 v30, 0x80000000, v109
	s_delay_alu instid0(VALU_DEP_4) | instskip(NEXT) | instid1(VALU_DEP_4)
	v_dual_fmac_f32 v24, 0, v110 :: v_dual_fmac_f32 v29, v65, v111
	v_fmac_f32_e32 v31, 0, v110
	s_delay_alu instid0(VALU_DEP_4) | instskip(SKIP_1) | instid1(VALU_DEP_3)
	v_dual_fmac_f32 v28, v69, v110 :: v_dual_fmac_f32 v25, 0x80000000, v111
	s_waitcnt vmcnt(2)
	v_dual_fmac_f32 v26, 0x80000000, v111 :: v_dual_fmac_f32 v29, 0, v112
	v_fmac_f32_e32 v27, v69, v111
	v_fmac_f32_e32 v30, v65, v110
	v_dual_fmac_f32 v24, v73, v111 :: v_dual_fmac_f32 v25, v62, v112
	s_delay_alu instid0(VALU_DEP_4) | instskip(NEXT) | instid1(VALU_DEP_4)
	v_dual_fmac_f32 v31, v61, v111 :: v_dual_fmac_f32 v26, v74, v112
	v_dual_fmac_f32 v28, 0x80000000, v111 :: v_dual_fmac_f32 v27, 0, v112
	s_delay_alu instid0(VALU_DEP_4) | instskip(NEXT) | instid1(VALU_DEP_4)
	v_fmac_f32_e32 v30, 0x80000000, v111
	v_dual_fmac_f32 v24, 0, v112 :: v_dual_fmac_f32 v29, v66, v113
	s_delay_alu instid0(VALU_DEP_4) | instskip(NEXT) | instid1(VALU_DEP_4)
	v_fmac_f32_e32 v31, 0, v112
	v_dual_fmac_f32 v28, v70, v112 :: v_dual_fmac_f32 v25, 0x80000000, v113
	s_delay_alu instid0(VALU_DEP_3) | instskip(SKIP_2) | instid1(VALU_DEP_4)
	v_dual_fmac_f32 v26, 0x80000000, v113 :: v_dual_fmac_f32 v29, 0, v114
	v_fmac_f32_e32 v27, v70, v113
	v_fmac_f32_e32 v30, v66, v112
	v_dual_fmac_f32 v24, v74, v113 :: v_dual_fmac_f32 v25, v63, v114
	s_delay_alu instid0(VALU_DEP_4) | instskip(NEXT) | instid1(VALU_DEP_4)
	v_dual_fmac_f32 v31, v62, v113 :: v_dual_fmac_f32 v26, v75, v114
	v_dual_fmac_f32 v28, 0x80000000, v113 :: v_dual_fmac_f32 v27, 0, v114
	s_delay_alu instid0(VALU_DEP_4) | instskip(NEXT) | instid1(VALU_DEP_4)
	v_fmac_f32_e32 v30, 0x80000000, v113
	v_dual_fmac_f32 v24, 0, v114 :: v_dual_fmac_f32 v29, v67, v115
	s_delay_alu instid0(VALU_DEP_4) | instskip(NEXT) | instid1(VALU_DEP_4)
	v_fmac_f32_e32 v31, 0, v114
	v_dual_fmac_f32 v28, v71, v114 :: v_dual_fmac_f32 v25, 0x80000000, v115
	s_waitcnt vmcnt(1)
	s_delay_alu instid0(VALU_DEP_3) | instskip(SKIP_3) | instid1(VALU_DEP_4)
	v_dual_fmac_f32 v26, 0x80000000, v115 :: v_dual_fmac_f32 v29, 0, v116
	v_fmac_f32_e32 v27, v71, v115
	v_fmac_f32_e32 v30, v67, v114
	v_dual_fmac_f32 v24, v75, v115 :: v_dual_fmac_f32 v25, v76, v116
	v_dual_fmac_f32 v31, v63, v115 :: v_dual_fmac_f32 v26, v88, v116
	s_delay_alu instid0(VALU_DEP_4) | instskip(NEXT) | instid1(VALU_DEP_4)
	v_dual_fmac_f32 v28, 0x80000000, v115 :: v_dual_fmac_f32 v27, 0, v116
	v_fmac_f32_e32 v30, 0x80000000, v115
	s_delay_alu instid0(VALU_DEP_4) | instskip(NEXT) | instid1(VALU_DEP_4)
	v_dual_fmac_f32 v24, 0, v116 :: v_dual_fmac_f32 v29, v80, v117
	v_fmac_f32_e32 v31, 0, v116
	s_delay_alu instid0(VALU_DEP_4) | instskip(NEXT) | instid1(VALU_DEP_3)
	v_dual_fmac_f32 v28, v84, v116 :: v_dual_fmac_f32 v25, 0x80000000, v117
	v_dual_fmac_f32 v26, 0x80000000, v117 :: v_dual_fmac_f32 v29, 0, v118
	v_fmac_f32_e32 v27, v84, v117
	v_fmac_f32_e32 v30, v80, v116
	s_delay_alu instid0(VALU_DEP_4) | instskip(NEXT) | instid1(VALU_DEP_4)
	v_dual_fmac_f32 v24, v88, v117 :: v_dual_fmac_f32 v25, v77, v118
	v_dual_fmac_f32 v31, v76, v117 :: v_dual_fmac_f32 v26, v89, v118
	s_delay_alu instid0(VALU_DEP_4) | instskip(NEXT) | instid1(VALU_DEP_4)
	v_dual_fmac_f32 v28, 0x80000000, v117 :: v_dual_fmac_f32 v27, 0, v118
	v_fmac_f32_e32 v30, 0x80000000, v117
	s_delay_alu instid0(VALU_DEP_4) | instskip(NEXT) | instid1(VALU_DEP_4)
	v_dual_fmac_f32 v24, 0, v118 :: v_dual_fmac_f32 v29, v81, v119
	v_fmac_f32_e32 v31, 0, v118
	s_delay_alu instid0(VALU_DEP_4) | instskip(SKIP_1) | instid1(VALU_DEP_3)
	v_dual_fmac_f32 v28, v85, v118 :: v_dual_fmac_f32 v25, 0x80000000, v119
	s_waitcnt vmcnt(0)
	v_dual_fmac_f32 v26, 0x80000000, v119 :: v_dual_fmac_f32 v29, 0, v120
	v_fmac_f32_e32 v27, v85, v119
	v_fmac_f32_e32 v30, v81, v118
	v_dual_fmac_f32 v24, v89, v119 :: v_dual_fmac_f32 v25, v78, v120
	s_delay_alu instid0(VALU_DEP_4) | instskip(NEXT) | instid1(VALU_DEP_4)
	v_dual_fmac_f32 v31, v77, v119 :: v_dual_fmac_f32 v26, v90, v120
	v_dual_fmac_f32 v28, 0x80000000, v119 :: v_dual_fmac_f32 v27, 0, v120
	s_delay_alu instid0(VALU_DEP_4) | instskip(NEXT) | instid1(VALU_DEP_4)
	v_fmac_f32_e32 v30, 0x80000000, v119
	v_dual_fmac_f32 v24, 0, v120 :: v_dual_fmac_f32 v29, v82, v121
	s_delay_alu instid0(VALU_DEP_4) | instskip(NEXT) | instid1(VALU_DEP_4)
	v_fmac_f32_e32 v31, 0, v120
	v_dual_fmac_f32 v28, v86, v120 :: v_dual_fmac_f32 v25, 0x80000000, v121
	s_delay_alu instid0(VALU_DEP_3) | instskip(SKIP_2) | instid1(VALU_DEP_4)
	v_dual_fmac_f32 v26, 0x80000000, v121 :: v_dual_fmac_f32 v29, 0, v122
	v_fmac_f32_e32 v27, v86, v121
	v_fmac_f32_e32 v30, v82, v120
	v_dual_fmac_f32 v24, v90, v121 :: v_dual_fmac_f32 v25, v79, v122
	s_delay_alu instid0(VALU_DEP_4) | instskip(NEXT) | instid1(VALU_DEP_4)
	v_dual_fmac_f32 v31, v78, v121 :: v_dual_fmac_f32 v26, v91, v122
	v_dual_fmac_f32 v28, 0x80000000, v121 :: v_dual_fmac_f32 v27, 0, v122
	s_delay_alu instid0(VALU_DEP_4) | instskip(NEXT) | instid1(VALU_DEP_4)
	v_fmac_f32_e32 v30, 0x80000000, v121
	v_dual_fmac_f32 v24, 0, v122 :: v_dual_fmac_f32 v29, v83, v123
	s_delay_alu instid0(VALU_DEP_4) | instskip(NEXT) | instid1(VALU_DEP_4)
	v_fmac_f32_e32 v31, 0, v122
	v_dual_fmac_f32 v28, v87, v122 :: v_dual_fmac_f32 v25, 0x80000000, v123
	v_fmac_f32_e32 v27, v87, v123
	v_fmac_f32_e32 v30, v83, v122
	;; [unrolled: 1-line block ×7, first 2 shown]
	s_and_not1_b32 exec_lo, exec_lo, s10
	s_cbranch_execnz .LBB125_27
; %bb.28:
	s_or_b32 exec_lo, exec_lo, s10
.LBB125_29:
	s_delay_alu instid0(SALU_CYCLE_1)
	s_or_b32 exec_lo, exec_lo, s7
.LBB125_30:
	s_delay_alu instid0(SALU_CYCLE_1) | instskip(NEXT) | instid1(SALU_CYCLE_1)
	s_or_b32 exec_lo, exec_lo, s6
	s_and_not1_b32 vcc_lo, exec_lo, s3
	s_cbranch_vccz .LBB125_32
	s_branch .LBB125_43
.LBB125_31:
                                        ; implicit-def: $vgpr24
                                        ; implicit-def: $vgpr26
                                        ; implicit-def: $vgpr27
                                        ; implicit-def: $vgpr28
                                        ; implicit-def: $vgpr29
                                        ; implicit-def: $vgpr30
                                        ; implicit-def: $vgpr31
                                        ; implicit-def: $vgpr25
.LBB125_32:
	v_dual_mov_b32 v24, 0 :: v_dual_mov_b32 v27, 0
	v_dual_mov_b32 v26, 0 :: v_dual_mov_b32 v29, 0
	v_dual_mov_b32 v28, 0 :: v_dual_mov_b32 v31, 0
	v_dual_mov_b32 v30, 0 :: v_dual_mov_b32 v25, 0
	s_and_saveexec_b32 s3, s2
	s_cbranch_execz .LBB125_42
; %bb.33:
	v_or_b32_e32 v9, 4, v23
	v_dual_mov_b32 v25, 0 :: v_dual_mov_b32 v28, 0
	v_dual_mov_b32 v31, 0 :: v_dual_mov_b32 v26, 0
	s_delay_alu instid0(VALU_DEP_3) | instskip(NEXT) | instid1(VALU_DEP_1)
	v_sub_co_u32 v9, s2, v9, s12
	v_sub_co_ci_u32_e64 v10, null, 0, 0, s2
	v_sub_co_u32 v11, s2, s12, v23
	s_delay_alu instid0(VALU_DEP_3) | instskip(NEXT) | instid1(VALU_DEP_3)
	v_add_co_u32 v9, vcc_lo, v9, v6
	v_add_co_ci_u32_e32 v10, vcc_lo, v10, v7, vcc_lo
	v_not_b32_e32 v6, v6
	v_not_b32_e32 v7, v7
	v_sub_co_ci_u32_e64 v12, null, 0, 0, s2
	s_delay_alu instid0(VALU_DEP_4)
	v_cmp_gt_i64_e32 vcc_lo, v[9:10], v[2:3]
	v_mov_b32_e32 v29, 0
	v_mov_b32_e32 v27, 0
	s_mov_b32 s6, 0
	s_mov_b32 s2, exec_lo
	v_mov_b32_e32 v30, 0
	v_dual_cndmask_b32 v10, v3, v10 :: v_dual_cndmask_b32 v9, v2, v9
	v_add_co_u32 v6, vcc_lo, v11, v6
	v_add_co_ci_u32_e32 v7, vcc_lo, v12, v7, vcc_lo
	v_mov_b32_e32 v24, 0
	s_delay_alu instid0(VALU_DEP_3) | instskip(NEXT) | instid1(VALU_DEP_3)
	v_add_co_u32 v6, vcc_lo, v6, v9
	v_add_co_ci_u32_e32 v7, vcc_lo, v7, v10, vcc_lo
	s_delay_alu instid0(VALU_DEP_2) | instskip(NEXT) | instid1(VALU_DEP_1)
	v_lshrrev_b32_e32 v9, 2, v6
	v_add_nc_u32_e32 v9, 1, v9
	s_delay_alu instid0(VALU_DEP_1) | instskip(NEXT) | instid1(VALU_DEP_1)
	v_and_b32_e32 v9, 3, v9
	v_cmpx_ne_u32_e32 0, v9
	s_cbranch_execz .LBB125_37
; %bb.34:
	v_lshlrev_b64 v[11:12], 2, v[0:1]
	v_dual_mov_b32 v10, 0 :: v_dual_lshlrev_b32 v9, 2, v9
	s_delay_alu instid0(VALU_DEP_1) | instskip(NEXT) | instid1(VALU_DEP_3)
	v_mov_b32_e32 v24, v10
	v_add_co_u32 v11, vcc_lo, s8, v11
	s_delay_alu instid0(VALU_DEP_4)
	v_add_co_ci_u32_e32 v12, vcc_lo, s9, v12, vcc_lo
	v_mov_b32_e32 v26, v10
	v_mov_b32_e32 v27, v10
	;; [unrolled: 1-line block ×7, first 2 shown]
.LBB125_35:                             ; =>This Inner Loop Header: Depth=1
	global_load_b32 v17, v[11:12], off
	s_clause 0x1
	global_load_b128 v[13:16], v[4:5], off offset:16
	global_load_b128 v[32:35], v[4:5], off
	s_waitcnt vmcnt(2)
	v_subrev_nc_u32_e32 v17, s12, v17
	s_delay_alu instid0(VALU_DEP_1) | instskip(NEXT) | instid1(VALU_DEP_1)
	v_lshlrev_b32_e32 v17, 2, v17
	v_ashrrev_i32_e32 v18, 31, v17
	s_delay_alu instid0(VALU_DEP_1) | instskip(SKIP_1) | instid1(VALU_DEP_1)
	v_lshlrev_b64 v[17:18], 3, v[17:18]
	s_waitcnt lgkmcnt(0)
	v_add_co_u32 v17, vcc_lo, s4, v17
	s_delay_alu instid0(VALU_DEP_2)
	v_add_co_ci_u32_e32 v18, vcc_lo, s5, v18, vcc_lo
	s_clause 0x1
	global_load_b128 v[36:39], v[17:18], off
	global_load_b128 v[40:43], v[17:18], off offset:16
	s_clause 0x1
	global_load_b128 v[44:47], v[4:5], off offset:32
	global_load_b128 v[48:51], v[4:5], off offset:48
	v_add_co_u32 v4, vcc_lo, 0x100, v4
	v_add_co_ci_u32_e32 v5, vcc_lo, 0, v5, vcc_lo
	v_add_co_u32 v0, vcc_lo, v0, 4
	v_add_co_ci_u32_e32 v1, vcc_lo, 0, v1, vcc_lo
	v_add_co_u32 v9, vcc_lo, v9, -4
	v_add_co_ci_u32_e32 v10, vcc_lo, -1, v10, vcc_lo
	v_add_co_u32 v11, vcc_lo, v11, 16
	v_add_co_ci_u32_e32 v12, vcc_lo, 0, v12, vcc_lo
	s_delay_alu instid0(VALU_DEP_3) | instskip(SKIP_3) | instid1(VALU_DEP_1)
	v_cmp_eq_u64_e32 vcc_lo, 0, v[9:10]
	s_or_b32 s6, vcc_lo, s6
	s_waitcnt vmcnt(3)
	v_fmac_f32_e32 v26, v32, v36
	v_dual_fmac_f32 v27, 0, v36 :: v_dual_fmac_f32 v26, 0x80000000, v37
	s_delay_alu instid0(VALU_DEP_1) | instskip(NEXT) | instid1(VALU_DEP_2)
	v_dual_fmac_f32 v24, 0, v36 :: v_dual_fmac_f32 v27, v33, v37
	v_dual_fmac_f32 v29, 0, v36 :: v_dual_fmac_f32 v26, v13, v38
	s_delay_alu instid0(VALU_DEP_2) | instskip(NEXT) | instid1(VALU_DEP_2)
	v_fmac_f32_e32 v24, v32, v37
	v_dual_fmac_f32 v28, v33, v36 :: v_dual_fmac_f32 v29, v34, v37
	v_fmac_f32_e32 v25, v35, v36
	s_delay_alu instid0(VALU_DEP_4) | instskip(NEXT) | instid1(VALU_DEP_3)
	v_dual_fmac_f32 v27, 0, v38 :: v_dual_fmac_f32 v26, 0x80000000, v39
	v_fmac_f32_e32 v28, 0x80000000, v37
	s_delay_alu instid0(VALU_DEP_3) | instskip(SKIP_1) | instid1(VALU_DEP_2)
	v_dual_fmac_f32 v30, v34, v36 :: v_dual_fmac_f32 v25, 0x80000000, v37
	v_dual_fmac_f32 v31, 0, v36 :: v_dual_fmac_f32 v24, 0, v38
	;; [unrolled: 1-line block ×3, first 2 shown]
	v_fmac_f32_e32 v29, 0, v38
	s_delay_alu instid0(VALU_DEP_3) | instskip(SKIP_1) | instid1(VALU_DEP_3)
	v_dual_fmac_f32 v31, v35, v37 :: v_dual_fmac_f32 v24, v13, v39
	s_waitcnt vmcnt(2)
	v_dual_fmac_f32 v28, v14, v38 :: v_dual_fmac_f32 v27, 0, v40
	s_delay_alu instid0(VALU_DEP_3) | instskip(SKIP_4) | instid1(VALU_DEP_3)
	v_fmac_f32_e32 v29, v15, v39
	v_fmac_f32_e32 v25, v16, v38
	s_waitcnt vmcnt(1)
	v_fmac_f32_e32 v26, v44, v40
	v_dual_fmac_f32 v28, 0x80000000, v39 :: v_dual_fmac_f32 v27, v45, v41
	v_dual_fmac_f32 v30, v15, v38 :: v_dual_fmac_f32 v25, 0x80000000, v39
	s_delay_alu instid0(VALU_DEP_3) | instskip(SKIP_1) | instid1(VALU_DEP_3)
	v_dual_fmac_f32 v31, 0, v38 :: v_dual_fmac_f32 v26, 0x80000000, v41
	v_fmac_f32_e32 v24, 0, v40
	v_dual_fmac_f32 v30, 0x80000000, v39 :: v_dual_fmac_f32 v29, 0, v40
	s_delay_alu instid0(VALU_DEP_3)
	v_fmac_f32_e32 v31, v16, v39
	s_waitcnt vmcnt(0)
	v_fmac_f32_e32 v26, v48, v42
	v_fmac_f32_e32 v24, v44, v41
	v_dual_fmac_f32 v28, v45, v40 :: v_dual_fmac_f32 v29, v46, v41
	v_fmac_f32_e32 v25, v47, v40
	s_delay_alu instid0(VALU_DEP_4) | instskip(NEXT) | instid1(VALU_DEP_3)
	v_dual_fmac_f32 v27, 0, v42 :: v_dual_fmac_f32 v26, 0x80000000, v43
	v_fmac_f32_e32 v28, 0x80000000, v41
	s_delay_alu instid0(VALU_DEP_3) | instskip(SKIP_1) | instid1(VALU_DEP_2)
	v_dual_fmac_f32 v30, v46, v40 :: v_dual_fmac_f32 v25, 0x80000000, v41
	v_dual_fmac_f32 v31, 0, v40 :: v_dual_fmac_f32 v24, 0, v42
	;; [unrolled: 1-line block ×3, first 2 shown]
	v_fmac_f32_e32 v29, 0, v42
	s_delay_alu instid0(VALU_DEP_3) | instskip(NEXT) | instid1(VALU_DEP_2)
	v_dual_fmac_f32 v31, v47, v41 :: v_dual_fmac_f32 v24, v48, v43
	v_dual_fmac_f32 v28, v49, v42 :: v_dual_fmac_f32 v29, v50, v43
	s_delay_alu instid0(VALU_DEP_1) | instskip(NEXT) | instid1(VALU_DEP_1)
	v_dual_fmac_f32 v25, v51, v42 :: v_dual_fmac_f32 v28, 0x80000000, v43
	v_dual_fmac_f32 v30, v50, v42 :: v_dual_fmac_f32 v25, 0x80000000, v43
	s_delay_alu instid0(VALU_DEP_1) | instskip(NEXT) | instid1(VALU_DEP_1)
	v_dual_fmac_f32 v31, 0, v42 :: v_dual_fmac_f32 v30, 0x80000000, v43
	v_fmac_f32_e32 v31, v51, v43
	s_and_not1_b32 exec_lo, exec_lo, s6
	s_cbranch_execnz .LBB125_35
; %bb.36:
	s_or_b32 exec_lo, exec_lo, s6
.LBB125_37:
	s_delay_alu instid0(SALU_CYCLE_1) | instskip(NEXT) | instid1(SALU_CYCLE_1)
	s_or_b32 exec_lo, exec_lo, s2
	s_mov_b32 s2, exec_lo
	v_cmpx_lt_u64_e32 11, v[6:7]
	s_cbranch_execz .LBB125_41
; %bb.38:
	v_lshlrev_b64 v[6:7], 2, v[0:1]
	s_mov_b32 s6, 0
	s_delay_alu instid0(VALU_DEP_1) | instskip(NEXT) | instid1(VALU_DEP_2)
	v_add_co_u32 v6, vcc_lo, v6, s8
	v_add_co_ci_u32_e32 v7, vcc_lo, s9, v7, vcc_lo
	s_delay_alu instid0(VALU_DEP_2) | instskip(NEXT) | instid1(VALU_DEP_2)
	v_add_co_u32 v6, vcc_lo, v6, 32
	v_add_co_ci_u32_e32 v7, vcc_lo, 0, v7, vcc_lo
.LBB125_39:                             ; =>This Inner Loop Header: Depth=1
	s_clause 0x3
	global_load_b32 v17, v[6:7], off offset:-32
	global_load_b32 v18, v[6:7], off offset:-16
	global_load_b32 v80, v[6:7], off
	global_load_b32 v81, v[6:7], off offset:16
	s_clause 0xd
	global_load_b128 v[9:12], v[4:5], off offset:48
	global_load_b128 v[13:16], v[4:5], off offset:32
	;; [unrolled: 1-line block ×3, first 2 shown]
	global_load_b128 v[36:39], v[4:5], off
	global_load_b128 v[40:43], v[4:5], off offset:304
	global_load_b128 v[44:47], v[4:5], off offset:288
	;; [unrolled: 1-line block ×10, first 2 shown]
	s_waitcnt vmcnt(17)
	v_subrev_nc_u32_e32 v17, s12, v17
	s_waitcnt vmcnt(16)
	v_subrev_nc_u32_e32 v18, s12, v18
	;; [unrolled: 2-line block ×4, first 2 shown]
	v_lshlrev_b32_e32 v17, 2, v17
	v_lshlrev_b32_e32 v80, 2, v18
	;; [unrolled: 1-line block ×3, first 2 shown]
	s_delay_alu instid0(VALU_DEP_4) | instskip(NEXT) | instid1(VALU_DEP_4)
	v_lshlrev_b32_e32 v84, 2, v81
	v_ashrrev_i32_e32 v18, 31, v17
	s_delay_alu instid0(VALU_DEP_4) | instskip(NEXT) | instid1(VALU_DEP_4)
	v_ashrrev_i32_e32 v81, 31, v80
	v_ashrrev_i32_e32 v83, 31, v82
	s_delay_alu instid0(VALU_DEP_4) | instskip(NEXT) | instid1(VALU_DEP_4)
	v_ashrrev_i32_e32 v85, 31, v84
	v_lshlrev_b64 v[17:18], 3, v[17:18]
	s_delay_alu instid0(VALU_DEP_4) | instskip(NEXT) | instid1(VALU_DEP_4)
	v_lshlrev_b64 v[80:81], 3, v[80:81]
	v_lshlrev_b64 v[82:83], 3, v[82:83]
	s_delay_alu instid0(VALU_DEP_4) | instskip(SKIP_1) | instid1(VALU_DEP_4)
	v_lshlrev_b64 v[84:85], 3, v[84:85]
	s_waitcnt lgkmcnt(0)
	v_add_co_u32 v17, vcc_lo, s4, v17
	v_add_co_ci_u32_e32 v18, vcc_lo, s5, v18, vcc_lo
	v_add_co_u32 v92, vcc_lo, s4, v80
	v_add_co_ci_u32_e32 v93, vcc_lo, s5, v81, vcc_lo
	;; [unrolled: 2-line block ×4, first 2 shown]
	s_clause 0x6
	global_load_b128 v[80:83], v[17:18], off
	global_load_b128 v[84:87], v[17:18], off offset:16
	global_load_b128 v[88:91], v[92:93], off
	global_load_b128 v[92:95], v[92:93], off offset:16
	;; [unrolled: 2-line block ×4, first 2 shown]
	global_load_b128 v[112:115], v[112:113], off offset:16
	global_load_b128 v[116:119], v[4:5], off offset:816
	v_add_co_u32 v4, vcc_lo, 0x400, v4
	v_add_co_ci_u32_e32 v5, vcc_lo, 0, v5, vcc_lo
	v_add_co_u32 v0, vcc_lo, v0, 16
	v_add_co_ci_u32_e32 v1, vcc_lo, 0, v1, vcc_lo
	v_add_co_u32 v6, vcc_lo, v6, 64
	v_add_co_ci_u32_e32 v7, vcc_lo, 0, v7, vcc_lo
	s_delay_alu instid0(VALU_DEP_3)
	v_cmp_ge_i64_e32 vcc_lo, v[0:1], v[2:3]
	s_or_b32 s6, vcc_lo, s6
	s_waitcnt vmcnt(9)
	v_fmac_f32_e32 v29, 0, v80
	v_fmac_f32_e32 v26, v36, v80
	;; [unrolled: 1-line block ×8, first 2 shown]
	v_dual_fmac_f32 v31, 0, v80 :: v_dual_fmac_f32 v24, v36, v81
	v_fmac_f32_e32 v28, v37, v80
	v_fmac_f32_e32 v27, v37, v81
	;; [unrolled: 1-line block ×3, first 2 shown]
	s_delay_alu instid0(VALU_DEP_4) | instskip(SKIP_1) | instid1(VALU_DEP_4)
	v_fmac_f32_e32 v31, v39, v81
	v_dual_fmac_f32 v30, 0x80000000, v81 :: v_dual_fmac_f32 v29, 0, v82
	v_dual_fmac_f32 v28, 0x80000000, v81 :: v_dual_fmac_f32 v27, 0, v82
	v_fmac_f32_e32 v26, v32, v82
	s_delay_alu instid0(VALU_DEP_3) | instskip(SKIP_1) | instid1(VALU_DEP_4)
	v_dual_fmac_f32 v24, 0, v82 :: v_dual_fmac_f32 v29, v34, v83
	v_fmac_f32_e32 v31, 0, v82
	v_fmac_f32_e32 v27, v33, v83
	s_delay_alu instid0(VALU_DEP_4) | instskip(SKIP_3) | instid1(VALU_DEP_4)
	v_dual_fmac_f32 v25, v35, v82 :: v_dual_fmac_f32 v26, 0x80000000, v83
	v_fmac_f32_e32 v30, v34, v82
	v_fmac_f32_e32 v24, v32, v83
	v_dual_fmac_f32 v28, v33, v82 :: v_dual_fmac_f32 v31, v35, v83
	v_fmac_f32_e32 v25, 0x80000000, v83
	s_waitcnt vmcnt(8)
	v_dual_fmac_f32 v30, 0x80000000, v83 :: v_dual_fmac_f32 v29, 0, v84
	s_delay_alu instid0(VALU_DEP_3) | instskip(SKIP_1) | instid1(VALU_DEP_3)
	v_dual_fmac_f32 v28, 0x80000000, v83 :: v_dual_fmac_f32 v27, 0, v84
	v_fmac_f32_e32 v26, v13, v84
	v_dual_fmac_f32 v24, 0, v84 :: v_dual_fmac_f32 v29, v15, v85
	v_fmac_f32_e32 v31, 0, v84
	s_delay_alu instid0(VALU_DEP_4) | instskip(NEXT) | instid1(VALU_DEP_4)
	v_fmac_f32_e32 v27, v14, v85
	v_dual_fmac_f32 v25, v16, v84 :: v_dual_fmac_f32 v26, 0x80000000, v85
	v_fmac_f32_e32 v30, v15, v84
	v_fmac_f32_e32 v24, v13, v85
	v_dual_fmac_f32 v28, v14, v84 :: v_dual_fmac_f32 v31, v16, v85
	s_delay_alu instid0(VALU_DEP_4) | instskip(NEXT) | instid1(VALU_DEP_4)
	v_fmac_f32_e32 v25, 0x80000000, v85
	v_dual_fmac_f32 v30, 0x80000000, v85 :: v_dual_fmac_f32 v29, 0, v86
	s_delay_alu instid0(VALU_DEP_3) | instskip(SKIP_1) | instid1(VALU_DEP_3)
	v_dual_fmac_f32 v28, 0x80000000, v85 :: v_dual_fmac_f32 v27, 0, v86
	v_fmac_f32_e32 v26, v9, v86
	v_dual_fmac_f32 v24, 0, v86 :: v_dual_fmac_f32 v29, v11, v87
	v_fmac_f32_e32 v31, 0, v86
	s_delay_alu instid0(VALU_DEP_4) | instskip(NEXT) | instid1(VALU_DEP_4)
	v_fmac_f32_e32 v27, v10, v87
	v_dual_fmac_f32 v25, v12, v86 :: v_dual_fmac_f32 v26, 0x80000000, v87
	v_fmac_f32_e32 v30, v11, v86
	v_fmac_f32_e32 v24, v9, v87
	v_dual_fmac_f32 v28, v10, v86 :: v_dual_fmac_f32 v31, v12, v87
	s_delay_alu instid0(VALU_DEP_4) | instskip(SKIP_2) | instid1(VALU_DEP_3)
	v_fmac_f32_e32 v25, 0x80000000, v87
	s_waitcnt vmcnt(7)
	v_dual_fmac_f32 v30, 0x80000000, v87 :: v_dual_fmac_f32 v29, 0, v88
	v_dual_fmac_f32 v28, 0x80000000, v87 :: v_dual_fmac_f32 v27, 0, v88
	v_fmac_f32_e32 v26, v52, v88
	s_delay_alu instid0(VALU_DEP_3) | instskip(SKIP_1) | instid1(VALU_DEP_4)
	v_dual_fmac_f32 v24, 0, v88 :: v_dual_fmac_f32 v29, v54, v89
	v_fmac_f32_e32 v31, 0, v88
	v_fmac_f32_e32 v27, v53, v89
	s_delay_alu instid0(VALU_DEP_4) | instskip(SKIP_3) | instid1(VALU_DEP_4)
	v_dual_fmac_f32 v25, v55, v88 :: v_dual_fmac_f32 v26, 0x80000000, v89
	v_fmac_f32_e32 v28, v53, v88
	v_fmac_f32_e32 v24, v52, v89
	v_dual_fmac_f32 v30, v54, v88 :: v_dual_fmac_f32 v31, v55, v89
	v_fmac_f32_e32 v25, 0x80000000, v89
	s_delay_alu instid0(VALU_DEP_4) | instskip(NEXT) | instid1(VALU_DEP_3)
	v_dual_fmac_f32 v28, 0x80000000, v89 :: v_dual_fmac_f32 v27, 0, v90
	v_dual_fmac_f32 v30, 0x80000000, v89 :: v_dual_fmac_f32 v29, 0, v90
	v_fmac_f32_e32 v26, v48, v90
	s_delay_alu instid0(VALU_DEP_3) | instskip(SKIP_1) | instid1(VALU_DEP_4)
	v_dual_fmac_f32 v24, 0, v90 :: v_dual_fmac_f32 v27, v49, v91
	v_fmac_f32_e32 v25, v51, v90
	v_fmac_f32_e32 v29, v50, v91
	s_delay_alu instid0(VALU_DEP_4) | instskip(SKIP_4) | instid1(VALU_DEP_3)
	v_fmac_f32_e32 v26, 0x80000000, v91
	v_fmac_f32_e32 v28, v49, v90
	v_dual_fmac_f32 v31, 0, v90 :: v_dual_fmac_f32 v24, v48, v91
	v_dual_fmac_f32 v30, v50, v90 :: v_dual_fmac_f32 v25, 0x80000000, v91
	s_waitcnt vmcnt(6)
	v_dual_fmac_f32 v28, 0x80000000, v91 :: v_dual_fmac_f32 v27, 0, v92
	s_delay_alu instid0(VALU_DEP_3) | instskip(NEXT) | instid1(VALU_DEP_3)
	v_fmac_f32_e32 v31, v51, v91
	v_dual_fmac_f32 v30, 0x80000000, v91 :: v_dual_fmac_f32 v29, 0, v92
	s_delay_alu instid0(VALU_DEP_3) | instskip(SKIP_2) | instid1(VALU_DEP_4)
	v_dual_fmac_f32 v26, v44, v92 :: v_dual_fmac_f32 v27, v45, v93
	v_fmac_f32_e32 v24, 0, v92
	v_fmac_f32_e32 v25, v47, v92
	v_fmac_f32_e32 v29, v46, v93
	s_delay_alu instid0(VALU_DEP_4) | instskip(SKIP_3) | instid1(VALU_DEP_3)
	v_fmac_f32_e32 v26, 0x80000000, v93
	v_fmac_f32_e32 v28, v45, v92
	v_dual_fmac_f32 v31, 0, v92 :: v_dual_fmac_f32 v24, v44, v93
	v_dual_fmac_f32 v30, v46, v92 :: v_dual_fmac_f32 v25, 0x80000000, v93
	v_dual_fmac_f32 v28, 0x80000000, v93 :: v_dual_fmac_f32 v27, 0, v94
	s_delay_alu instid0(VALU_DEP_3) | instskip(NEXT) | instid1(VALU_DEP_3)
	v_fmac_f32_e32 v31, v47, v93
	v_dual_fmac_f32 v30, 0x80000000, v93 :: v_dual_fmac_f32 v29, 0, v94
	s_delay_alu instid0(VALU_DEP_3) | instskip(SKIP_2) | instid1(VALU_DEP_4)
	v_dual_fmac_f32 v26, v40, v94 :: v_dual_fmac_f32 v27, v41, v95
	v_fmac_f32_e32 v24, 0, v94
	v_fmac_f32_e32 v25, v43, v94
	v_fmac_f32_e32 v29, v42, v95
	s_delay_alu instid0(VALU_DEP_4) | instskip(SKIP_4) | instid1(VALU_DEP_3)
	v_fmac_f32_e32 v26, 0x80000000, v95
	v_fmac_f32_e32 v28, v41, v94
	v_dual_fmac_f32 v31, 0, v94 :: v_dual_fmac_f32 v24, v40, v95
	v_dual_fmac_f32 v30, v42, v94 :: v_dual_fmac_f32 v25, 0x80000000, v95
	s_waitcnt vmcnt(5)
	v_dual_fmac_f32 v28, 0x80000000, v95 :: v_dual_fmac_f32 v27, 0, v96
	s_delay_alu instid0(VALU_DEP_3) | instskip(NEXT) | instid1(VALU_DEP_3)
	v_fmac_f32_e32 v31, v43, v95
	v_dual_fmac_f32 v30, 0x80000000, v95 :: v_dual_fmac_f32 v29, 0, v96
	s_delay_alu instid0(VALU_DEP_3) | instskip(SKIP_2) | instid1(VALU_DEP_4)
	v_dual_fmac_f32 v26, v68, v96 :: v_dual_fmac_f32 v27, v69, v97
	v_fmac_f32_e32 v24, 0, v96
	v_fmac_f32_e32 v25, v71, v96
	v_fmac_f32_e32 v29, v70, v97
	s_delay_alu instid0(VALU_DEP_4) | instskip(SKIP_3) | instid1(VALU_DEP_3)
	v_fmac_f32_e32 v26, 0x80000000, v97
	v_fmac_f32_e32 v28, v69, v96
	v_dual_fmac_f32 v31, 0, v96 :: v_dual_fmac_f32 v24, v68, v97
	v_dual_fmac_f32 v30, v70, v96 :: v_dual_fmac_f32 v25, 0x80000000, v97
	v_dual_fmac_f32 v28, 0x80000000, v97 :: v_dual_fmac_f32 v27, 0, v98
	s_delay_alu instid0(VALU_DEP_3) | instskip(NEXT) | instid1(VALU_DEP_3)
	v_fmac_f32_e32 v31, v71, v97
	v_dual_fmac_f32 v30, 0x80000000, v97 :: v_dual_fmac_f32 v29, 0, v98
	s_delay_alu instid0(VALU_DEP_3) | instskip(SKIP_2) | instid1(VALU_DEP_4)
	v_dual_fmac_f32 v26, v64, v98 :: v_dual_fmac_f32 v27, v65, v99
	v_fmac_f32_e32 v24, 0, v98
	;; [unrolled: 29-line block ×4, first 2 shown]
	v_fmac_f32_e32 v25, v75, v106
	v_fmac_f32_e32 v29, v74, v107
	s_delay_alu instid0(VALU_DEP_4) | instskip(SKIP_4) | instid1(VALU_DEP_3)
	v_fmac_f32_e32 v26, 0x80000000, v107
	v_fmac_f32_e32 v28, v73, v106
	v_dual_fmac_f32 v31, 0, v106 :: v_dual_fmac_f32 v24, v72, v107
	v_dual_fmac_f32 v30, v74, v106 :: v_dual_fmac_f32 v25, 0x80000000, v107
	s_waitcnt vmcnt(1)
	v_dual_fmac_f32 v28, 0x80000000, v107 :: v_dual_fmac_f32 v27, 0, v112
	s_delay_alu instid0(VALU_DEP_3) | instskip(NEXT) | instid1(VALU_DEP_3)
	v_fmac_f32_e32 v31, v75, v107
	v_dual_fmac_f32 v30, 0x80000000, v107 :: v_dual_fmac_f32 v29, 0, v112
	s_delay_alu instid0(VALU_DEP_3) | instskip(SKIP_2) | instid1(VALU_DEP_4)
	v_dual_fmac_f32 v26, v108, v112 :: v_dual_fmac_f32 v27, v109, v113
	v_fmac_f32_e32 v24, 0, v112
	v_fmac_f32_e32 v25, v111, v112
	;; [unrolled: 1-line block ×3, first 2 shown]
	s_delay_alu instid0(VALU_DEP_4) | instskip(SKIP_3) | instid1(VALU_DEP_3)
	v_fmac_f32_e32 v26, 0x80000000, v113
	v_fmac_f32_e32 v28, v109, v112
	v_dual_fmac_f32 v31, 0, v112 :: v_dual_fmac_f32 v24, v108, v113
	v_dual_fmac_f32 v30, v110, v112 :: v_dual_fmac_f32 v25, 0x80000000, v113
	;; [unrolled: 1-line block ×3, first 2 shown]
	s_delay_alu instid0(VALU_DEP_3) | instskip(NEXT) | instid1(VALU_DEP_3)
	v_fmac_f32_e32 v31, v111, v113
	v_dual_fmac_f32 v30, 0x80000000, v113 :: v_dual_fmac_f32 v29, 0, v114
	s_waitcnt vmcnt(0)
	s_delay_alu instid0(VALU_DEP_3) | instskip(SKIP_3) | instid1(VALU_DEP_4)
	v_dual_fmac_f32 v26, v116, v114 :: v_dual_fmac_f32 v27, v117, v115
	v_fmac_f32_e32 v24, 0, v114
	v_fmac_f32_e32 v25, v119, v114
	;; [unrolled: 1-line block ×5, first 2 shown]
	v_dual_fmac_f32 v31, 0, v114 :: v_dual_fmac_f32 v24, v116, v115
	v_dual_fmac_f32 v30, v118, v114 :: v_dual_fmac_f32 v25, 0x80000000, v115
	s_delay_alu instid0(VALU_DEP_3) | instskip(NEXT) | instid1(VALU_DEP_3)
	v_fmac_f32_e32 v28, 0x80000000, v115
	v_fmac_f32_e32 v31, v119, v115
	s_delay_alu instid0(VALU_DEP_3)
	v_fmac_f32_e32 v30, 0x80000000, v115
	s_and_not1_b32 exec_lo, exec_lo, s6
	s_cbranch_execnz .LBB125_39
; %bb.40:
	s_or_b32 exec_lo, exec_lo, s6
.LBB125_41:
	s_delay_alu instid0(SALU_CYCLE_1)
	s_or_b32 exec_lo, exec_lo, s2
.LBB125_42:
	s_delay_alu instid0(SALU_CYCLE_1)
	s_or_b32 exec_lo, exec_lo, s3
.LBB125_43:
	v_mbcnt_lo_u32_b32 v0, -1, 0
	s_delay_alu instid0(VALU_DEP_1) | instskip(NEXT) | instid1(VALU_DEP_1)
	v_xor_b32_e32 v1, 2, v0
	v_cmp_gt_i32_e32 vcc_lo, 32, v1
	v_cndmask_b32_e32 v1, v0, v1, vcc_lo
	s_delay_alu instid0(VALU_DEP_1)
	v_lshlrev_b32_e32 v1, 2, v1
	ds_bpermute_b32 v2, v1, v26
	ds_bpermute_b32 v3, v1, v24
	;; [unrolled: 1-line block ×8, first 2 shown]
	v_xor_b32_e32 v1, 1, v0
	s_delay_alu instid0(VALU_DEP_1)
	v_cmp_gt_i32_e32 vcc_lo, 32, v1
	v_cndmask_b32_e32 v0, v0, v1, vcc_lo
	v_cmp_eq_u32_e32 vcc_lo, 3, v23
	s_waitcnt lgkmcnt(0)
	v_add_f32_e32 v1, v24, v3
	v_add_f32_e32 v3, v27, v5
	v_dual_add_f32 v5, v29, v7 :: v_dual_lshlrev_b32 v16, 2, v0
	v_add_f32_e32 v0, v26, v2
	v_dual_add_f32 v2, v28, v4 :: v_dual_add_f32 v7, v31, v10
	v_add_f32_e32 v4, v30, v6
	v_add_f32_e32 v6, v25, v9
	ds_bpermute_b32 v9, v16, v0
	ds_bpermute_b32 v10, v16, v1
	;; [unrolled: 1-line block ×8, first 2 shown]
	s_and_b32 exec_lo, exec_lo, vcc_lo
	s_cbranch_execz .LBB125_13
; %bb.44:
	s_load_b64 s[2:3], s[0:1], 0x50
	s_waitcnt lgkmcnt(0)
	v_dual_add_f32 v9, v0, v9 :: v_dual_add_f32 v0, v1, v10
	v_dual_add_f32 v10, v2, v11 :: v_dual_add_f32 v1, v3, v12
	;; [unrolled: 1-line block ×4, first 2 shown]
	s_delay_alu instid0(VALU_DEP_4)
	v_mul_f32_e64 v4, v0, -v22
	v_dual_mul_f32 v5, v0, v21 :: v_dual_lshlrev_b32 v8, 2, v8
	v_mul_f32_e64 v6, v1, -v22
	v_mul_f32_e32 v7, v1, v21
	v_mul_f32_e64 v0, v2, -v22
	v_mul_f32_e32 v1, v2, v21
	v_mul_f32_e64 v2, v3, -v22
	v_dual_fmac_f32 v6, v21, v10 :: v_dual_mul_f32 v3, v3, v21
	s_delay_alu instid0(VALU_DEP_4)
	v_fmac_f32_e32 v0, v21, v11
	v_cmp_eq_f32_e32 vcc_lo, 0, v19
	v_cmp_eq_f32_e64 s0, 0, v20
	v_dual_fmac_f32 v4, v21, v9 :: v_dual_fmac_f32 v7, v22, v10
	v_dual_fmac_f32 v5, v22, v9 :: v_dual_fmac_f32 v2, v21, v12
	v_fmac_f32_e32 v1, v22, v11
	v_fmac_f32_e32 v3, v22, v12
	s_and_b32 s0, vcc_lo, s0
	s_delay_alu instid0(SALU_CYCLE_1) | instskip(NEXT) | instid1(SALU_CYCLE_1)
	s_and_saveexec_b32 s1, s0
	s_xor_b32 s0, exec_lo, s1
; %bb.45:
	v_ashrrev_i32_e32 v9, 31, v8
                                        ; implicit-def: $vgpr19
                                        ; implicit-def: $vgpr20
	s_delay_alu instid0(VALU_DEP_1) | instskip(NEXT) | instid1(VALU_DEP_1)
	v_lshlrev_b64 v[8:9], 3, v[8:9]
	v_add_co_u32 v8, vcc_lo, s2, v8
	s_delay_alu instid0(VALU_DEP_2)
	v_add_co_ci_u32_e32 v9, vcc_lo, s3, v9, vcc_lo
	s_clause 0x1
	global_store_b128 v[8:9], v[4:7], off
	global_store_b128 v[8:9], v[0:3], off offset:16
                                        ; implicit-def: $vgpr4
                                        ; implicit-def: $vgpr8
                                        ; implicit-def: $vgpr0
; %bb.46:
	s_and_not1_saveexec_b32 s0, s0
	s_cbranch_execz .LBB125_13
; %bb.47:
	v_ashrrev_i32_e32 v9, 31, v8
	s_delay_alu instid0(VALU_DEP_1) | instskip(NEXT) | instid1(VALU_DEP_1)
	v_lshlrev_b64 v[8:9], 3, v[8:9]
	v_add_co_u32 v16, vcc_lo, s2, v8
	s_delay_alu instid0(VALU_DEP_2)
	v_add_co_ci_u32_e32 v17, vcc_lo, s3, v9, vcc_lo
	s_clause 0x1
	global_load_b128 v[8:11], v[16:17], off
	global_load_b128 v[12:15], v[16:17], off offset:16
	s_waitcnt vmcnt(1)
	v_dual_fmac_f32 v4, v19, v8 :: v_dual_fmac_f32 v7, v20, v10
	v_dual_fmac_f32 v5, v20, v8 :: v_dual_fmac_f32 v6, v19, v10
	s_waitcnt vmcnt(0)
	v_dual_fmac_f32 v0, v19, v12 :: v_dual_fmac_f32 v3, v20, v14
	v_dual_fmac_f32 v1, v20, v12 :: v_dual_fmac_f32 v2, v19, v14
	v_fma_f32 v4, -v20, v9, v4
	v_fmac_f32_e32 v5, v19, v9
	v_fma_f32 v6, -v20, v11, v6
	v_fmac_f32_e32 v7, v19, v11
	;; [unrolled: 2-line block ×4, first 2 shown]
	s_clause 0x1
	global_store_b128 v[16:17], v[4:7], off
	global_store_b128 v[16:17], v[0:3], off offset:16
	s_nop 0
	s_sendmsg sendmsg(MSG_DEALLOC_VGPRS)
	s_endpgm
	.section	.rodata,"a",@progbits
	.p2align	6, 0x0
	.amdhsa_kernel _ZN9rocsparseL18bsrxmvn_4x4_kernelILj128ELj4E21rocsparse_complex_numIfElifS2_S2_EEvT3_20rocsparse_direction_NS_24const_host_device_scalarIT1_EES3_PKS3_PKT2_SC_S9_PKT4_PKT5_S7_PT6_21rocsparse_index_base_b
		.amdhsa_group_segment_fixed_size 0
		.amdhsa_private_segment_fixed_size 0
		.amdhsa_kernarg_size 96
		.amdhsa_user_sgpr_count 15
		.amdhsa_user_sgpr_dispatch_ptr 0
		.amdhsa_user_sgpr_queue_ptr 0
		.amdhsa_user_sgpr_kernarg_segment_ptr 1
		.amdhsa_user_sgpr_dispatch_id 0
		.amdhsa_user_sgpr_private_segment_size 0
		.amdhsa_wavefront_size32 1
		.amdhsa_uses_dynamic_stack 0
		.amdhsa_enable_private_segment 0
		.amdhsa_system_sgpr_workgroup_id_x 1
		.amdhsa_system_sgpr_workgroup_id_y 0
		.amdhsa_system_sgpr_workgroup_id_z 0
		.amdhsa_system_sgpr_workgroup_info 0
		.amdhsa_system_vgpr_workitem_id 0
		.amdhsa_next_free_vgpr 124
		.amdhsa_next_free_sgpr 16
		.amdhsa_reserve_vcc 1
		.amdhsa_float_round_mode_32 0
		.amdhsa_float_round_mode_16_64 0
		.amdhsa_float_denorm_mode_32 3
		.amdhsa_float_denorm_mode_16_64 3
		.amdhsa_dx10_clamp 1
		.amdhsa_ieee_mode 1
		.amdhsa_fp16_overflow 0
		.amdhsa_workgroup_processor_mode 1
		.amdhsa_memory_ordered 1
		.amdhsa_forward_progress 0
		.amdhsa_shared_vgpr_count 0
		.amdhsa_exception_fp_ieee_invalid_op 0
		.amdhsa_exception_fp_denorm_src 0
		.amdhsa_exception_fp_ieee_div_zero 0
		.amdhsa_exception_fp_ieee_overflow 0
		.amdhsa_exception_fp_ieee_underflow 0
		.amdhsa_exception_fp_ieee_inexact 0
		.amdhsa_exception_int_div_zero 0
	.end_amdhsa_kernel
	.section	.text._ZN9rocsparseL18bsrxmvn_4x4_kernelILj128ELj4E21rocsparse_complex_numIfElifS2_S2_EEvT3_20rocsparse_direction_NS_24const_host_device_scalarIT1_EES3_PKS3_PKT2_SC_S9_PKT4_PKT5_S7_PT6_21rocsparse_index_base_b,"axG",@progbits,_ZN9rocsparseL18bsrxmvn_4x4_kernelILj128ELj4E21rocsparse_complex_numIfElifS2_S2_EEvT3_20rocsparse_direction_NS_24const_host_device_scalarIT1_EES3_PKS3_PKT2_SC_S9_PKT4_PKT5_S7_PT6_21rocsparse_index_base_b,comdat
.Lfunc_end125:
	.size	_ZN9rocsparseL18bsrxmvn_4x4_kernelILj128ELj4E21rocsparse_complex_numIfElifS2_S2_EEvT3_20rocsparse_direction_NS_24const_host_device_scalarIT1_EES3_PKS3_PKT2_SC_S9_PKT4_PKT5_S7_PT6_21rocsparse_index_base_b, .Lfunc_end125-_ZN9rocsparseL18bsrxmvn_4x4_kernelILj128ELj4E21rocsparse_complex_numIfElifS2_S2_EEvT3_20rocsparse_direction_NS_24const_host_device_scalarIT1_EES3_PKS3_PKT2_SC_S9_PKT4_PKT5_S7_PT6_21rocsparse_index_base_b
                                        ; -- End function
	.section	.AMDGPU.csdata,"",@progbits
; Kernel info:
; codeLenInByte = 7180
; NumSgprs: 18
; NumVgprs: 124
; ScratchSize: 0
; MemoryBound: 0
; FloatMode: 240
; IeeeMode: 1
; LDSByteSize: 0 bytes/workgroup (compile time only)
; SGPRBlocks: 2
; VGPRBlocks: 15
; NumSGPRsForWavesPerEU: 18
; NumVGPRsForWavesPerEU: 124
; Occupancy: 10
; WaveLimiterHint : 1
; COMPUTE_PGM_RSRC2:SCRATCH_EN: 0
; COMPUTE_PGM_RSRC2:USER_SGPR: 15
; COMPUTE_PGM_RSRC2:TRAP_HANDLER: 0
; COMPUTE_PGM_RSRC2:TGID_X_EN: 1
; COMPUTE_PGM_RSRC2:TGID_Y_EN: 0
; COMPUTE_PGM_RSRC2:TGID_Z_EN: 0
; COMPUTE_PGM_RSRC2:TIDIG_COMP_CNT: 0
	.section	.text._ZN9rocsparseL18bsrxmvn_4x4_kernelILj128ELj8E21rocsparse_complex_numIfElifS2_S2_EEvT3_20rocsparse_direction_NS_24const_host_device_scalarIT1_EES3_PKS3_PKT2_SC_S9_PKT4_PKT5_S7_PT6_21rocsparse_index_base_b,"axG",@progbits,_ZN9rocsparseL18bsrxmvn_4x4_kernelILj128ELj8E21rocsparse_complex_numIfElifS2_S2_EEvT3_20rocsparse_direction_NS_24const_host_device_scalarIT1_EES3_PKS3_PKT2_SC_S9_PKT4_PKT5_S7_PT6_21rocsparse_index_base_b,comdat
	.globl	_ZN9rocsparseL18bsrxmvn_4x4_kernelILj128ELj8E21rocsparse_complex_numIfElifS2_S2_EEvT3_20rocsparse_direction_NS_24const_host_device_scalarIT1_EES3_PKS3_PKT2_SC_S9_PKT4_PKT5_S7_PT6_21rocsparse_index_base_b ; -- Begin function _ZN9rocsparseL18bsrxmvn_4x4_kernelILj128ELj8E21rocsparse_complex_numIfElifS2_S2_EEvT3_20rocsparse_direction_NS_24const_host_device_scalarIT1_EES3_PKS3_PKT2_SC_S9_PKT4_PKT5_S7_PT6_21rocsparse_index_base_b
	.p2align	8
	.type	_ZN9rocsparseL18bsrxmvn_4x4_kernelILj128ELj8E21rocsparse_complex_numIfElifS2_S2_EEvT3_20rocsparse_direction_NS_24const_host_device_scalarIT1_EES3_PKS3_PKT2_SC_S9_PKT4_PKT5_S7_PT6_21rocsparse_index_base_b,@function
_ZN9rocsparseL18bsrxmvn_4x4_kernelILj128ELj8E21rocsparse_complex_numIfElifS2_S2_EEvT3_20rocsparse_direction_NS_24const_host_device_scalarIT1_EES3_PKS3_PKT2_SC_S9_PKT4_PKT5_S7_PT6_21rocsparse_index_base_b: ; @_ZN9rocsparseL18bsrxmvn_4x4_kernelILj128ELj8E21rocsparse_complex_numIfElifS2_S2_EEvT3_20rocsparse_direction_NS_24const_host_device_scalarIT1_EES3_PKS3_PKT2_SC_S9_PKT4_PKT5_S7_PT6_21rocsparse_index_base_b
; %bb.0:
	s_clause 0x2
	s_load_b64 s[12:13], s[0:1], 0x58
	s_load_b64 s[4:5], s[0:1], 0x8
	;; [unrolled: 1-line block ×3, first 2 shown]
	s_waitcnt lgkmcnt(0)
	s_bitcmp1_b32 s13, 0
	v_mov_b32_e32 v21, s4
	s_cselect_b32 s6, -1, 0
	s_delay_alu instid0(SALU_CYCLE_1)
	s_and_b32 vcc_lo, exec_lo, s6
	s_xor_b32 s6, s6, -1
	s_cbranch_vccz .LBB126_14
; %bb.1:
	v_cndmask_b32_e64 v1, 0, 1, s6
	v_mov_b32_e32 v22, s5
	s_and_not1_b32 vcc_lo, exec_lo, s6
	s_cbranch_vccz .LBB126_15
.LBB126_2:
	s_delay_alu instid0(VALU_DEP_2)
	v_cmp_ne_u32_e32 vcc_lo, 1, v1
	v_mov_b32_e32 v19, s2
	s_cbranch_vccz .LBB126_16
.LBB126_3:
	v_cmp_ne_u32_e32 vcc_lo, 1, v1
	v_mov_b32_e32 v20, s3
	s_cbranch_vccnz .LBB126_5
.LBB126_4:
	v_dual_mov_b32 v1, s2 :: v_dual_mov_b32 v2, s3
	flat_load_b32 v20, v[1:2] offset:4
.LBB126_5:
	s_waitcnt vmcnt(0) lgkmcnt(0)
	v_cmp_eq_f32_e32 vcc_lo, 0, v21
	v_cmp_eq_f32_e64 s2, 0, v22
	s_delay_alu instid0(VALU_DEP_1)
	s_and_b32 s4, vcc_lo, s2
	s_mov_b32 s2, -1
	s_and_saveexec_b32 s3, s4
; %bb.6:
	v_cmp_neq_f32_e32 vcc_lo, 1.0, v19
	v_cmp_neq_f32_e64 s2, 0, v20
	s_delay_alu instid0(VALU_DEP_1) | instskip(NEXT) | instid1(SALU_CYCLE_1)
	s_or_b32 s2, vcc_lo, s2
	s_or_not1_b32 s2, s2, exec_lo
; %bb.7:
	s_or_b32 exec_lo, exec_lo, s3
	s_and_saveexec_b32 s3, s2
	s_cbranch_execz .LBB126_13
; %bb.8:
	s_clause 0x1
	s_load_b64 s[4:5], s[0:1], 0x18
	s_load_b64 s[2:3], s[0:1], 0x0
	v_lshrrev_b32_e32 v1, 3, v0
	s_delay_alu instid0(VALU_DEP_1)
	v_lshl_or_b32 v8, s15, 4, v1
	s_waitcnt lgkmcnt(0)
	s_cmp_lg_u64 s[4:5], 0
	s_cbranch_scc0 .LBB126_17
; %bb.9:
	s_load_b32 s6, s[0:1], 0x10
	s_mov_b32 s7, 0
                                        ; implicit-def: $vgpr1
	s_waitcnt lgkmcnt(0)
	v_cmp_gt_i32_e32 vcc_lo, s6, v8
	s_mov_b32 s6, 0
	s_and_saveexec_b32 s8, vcc_lo
	s_delay_alu instid0(SALU_CYCLE_1)
	s_xor_b32 s8, exec_lo, s8
	s_cbranch_execz .LBB126_11
; %bb.10:
	v_ashrrev_i32_e32 v9, 31, v8
	s_mov_b32 s6, exec_lo
	s_delay_alu instid0(VALU_DEP_1) | instskip(NEXT) | instid1(VALU_DEP_1)
	v_lshlrev_b64 v[1:2], 2, v[8:9]
	v_add_co_u32 v1, vcc_lo, s4, v1
	s_delay_alu instid0(VALU_DEP_2)
	v_add_co_ci_u32_e32 v2, vcc_lo, s5, v2, vcc_lo
	global_load_b32 v1, v[1:2], off
	s_waitcnt vmcnt(0)
	v_subrev_nc_u32_e32 v1, s12, v1
.LBB126_11:
	s_or_b32 exec_lo, exec_lo, s8
	s_delay_alu instid0(SALU_CYCLE_1)
	s_and_b32 vcc_lo, exec_lo, s7
	s_cbranch_vccz .LBB126_18
.LBB126_12:
	v_cmp_gt_i32_e32 vcc_lo, s2, v8
	s_and_not1_b32 s2, s6, exec_lo
	s_and_b32 s4, vcc_lo, exec_lo
	s_delay_alu instid0(SALU_CYCLE_1) | instskip(NEXT) | instid1(SALU_CYCLE_1)
	s_or_b32 s6, s2, s4
	s_and_b32 exec_lo, exec_lo, s6
	s_cbranch_execnz .LBB126_19
.LBB126_13:
	s_nop 0
	s_sendmsg sendmsg(MSG_DEALLOC_VGPRS)
	s_endpgm
.LBB126_14:
	v_dual_mov_b32 v1, s4 :: v_dual_mov_b32 v2, s5
	flat_load_b32 v21, v[1:2]
	v_cndmask_b32_e64 v1, 0, 1, s6
	v_mov_b32_e32 v22, s5
	s_and_not1_b32 vcc_lo, exec_lo, s6
	s_cbranch_vccnz .LBB126_2
.LBB126_15:
	v_dual_mov_b32 v2, s4 :: v_dual_mov_b32 v3, s5
	flat_load_b32 v22, v[2:3] offset:4
	v_cmp_ne_u32_e32 vcc_lo, 1, v1
	v_mov_b32_e32 v19, s2
	s_cbranch_vccnz .LBB126_3
.LBB126_16:
	v_dual_mov_b32 v2, s2 :: v_dual_mov_b32 v3, s3
	flat_load_b32 v19, v[2:3]
	v_cmp_ne_u32_e32 vcc_lo, 1, v1
	v_mov_b32_e32 v20, s3
	s_cbranch_vccz .LBB126_4
	s_branch .LBB126_5
.LBB126_17:
	s_mov_b32 s6, 0
                                        ; implicit-def: $vgpr1
	s_cbranch_execnz .LBB126_12
.LBB126_18:
	s_delay_alu instid0(VALU_DEP_1)
	v_mov_b32_e32 v8, v1
	s_and_b32 exec_lo, exec_lo, s6
	s_cbranch_execz .LBB126_13
.LBB126_19:
	s_load_b256 s[4:11], s[0:1], 0x20
	s_delay_alu instid0(VALU_DEP_1) | instskip(SKIP_1) | instid1(VALU_DEP_2)
	v_ashrrev_i32_e32 v9, 31, v8
	v_dual_mov_b32 v24, 0 :: v_dual_and_b32 v23, 7, v0
	v_lshlrev_b64 v[1:2], 3, v[8:9]
	s_waitcnt lgkmcnt(0)
	s_delay_alu instid0(VALU_DEP_1) | instskip(NEXT) | instid1(VALU_DEP_2)
	v_add_co_u32 v3, vcc_lo, s4, v1
	v_add_co_ci_u32_e32 v4, vcc_lo, s5, v2, vcc_lo
	v_add_co_u32 v1, vcc_lo, s6, v1
	v_add_co_ci_u32_e32 v2, vcc_lo, s7, v2, vcc_lo
	s_delay_alu instid0(VALU_DEP_4)
	v_add_co_u32 v5, vcc_lo, v3, 8
	global_load_b64 v[6:7], v[3:4], off
	v_add_co_ci_u32_e32 v9, vcc_lo, 0, v4, vcc_lo
	s_cmp_eq_u64 s[6:7], 0
	s_load_b64 s[4:5], s[0:1], 0x40
	s_cselect_b32 vcc_lo, -1, 0
	s_cmp_eq_u32 s3, 1
	v_cndmask_b32_e32 v2, v2, v9, vcc_lo
	v_cndmask_b32_e32 v1, v1, v5, vcc_lo
	s_mov_b32 s3, 0
	global_load_b64 v[2:3], v[1:2], off
	s_waitcnt vmcnt(1)
	v_sub_co_u32 v0, vcc_lo, v6, s12
	v_subrev_co_ci_u32_e32 v1, vcc_lo, 0, v7, vcc_lo
	s_delay_alu instid0(VALU_DEP_2) | instskip(NEXT) | instid1(VALU_DEP_2)
	v_add_co_u32 v0, vcc_lo, v0, v23
	v_add_co_ci_u32_e32 v1, vcc_lo, 0, v1, vcc_lo
	s_delay_alu instid0(VALU_DEP_1) | instskip(SKIP_3) | instid1(VALU_DEP_3)
	v_lshlrev_b64 v[4:5], 6, v[0:1]
	s_waitcnt vmcnt(0)
	v_sub_co_u32 v2, vcc_lo, v2, s12
	v_subrev_co_ci_u32_e32 v3, vcc_lo, 0, v3, vcc_lo
	v_add_co_u32 v4, vcc_lo, s10, v4
	s_delay_alu instid0(VALU_DEP_2)
	v_cmp_lt_i64_e64 s2, v[0:1], v[2:3]
	v_add_co_ci_u32_e32 v5, vcc_lo, s11, v5, vcc_lo
	s_cbranch_scc1 .LBB126_31
; %bb.20:
	v_dual_mov_b32 v26, 0 :: v_dual_mov_b32 v27, 0
	v_dual_mov_b32 v28, 0 :: v_dual_mov_b32 v29, 0
	;; [unrolled: 1-line block ×3, first 2 shown]
	v_mov_b32_e32 v25, 0
	s_and_saveexec_b32 s6, s2
	s_cbranch_execz .LBB126_30
; %bb.21:
	v_or_b32_e32 v9, 8, v23
	v_not_b32_e32 v12, v6
	v_not_b32_e32 v11, v7
	v_mov_b32_e32 v27, 0
	v_dual_mov_b32 v25, 0 :: v_dual_mov_b32 v30, 0
	v_sub_co_u32 v9, s7, v9, s12
	s_delay_alu instid0(VALU_DEP_1) | instskip(SKIP_1) | instid1(VALU_DEP_3)
	v_sub_co_ci_u32_e64 v10, null, 0, 0, s7
	v_sub_co_u32 v13, s7, s12, v23
	v_add_co_u32 v9, vcc_lo, v9, v6
	s_delay_alu instid0(VALU_DEP_3) | instskip(SKIP_2) | instid1(VALU_DEP_3)
	v_add_co_ci_u32_e32 v10, vcc_lo, v10, v7, vcc_lo
	v_sub_co_ci_u32_e64 v14, null, 0, 0, s7
	v_dual_mov_b32 v31, 0 :: v_dual_mov_b32 v26, 0
	v_cmp_gt_i64_e32 vcc_lo, v[9:10], v[2:3]
	v_dual_mov_b32 v29, 0 :: v_dual_mov_b32 v24, 0
	s_mov_b32 s10, 0
	s_mov_b32 s7, exec_lo
	v_mov_b32_e32 v28, 0
	v_dual_cndmask_b32 v10, v3, v10 :: v_dual_cndmask_b32 v9, v2, v9
	v_add_co_u32 v12, vcc_lo, v13, v12
	v_add_co_ci_u32_e32 v11, vcc_lo, v14, v11, vcc_lo
	s_delay_alu instid0(VALU_DEP_2) | instskip(NEXT) | instid1(VALU_DEP_2)
	v_add_co_u32 v13, vcc_lo, v12, v9
	v_add_co_ci_u32_e32 v14, vcc_lo, v11, v10, vcc_lo
	v_mov_b32_e32 v12, v1
	s_delay_alu instid0(VALU_DEP_3) | instskip(SKIP_1) | instid1(VALU_DEP_2)
	v_lshrrev_b32_e32 v9, 3, v13
	v_mov_b32_e32 v11, v0
	v_add_nc_u32_e32 v9, 1, v9
	s_delay_alu instid0(VALU_DEP_1) | instskip(SKIP_1) | instid1(VALU_DEP_2)
	v_dual_mov_b32 v10, v5 :: v_dual_and_b32 v15, 3, v9
	v_mov_b32_e32 v9, v4
	v_cmpx_ne_u32_e32 0, v15
	s_cbranch_execz .LBB126_25
; %bb.22:
	v_lshlrev_b64 v[9:10], 2, v[0:1]
	v_dual_mov_b32 v16, 0 :: v_dual_lshlrev_b32 v15, 2, v15
	v_dual_mov_b32 v12, v1 :: v_dual_mov_b32 v11, v0
	s_delay_alu instid0(VALU_DEP_2) | instskip(NEXT) | instid1(VALU_DEP_4)
	v_mov_b32_e32 v24, v16
	v_add_co_u32 v17, vcc_lo, s8, v9
	v_add_co_ci_u32_e32 v18, vcc_lo, s9, v10, vcc_lo
	v_dual_mov_b32 v10, v5 :: v_dual_mov_b32 v9, v4
	v_mov_b32_e32 v26, v16
	v_mov_b32_e32 v27, v16
	;; [unrolled: 1-line block ×7, first 2 shown]
.LBB126_23:                             ; =>This Inner Loop Header: Depth=1
	global_load_b32 v48, v[17:18], off
	s_clause 0x3
	global_load_b128 v[32:35], v[9:10], off offset:48
	global_load_b128 v[36:39], v[9:10], off offset:32
	;; [unrolled: 1-line block ×3, first 2 shown]
	global_load_b128 v[44:47], v[9:10], off
	s_waitcnt vmcnt(4)
	v_subrev_nc_u32_e32 v48, s12, v48
	s_delay_alu instid0(VALU_DEP_1) | instskip(NEXT) | instid1(VALU_DEP_1)
	v_lshlrev_b32_e32 v48, 2, v48
	v_ashrrev_i32_e32 v49, 31, v48
	s_delay_alu instid0(VALU_DEP_1) | instskip(SKIP_1) | instid1(VALU_DEP_1)
	v_lshlrev_b64 v[48:49], 3, v[48:49]
	s_waitcnt lgkmcnt(0)
	v_add_co_u32 v52, vcc_lo, s4, v48
	s_delay_alu instid0(VALU_DEP_2)
	v_add_co_ci_u32_e32 v53, vcc_lo, s5, v49, vcc_lo
	v_add_co_u32 v9, vcc_lo, 0x200, v9
	v_add_co_ci_u32_e32 v10, vcc_lo, 0, v10, vcc_lo
	s_clause 0x1
	global_load_b128 v[48:51], v[52:53], off
	global_load_b128 v[52:55], v[52:53], off offset:16
	v_add_co_u32 v11, vcc_lo, v11, 8
	v_add_co_ci_u32_e32 v12, vcc_lo, 0, v12, vcc_lo
	v_add_co_u32 v15, vcc_lo, v15, -4
	v_add_co_ci_u32_e32 v16, vcc_lo, -1, v16, vcc_lo
	v_add_co_u32 v17, vcc_lo, v17, 32
	v_add_co_ci_u32_e32 v18, vcc_lo, 0, v18, vcc_lo
	s_delay_alu instid0(VALU_DEP_3)
	v_cmp_eq_u64_e32 vcc_lo, 0, v[15:16]
	s_or_b32 s10, vcc_lo, s10
	s_waitcnt vmcnt(1)
	v_fmac_f32_e32 v29, 0, v48
	v_fmac_f32_e32 v25, v32, v48
	;; [unrolled: 1-line block ×3, first 2 shown]
	s_delay_alu instid0(VALU_DEP_3) | instskip(NEXT) | instid1(VALU_DEP_3)
	v_dual_fmac_f32 v24, 0, v48 :: v_dual_fmac_f32 v29, v36, v49
	v_fmac_f32_e32 v25, 0x80000000, v49
	s_delay_alu instid0(VALU_DEP_3) | instskip(NEXT) | instid1(VALU_DEP_3)
	v_dual_fmac_f32 v27, 0, v48 :: v_dual_fmac_f32 v26, 0x80000000, v49
	v_dual_fmac_f32 v30, v36, v48 :: v_dual_fmac_f32 v29, 0, v50
	v_fmac_f32_e32 v31, 0, v48
	s_delay_alu instid0(VALU_DEP_3) | instskip(SKIP_4) | instid1(VALU_DEP_4)
	v_fmac_f32_e32 v27, v40, v49
	v_fmac_f32_e32 v28, v40, v48
	;; [unrolled: 1-line block ×4, first 2 shown]
	v_dual_fmac_f32 v31, v32, v49 :: v_dual_fmac_f32 v26, v45, v50
	v_dual_fmac_f32 v27, 0, v50 :: v_dual_fmac_f32 v28, 0x80000000, v49
	s_delay_alu instid0(VALU_DEP_4) | instskip(NEXT) | instid1(VALU_DEP_3)
	v_fmac_f32_e32 v24, 0, v50
	v_dual_fmac_f32 v25, v33, v50 :: v_dual_fmac_f32 v26, 0x80000000, v51
	s_delay_alu instid0(VALU_DEP_3) | instskip(NEXT) | instid1(VALU_DEP_4)
	v_fmac_f32_e32 v27, v41, v51
	v_fmac_f32_e32 v28, v41, v50
	s_delay_alu instid0(VALU_DEP_4) | instskip(SKIP_1) | instid1(VALU_DEP_3)
	v_dual_fmac_f32 v31, 0, v50 :: v_dual_fmac_f32 v24, v45, v51
	s_waitcnt vmcnt(0)
	v_dual_fmac_f32 v30, v37, v50 :: v_dual_fmac_f32 v27, 0, v52
	v_dual_fmac_f32 v29, v37, v51 :: v_dual_fmac_f32 v26, v46, v52
	v_fmac_f32_e32 v25, 0x80000000, v51
	v_fmac_f32_e32 v28, 0x80000000, v51
	v_dual_fmac_f32 v31, v33, v51 :: v_dual_fmac_f32 v24, 0, v52
	s_delay_alu instid0(VALU_DEP_3) | instskip(SKIP_1) | instid1(VALU_DEP_4)
	v_dual_fmac_f32 v30, 0x80000000, v51 :: v_dual_fmac_f32 v25, v34, v52
	v_fmac_f32_e32 v29, 0, v52
	v_fmac_f32_e32 v28, v42, v52
	s_delay_alu instid0(VALU_DEP_4) | instskip(SKIP_2) | instid1(VALU_DEP_4)
	v_dual_fmac_f32 v31, 0, v52 :: v_dual_fmac_f32 v26, 0x80000000, v53
	v_fmac_f32_e32 v27, v42, v53
	v_fmac_f32_e32 v25, 0x80000000, v53
	;; [unrolled: 1-line block ×3, first 2 shown]
	s_delay_alu instid0(VALU_DEP_4) | instskip(NEXT) | instid1(VALU_DEP_4)
	v_dual_fmac_f32 v29, v38, v53 :: v_dual_fmac_f32 v26, v47, v54
	v_dual_fmac_f32 v30, v38, v52 :: v_dual_fmac_f32 v27, 0, v54
	s_delay_alu instid0(VALU_DEP_2) | instskip(SKIP_2) | instid1(VALU_DEP_4)
	v_dual_fmac_f32 v24, v46, v53 :: v_dual_fmac_f32 v29, 0, v54
	v_fmac_f32_e32 v25, v35, v54
	v_dual_fmac_f32 v31, v34, v53 :: v_dual_fmac_f32 v28, v43, v54
	v_fmac_f32_e32 v30, 0x80000000, v53
	s_delay_alu instid0(VALU_DEP_4) | instskip(NEXT) | instid1(VALU_DEP_3)
	v_fmac_f32_e32 v24, 0, v54
	v_dual_fmac_f32 v26, 0x80000000, v55 :: v_dual_fmac_f32 v31, 0, v54
	s_delay_alu instid0(VALU_DEP_4) | instskip(NEXT) | instid1(VALU_DEP_4)
	v_fmac_f32_e32 v28, 0x80000000, v55
	v_dual_fmac_f32 v30, v39, v54 :: v_dual_fmac_f32 v25, 0x80000000, v55
	s_delay_alu instid0(VALU_DEP_4) | instskip(SKIP_2) | instid1(VALU_DEP_4)
	v_fmac_f32_e32 v24, v47, v55
	v_fmac_f32_e32 v27, v43, v55
	;; [unrolled: 1-line block ×5, first 2 shown]
	s_and_not1_b32 exec_lo, exec_lo, s10
	s_cbranch_execnz .LBB126_23
; %bb.24:
	s_or_b32 exec_lo, exec_lo, s10
.LBB126_25:
	s_delay_alu instid0(SALU_CYCLE_1) | instskip(NEXT) | instid1(SALU_CYCLE_1)
	s_or_b32 exec_lo, exec_lo, s7
	s_mov_b32 s7, exec_lo
	v_cmpx_lt_u64_e32 23, v[13:14]
	s_cbranch_execz .LBB126_29
; %bb.26:
	v_lshlrev_b64 v[13:14], 2, v[11:12]
	s_mov_b32 s10, 0
	s_delay_alu instid0(VALU_DEP_1) | instskip(NEXT) | instid1(VALU_DEP_2)
	v_add_co_u32 v13, vcc_lo, v13, s8
	v_add_co_ci_u32_e32 v14, vcc_lo, s9, v14, vcc_lo
	s_delay_alu instid0(VALU_DEP_2) | instskip(NEXT) | instid1(VALU_DEP_2)
	v_add_co_u32 v13, vcc_lo, v13, 64
	v_add_co_ci_u32_e32 v14, vcc_lo, 0, v14, vcc_lo
.LBB126_27:                             ; =>This Inner Loop Header: Depth=1
	s_clause 0x3
	global_load_b32 v92, v[13:14], off offset:-64
	global_load_b32 v93, v[13:14], off offset:-32
	global_load_b32 v94, v[13:14], off
	global_load_b32 v95, v[13:14], off offset:32
	s_clause 0xf
	global_load_b128 v[15:18], v[9:10], off offset:48
	global_load_b128 v[32:35], v[9:10], off offset:32
	;; [unrolled: 1-line block ×3, first 2 shown]
	global_load_b128 v[40:43], v[9:10], off
	global_load_b128 v[44:47], v[9:10], off offset:560
	global_load_b128 v[48:51], v[9:10], off offset:544
	;; [unrolled: 1-line block ×12, first 2 shown]
	s_waitcnt vmcnt(19)
	v_subrev_nc_u32_e32 v92, s12, v92
	s_waitcnt vmcnt(18)
	v_subrev_nc_u32_e32 v93, s12, v93
	;; [unrolled: 2-line block ×4, first 2 shown]
	v_lshlrev_b32_e32 v92, 2, v92
	v_lshlrev_b32_e32 v94, 2, v93
	;; [unrolled: 1-line block ×3, first 2 shown]
	s_delay_alu instid0(VALU_DEP_4) | instskip(NEXT) | instid1(VALU_DEP_4)
	v_lshlrev_b32_e32 v98, 2, v95
	v_ashrrev_i32_e32 v93, 31, v92
	s_delay_alu instid0(VALU_DEP_4) | instskip(NEXT) | instid1(VALU_DEP_4)
	v_ashrrev_i32_e32 v95, 31, v94
	v_ashrrev_i32_e32 v97, 31, v96
	s_delay_alu instid0(VALU_DEP_4) | instskip(NEXT) | instid1(VALU_DEP_4)
	v_ashrrev_i32_e32 v99, 31, v98
	v_lshlrev_b64 v[92:93], 3, v[92:93]
	s_delay_alu instid0(VALU_DEP_4) | instskip(NEXT) | instid1(VALU_DEP_4)
	v_lshlrev_b64 v[94:95], 3, v[94:95]
	v_lshlrev_b64 v[96:97], 3, v[96:97]
	s_delay_alu instid0(VALU_DEP_4) | instskip(SKIP_1) | instid1(VALU_DEP_4)
	v_lshlrev_b64 v[98:99], 3, v[98:99]
	s_waitcnt lgkmcnt(0)
	v_add_co_u32 v100, vcc_lo, s4, v92
	v_add_co_ci_u32_e32 v101, vcc_lo, s5, v93, vcc_lo
	v_add_co_u32 v104, vcc_lo, s4, v94
	v_add_co_ci_u32_e32 v105, vcc_lo, s5, v95, vcc_lo
	;; [unrolled: 2-line block ×4, first 2 shown]
	s_clause 0x7
	global_load_b128 v[92:95], v[100:101], off
	global_load_b128 v[96:99], v[100:101], off offset:16
	global_load_b128 v[100:103], v[104:105], off
	global_load_b128 v[104:107], v[104:105], off offset:16
	;; [unrolled: 2-line block ×4, first 2 shown]
	v_add_co_u32 v11, vcc_lo, v11, 32
	v_add_co_ci_u32_e32 v12, vcc_lo, 0, v12, vcc_lo
	v_add_co_u32 v9, vcc_lo, 0x800, v9
	v_add_co_ci_u32_e32 v10, vcc_lo, 0, v10, vcc_lo
	;; [unrolled: 2-line block ×3, first 2 shown]
	v_cmp_ge_i64_e32 vcc_lo, v[11:12], v[2:3]
	s_or_b32 s10, vcc_lo, s10
	s_waitcnt vmcnt(7)
	v_fmac_f32_e32 v29, 0, v92
	v_fmac_f32_e32 v27, 0, v92
	;; [unrolled: 1-line block ×5, first 2 shown]
	s_delay_alu instid0(VALU_DEP_4)
	v_dual_fmac_f32 v24, 0, v92 :: v_dual_fmac_f32 v27, v36, v93
	v_fmac_f32_e32 v28, v36, v92
	v_fmac_f32_e32 v29, v32, v93
	v_dual_fmac_f32 v30, v32, v92 :: v_dual_fmac_f32 v25, 0x80000000, v93
	v_fmac_f32_e32 v26, 0x80000000, v93
	v_fmac_f32_e32 v31, v15, v93
	s_delay_alu instid0(VALU_DEP_4) | instskip(NEXT) | instid1(VALU_DEP_4)
	v_dual_fmac_f32 v29, 0, v94 :: v_dual_fmac_f32 v24, v40, v93
	v_dual_fmac_f32 v30, 0x80000000, v93 :: v_dual_fmac_f32 v27, 0, v94
	s_delay_alu instid0(VALU_DEP_3) | instskip(SKIP_2) | instid1(VALU_DEP_4)
	v_dual_fmac_f32 v31, 0, v94 :: v_dual_fmac_f32 v28, 0x80000000, v93
	v_fmac_f32_e32 v25, v16, v94
	v_fmac_f32_e32 v26, v41, v94
	v_dual_fmac_f32 v24, 0, v94 :: v_dual_fmac_f32 v27, v37, v95
	s_delay_alu instid0(VALU_DEP_4)
	v_dual_fmac_f32 v28, v37, v94 :: v_dual_fmac_f32 v31, v16, v95
	v_fmac_f32_e32 v30, v33, v94
	v_fmac_f32_e32 v29, v33, v95
	;; [unrolled: 1-line block ×4, first 2 shown]
	s_waitcnt vmcnt(6)
	v_dual_fmac_f32 v24, v41, v95 :: v_dual_fmac_f32 v31, 0, v96
	s_delay_alu instid0(VALU_DEP_3)
	v_dual_fmac_f32 v28, 0x80000000, v95 :: v_dual_fmac_f32 v25, v17, v96
	v_dual_fmac_f32 v27, 0, v96 :: v_dual_fmac_f32 v30, 0x80000000, v95
	v_fmac_f32_e32 v29, 0, v96
	v_fmac_f32_e32 v26, v42, v96
	v_fmac_f32_e32 v24, 0, v96
	v_dual_fmac_f32 v28, v38, v96 :: v_dual_fmac_f32 v25, 0x80000000, v97
	v_fmac_f32_e32 v27, v38, v97
	v_dual_fmac_f32 v30, v34, v96 :: v_dual_fmac_f32 v31, v17, v97
	v_fmac_f32_e32 v26, 0x80000000, v97
	v_fmac_f32_e32 v29, v34, v97
	s_delay_alu instid0(VALU_DEP_4) | instskip(SKIP_4) | instid1(VALU_DEP_4)
	v_dual_fmac_f32 v27, 0, v98 :: v_dual_fmac_f32 v24, v42, v97
	v_dual_fmac_f32 v28, 0x80000000, v97 :: v_dual_fmac_f32 v25, v18, v98
	;; [unrolled: 1-line block ×3, first 2 shown]
	v_fmac_f32_e32 v26, v43, v98
	v_fmac_f32_e32 v29, 0, v98
	v_dual_fmac_f32 v25, 0x80000000, v99 :: v_dual_fmac_f32 v24, 0, v98
	v_fmac_f32_e32 v27, v39, v99
	v_dual_fmac_f32 v28, v39, v98 :: v_dual_fmac_f32 v31, v18, v99
	v_fmac_f32_e32 v30, v35, v98
	v_fmac_f32_e32 v29, v35, v99
	;; [unrolled: 1-line block ×3, first 2 shown]
	s_waitcnt vmcnt(5)
	v_dual_fmac_f32 v24, v43, v99 :: v_dual_fmac_f32 v25, v44, v100
	v_dual_fmac_f32 v28, 0x80000000, v99 :: v_dual_fmac_f32 v31, 0, v100
	;; [unrolled: 1-line block ×3, first 2 shown]
	v_fmac_f32_e32 v29, 0, v100
	v_fmac_f32_e32 v26, v56, v100
	;; [unrolled: 1-line block ×3, first 2 shown]
	v_dual_fmac_f32 v28, v52, v100 :: v_dual_fmac_f32 v25, 0x80000000, v101
	v_fmac_f32_e32 v27, v52, v101
	v_fmac_f32_e32 v30, v48, v100
	;; [unrolled: 1-line block ×4, first 2 shown]
	v_dual_fmac_f32 v24, v56, v101 :: v_dual_fmac_f32 v25, v45, v102
	s_delay_alu instid0(VALU_DEP_4) | instskip(NEXT) | instid1(VALU_DEP_4)
	v_dual_fmac_f32 v27, 0, v102 :: v_dual_fmac_f32 v30, 0x80000000, v101
	v_fmac_f32_e32 v29, 0, v102
	s_delay_alu instid0(VALU_DEP_4) | instskip(SKIP_1) | instid1(VALU_DEP_3)
	v_dual_fmac_f32 v31, v44, v101 :: v_dual_fmac_f32 v26, v57, v102
	v_fmac_f32_e32 v28, 0x80000000, v101
	v_dual_fmac_f32 v24, 0, v102 :: v_dual_fmac_f32 v29, v49, v103
	s_delay_alu instid0(VALU_DEP_3) | instskip(NEXT) | instid1(VALU_DEP_3)
	v_dual_fmac_f32 v31, 0, v102 :: v_dual_fmac_f32 v26, 0x80000000, v103
	v_dual_fmac_f32 v28, v53, v102 :: v_dual_fmac_f32 v25, 0x80000000, v103
	v_fmac_f32_e32 v27, v53, v103
	v_fmac_f32_e32 v30, v49, v102
	s_waitcnt vmcnt(4)
	v_dual_fmac_f32 v24, v57, v103 :: v_dual_fmac_f32 v29, 0, v104
	v_fmac_f32_e32 v25, v46, v104
	v_dual_fmac_f32 v31, v45, v103 :: v_dual_fmac_f32 v26, v58, v104
	v_dual_fmac_f32 v28, 0x80000000, v103 :: v_dual_fmac_f32 v27, 0, v104
	v_fmac_f32_e32 v30, 0x80000000, v103
	v_dual_fmac_f32 v24, 0, v104 :: v_dual_fmac_f32 v29, v50, v105
	s_delay_alu instid0(VALU_DEP_4) | instskip(NEXT) | instid1(VALU_DEP_4)
	v_fmac_f32_e32 v31, 0, v104
	v_dual_fmac_f32 v28, v54, v104 :: v_dual_fmac_f32 v25, 0x80000000, v105
	s_delay_alu instid0(VALU_DEP_3) | instskip(SKIP_2) | instid1(VALU_DEP_4)
	v_dual_fmac_f32 v26, 0x80000000, v105 :: v_dual_fmac_f32 v29, 0, v106
	v_fmac_f32_e32 v27, v54, v105
	v_fmac_f32_e32 v30, v50, v104
	v_dual_fmac_f32 v24, v58, v105 :: v_dual_fmac_f32 v25, v47, v106
	s_delay_alu instid0(VALU_DEP_4) | instskip(NEXT) | instid1(VALU_DEP_4)
	v_dual_fmac_f32 v31, v46, v105 :: v_dual_fmac_f32 v26, v59, v106
	v_dual_fmac_f32 v28, 0x80000000, v105 :: v_dual_fmac_f32 v27, 0, v106
	s_delay_alu instid0(VALU_DEP_4) | instskip(NEXT) | instid1(VALU_DEP_4)
	v_fmac_f32_e32 v30, 0x80000000, v105
	v_dual_fmac_f32 v24, 0, v106 :: v_dual_fmac_f32 v29, v51, v107
	s_delay_alu instid0(VALU_DEP_4) | instskip(NEXT) | instid1(VALU_DEP_4)
	v_fmac_f32_e32 v31, 0, v106
	v_dual_fmac_f32 v28, v55, v106 :: v_dual_fmac_f32 v25, 0x80000000, v107
	s_waitcnt vmcnt(3)
	s_delay_alu instid0(VALU_DEP_3) | instskip(SKIP_3) | instid1(VALU_DEP_4)
	v_dual_fmac_f32 v26, 0x80000000, v107 :: v_dual_fmac_f32 v29, 0, v108
	v_fmac_f32_e32 v27, v55, v107
	v_fmac_f32_e32 v30, v51, v106
	v_dual_fmac_f32 v24, v59, v107 :: v_dual_fmac_f32 v25, v60, v108
	v_dual_fmac_f32 v31, v47, v107 :: v_dual_fmac_f32 v26, v72, v108
	s_delay_alu instid0(VALU_DEP_4) | instskip(NEXT) | instid1(VALU_DEP_4)
	v_dual_fmac_f32 v28, 0x80000000, v107 :: v_dual_fmac_f32 v27, 0, v108
	v_fmac_f32_e32 v30, 0x80000000, v107
	s_delay_alu instid0(VALU_DEP_4) | instskip(NEXT) | instid1(VALU_DEP_4)
	v_dual_fmac_f32 v24, 0, v108 :: v_dual_fmac_f32 v29, v64, v109
	v_fmac_f32_e32 v31, 0, v108
	s_delay_alu instid0(VALU_DEP_4) | instskip(NEXT) | instid1(VALU_DEP_3)
	v_dual_fmac_f32 v28, v68, v108 :: v_dual_fmac_f32 v25, 0x80000000, v109
	v_dual_fmac_f32 v26, 0x80000000, v109 :: v_dual_fmac_f32 v29, 0, v110
	v_fmac_f32_e32 v27, v68, v109
	v_fmac_f32_e32 v30, v64, v108
	s_delay_alu instid0(VALU_DEP_4) | instskip(NEXT) | instid1(VALU_DEP_4)
	v_dual_fmac_f32 v24, v72, v109 :: v_dual_fmac_f32 v25, v61, v110
	v_dual_fmac_f32 v31, v60, v109 :: v_dual_fmac_f32 v26, v73, v110
	s_delay_alu instid0(VALU_DEP_4) | instskip(NEXT) | instid1(VALU_DEP_4)
	v_dual_fmac_f32 v28, 0x80000000, v109 :: v_dual_fmac_f32 v27, 0, v110
	v_fmac_f32_e32 v30, 0x80000000, v109
	s_delay_alu instid0(VALU_DEP_4) | instskip(NEXT) | instid1(VALU_DEP_4)
	v_dual_fmac_f32 v24, 0, v110 :: v_dual_fmac_f32 v29, v65, v111
	v_fmac_f32_e32 v31, 0, v110
	s_delay_alu instid0(VALU_DEP_4) | instskip(SKIP_1) | instid1(VALU_DEP_3)
	v_dual_fmac_f32 v28, v69, v110 :: v_dual_fmac_f32 v25, 0x80000000, v111
	s_waitcnt vmcnt(2)
	v_dual_fmac_f32 v26, 0x80000000, v111 :: v_dual_fmac_f32 v29, 0, v112
	v_fmac_f32_e32 v27, v69, v111
	v_fmac_f32_e32 v30, v65, v110
	v_dual_fmac_f32 v24, v73, v111 :: v_dual_fmac_f32 v25, v62, v112
	s_delay_alu instid0(VALU_DEP_4) | instskip(NEXT) | instid1(VALU_DEP_4)
	v_dual_fmac_f32 v31, v61, v111 :: v_dual_fmac_f32 v26, v74, v112
	v_dual_fmac_f32 v28, 0x80000000, v111 :: v_dual_fmac_f32 v27, 0, v112
	s_delay_alu instid0(VALU_DEP_4) | instskip(NEXT) | instid1(VALU_DEP_4)
	v_fmac_f32_e32 v30, 0x80000000, v111
	v_dual_fmac_f32 v24, 0, v112 :: v_dual_fmac_f32 v29, v66, v113
	s_delay_alu instid0(VALU_DEP_4) | instskip(NEXT) | instid1(VALU_DEP_4)
	v_fmac_f32_e32 v31, 0, v112
	v_dual_fmac_f32 v28, v70, v112 :: v_dual_fmac_f32 v25, 0x80000000, v113
	s_delay_alu instid0(VALU_DEP_3) | instskip(SKIP_2) | instid1(VALU_DEP_4)
	v_dual_fmac_f32 v26, 0x80000000, v113 :: v_dual_fmac_f32 v29, 0, v114
	v_fmac_f32_e32 v27, v70, v113
	v_fmac_f32_e32 v30, v66, v112
	v_dual_fmac_f32 v24, v74, v113 :: v_dual_fmac_f32 v25, v63, v114
	s_delay_alu instid0(VALU_DEP_4) | instskip(NEXT) | instid1(VALU_DEP_4)
	v_dual_fmac_f32 v31, v62, v113 :: v_dual_fmac_f32 v26, v75, v114
	v_dual_fmac_f32 v28, 0x80000000, v113 :: v_dual_fmac_f32 v27, 0, v114
	s_delay_alu instid0(VALU_DEP_4) | instskip(NEXT) | instid1(VALU_DEP_4)
	v_fmac_f32_e32 v30, 0x80000000, v113
	v_dual_fmac_f32 v24, 0, v114 :: v_dual_fmac_f32 v29, v67, v115
	s_delay_alu instid0(VALU_DEP_4) | instskip(NEXT) | instid1(VALU_DEP_4)
	v_fmac_f32_e32 v31, 0, v114
	v_dual_fmac_f32 v28, v71, v114 :: v_dual_fmac_f32 v25, 0x80000000, v115
	s_waitcnt vmcnt(1)
	s_delay_alu instid0(VALU_DEP_3) | instskip(SKIP_3) | instid1(VALU_DEP_4)
	v_dual_fmac_f32 v26, 0x80000000, v115 :: v_dual_fmac_f32 v29, 0, v116
	v_fmac_f32_e32 v27, v71, v115
	v_fmac_f32_e32 v30, v67, v114
	v_dual_fmac_f32 v24, v75, v115 :: v_dual_fmac_f32 v25, v76, v116
	v_dual_fmac_f32 v31, v63, v115 :: v_dual_fmac_f32 v26, v88, v116
	s_delay_alu instid0(VALU_DEP_4) | instskip(NEXT) | instid1(VALU_DEP_4)
	v_dual_fmac_f32 v28, 0x80000000, v115 :: v_dual_fmac_f32 v27, 0, v116
	v_fmac_f32_e32 v30, 0x80000000, v115
	s_delay_alu instid0(VALU_DEP_4) | instskip(NEXT) | instid1(VALU_DEP_4)
	v_dual_fmac_f32 v24, 0, v116 :: v_dual_fmac_f32 v29, v80, v117
	v_fmac_f32_e32 v31, 0, v116
	s_delay_alu instid0(VALU_DEP_4) | instskip(NEXT) | instid1(VALU_DEP_3)
	v_dual_fmac_f32 v28, v84, v116 :: v_dual_fmac_f32 v25, 0x80000000, v117
	v_dual_fmac_f32 v26, 0x80000000, v117 :: v_dual_fmac_f32 v29, 0, v118
	v_fmac_f32_e32 v27, v84, v117
	v_fmac_f32_e32 v30, v80, v116
	s_delay_alu instid0(VALU_DEP_4) | instskip(NEXT) | instid1(VALU_DEP_4)
	v_dual_fmac_f32 v24, v88, v117 :: v_dual_fmac_f32 v25, v77, v118
	v_dual_fmac_f32 v31, v76, v117 :: v_dual_fmac_f32 v26, v89, v118
	s_delay_alu instid0(VALU_DEP_4) | instskip(NEXT) | instid1(VALU_DEP_4)
	v_dual_fmac_f32 v28, 0x80000000, v117 :: v_dual_fmac_f32 v27, 0, v118
	v_fmac_f32_e32 v30, 0x80000000, v117
	s_delay_alu instid0(VALU_DEP_4) | instskip(NEXT) | instid1(VALU_DEP_4)
	v_dual_fmac_f32 v24, 0, v118 :: v_dual_fmac_f32 v29, v81, v119
	v_fmac_f32_e32 v31, 0, v118
	s_delay_alu instid0(VALU_DEP_4) | instskip(SKIP_1) | instid1(VALU_DEP_3)
	v_dual_fmac_f32 v28, v85, v118 :: v_dual_fmac_f32 v25, 0x80000000, v119
	s_waitcnt vmcnt(0)
	v_dual_fmac_f32 v26, 0x80000000, v119 :: v_dual_fmac_f32 v29, 0, v120
	v_fmac_f32_e32 v27, v85, v119
	v_fmac_f32_e32 v30, v81, v118
	v_dual_fmac_f32 v24, v89, v119 :: v_dual_fmac_f32 v25, v78, v120
	s_delay_alu instid0(VALU_DEP_4) | instskip(NEXT) | instid1(VALU_DEP_4)
	v_dual_fmac_f32 v31, v77, v119 :: v_dual_fmac_f32 v26, v90, v120
	v_dual_fmac_f32 v28, 0x80000000, v119 :: v_dual_fmac_f32 v27, 0, v120
	s_delay_alu instid0(VALU_DEP_4) | instskip(NEXT) | instid1(VALU_DEP_4)
	v_fmac_f32_e32 v30, 0x80000000, v119
	v_dual_fmac_f32 v24, 0, v120 :: v_dual_fmac_f32 v29, v82, v121
	s_delay_alu instid0(VALU_DEP_4) | instskip(NEXT) | instid1(VALU_DEP_4)
	v_fmac_f32_e32 v31, 0, v120
	v_dual_fmac_f32 v28, v86, v120 :: v_dual_fmac_f32 v25, 0x80000000, v121
	s_delay_alu instid0(VALU_DEP_3) | instskip(SKIP_2) | instid1(VALU_DEP_4)
	v_dual_fmac_f32 v26, 0x80000000, v121 :: v_dual_fmac_f32 v29, 0, v122
	v_fmac_f32_e32 v27, v86, v121
	v_fmac_f32_e32 v30, v82, v120
	v_dual_fmac_f32 v24, v90, v121 :: v_dual_fmac_f32 v25, v79, v122
	s_delay_alu instid0(VALU_DEP_4) | instskip(NEXT) | instid1(VALU_DEP_4)
	v_dual_fmac_f32 v31, v78, v121 :: v_dual_fmac_f32 v26, v91, v122
	v_dual_fmac_f32 v28, 0x80000000, v121 :: v_dual_fmac_f32 v27, 0, v122
	s_delay_alu instid0(VALU_DEP_4) | instskip(NEXT) | instid1(VALU_DEP_4)
	v_fmac_f32_e32 v30, 0x80000000, v121
	v_dual_fmac_f32 v24, 0, v122 :: v_dual_fmac_f32 v29, v83, v123
	s_delay_alu instid0(VALU_DEP_4) | instskip(NEXT) | instid1(VALU_DEP_4)
	v_fmac_f32_e32 v31, 0, v122
	v_dual_fmac_f32 v28, v87, v122 :: v_dual_fmac_f32 v25, 0x80000000, v123
	v_fmac_f32_e32 v27, v87, v123
	v_fmac_f32_e32 v30, v83, v122
	;; [unrolled: 1-line block ×7, first 2 shown]
	s_and_not1_b32 exec_lo, exec_lo, s10
	s_cbranch_execnz .LBB126_27
; %bb.28:
	s_or_b32 exec_lo, exec_lo, s10
.LBB126_29:
	s_delay_alu instid0(SALU_CYCLE_1)
	s_or_b32 exec_lo, exec_lo, s7
.LBB126_30:
	s_delay_alu instid0(SALU_CYCLE_1) | instskip(NEXT) | instid1(SALU_CYCLE_1)
	s_or_b32 exec_lo, exec_lo, s6
	s_and_not1_b32 vcc_lo, exec_lo, s3
	s_cbranch_vccz .LBB126_32
	s_branch .LBB126_43
.LBB126_31:
                                        ; implicit-def: $vgpr24
                                        ; implicit-def: $vgpr26
                                        ; implicit-def: $vgpr27
                                        ; implicit-def: $vgpr28
                                        ; implicit-def: $vgpr29
                                        ; implicit-def: $vgpr30
                                        ; implicit-def: $vgpr31
                                        ; implicit-def: $vgpr25
.LBB126_32:
	v_dual_mov_b32 v24, 0 :: v_dual_mov_b32 v27, 0
	v_dual_mov_b32 v26, 0 :: v_dual_mov_b32 v29, 0
	v_dual_mov_b32 v28, 0 :: v_dual_mov_b32 v31, 0
	v_dual_mov_b32 v30, 0 :: v_dual_mov_b32 v25, 0
	s_and_saveexec_b32 s3, s2
	s_cbranch_execz .LBB126_42
; %bb.33:
	v_or_b32_e32 v9, 8, v23
	v_dual_mov_b32 v25, 0 :: v_dual_mov_b32 v28, 0
	v_dual_mov_b32 v31, 0 :: v_dual_mov_b32 v26, 0
	s_delay_alu instid0(VALU_DEP_3) | instskip(NEXT) | instid1(VALU_DEP_1)
	v_sub_co_u32 v9, s2, v9, s12
	v_sub_co_ci_u32_e64 v10, null, 0, 0, s2
	v_sub_co_u32 v11, s2, s12, v23
	s_delay_alu instid0(VALU_DEP_3) | instskip(NEXT) | instid1(VALU_DEP_3)
	v_add_co_u32 v9, vcc_lo, v9, v6
	v_add_co_ci_u32_e32 v10, vcc_lo, v10, v7, vcc_lo
	v_not_b32_e32 v6, v6
	v_not_b32_e32 v7, v7
	v_sub_co_ci_u32_e64 v12, null, 0, 0, s2
	s_delay_alu instid0(VALU_DEP_4)
	v_cmp_gt_i64_e32 vcc_lo, v[9:10], v[2:3]
	v_mov_b32_e32 v29, 0
	v_mov_b32_e32 v27, 0
	s_mov_b32 s6, 0
	s_mov_b32 s2, exec_lo
	v_mov_b32_e32 v30, 0
	v_dual_cndmask_b32 v10, v3, v10 :: v_dual_cndmask_b32 v9, v2, v9
	v_add_co_u32 v6, vcc_lo, v11, v6
	v_add_co_ci_u32_e32 v7, vcc_lo, v12, v7, vcc_lo
	v_mov_b32_e32 v24, 0
	s_delay_alu instid0(VALU_DEP_3) | instskip(NEXT) | instid1(VALU_DEP_3)
	v_add_co_u32 v6, vcc_lo, v6, v9
	v_add_co_ci_u32_e32 v7, vcc_lo, v7, v10, vcc_lo
	s_delay_alu instid0(VALU_DEP_2) | instskip(NEXT) | instid1(VALU_DEP_1)
	v_lshrrev_b32_e32 v9, 3, v6
	v_add_nc_u32_e32 v9, 1, v9
	s_delay_alu instid0(VALU_DEP_1) | instskip(NEXT) | instid1(VALU_DEP_1)
	v_and_b32_e32 v9, 3, v9
	v_cmpx_ne_u32_e32 0, v9
	s_cbranch_execz .LBB126_37
; %bb.34:
	v_lshlrev_b64 v[11:12], 2, v[0:1]
	v_dual_mov_b32 v10, 0 :: v_dual_lshlrev_b32 v9, 2, v9
	s_delay_alu instid0(VALU_DEP_1) | instskip(NEXT) | instid1(VALU_DEP_3)
	v_mov_b32_e32 v24, v10
	v_add_co_u32 v11, vcc_lo, s8, v11
	s_delay_alu instid0(VALU_DEP_4)
	v_add_co_ci_u32_e32 v12, vcc_lo, s9, v12, vcc_lo
	v_mov_b32_e32 v26, v10
	v_mov_b32_e32 v27, v10
	;; [unrolled: 1-line block ×7, first 2 shown]
.LBB126_35:                             ; =>This Inner Loop Header: Depth=1
	global_load_b32 v17, v[11:12], off
	s_clause 0x1
	global_load_b128 v[13:16], v[4:5], off offset:16
	global_load_b128 v[32:35], v[4:5], off
	s_waitcnt vmcnt(2)
	v_subrev_nc_u32_e32 v17, s12, v17
	s_delay_alu instid0(VALU_DEP_1) | instskip(NEXT) | instid1(VALU_DEP_1)
	v_lshlrev_b32_e32 v17, 2, v17
	v_ashrrev_i32_e32 v18, 31, v17
	s_delay_alu instid0(VALU_DEP_1) | instskip(SKIP_1) | instid1(VALU_DEP_1)
	v_lshlrev_b64 v[17:18], 3, v[17:18]
	s_waitcnt lgkmcnt(0)
	v_add_co_u32 v17, vcc_lo, s4, v17
	s_delay_alu instid0(VALU_DEP_2)
	v_add_co_ci_u32_e32 v18, vcc_lo, s5, v18, vcc_lo
	s_clause 0x1
	global_load_b128 v[36:39], v[17:18], off
	global_load_b128 v[40:43], v[17:18], off offset:16
	s_clause 0x1
	global_load_b128 v[44:47], v[4:5], off offset:32
	global_load_b128 v[48:51], v[4:5], off offset:48
	v_add_co_u32 v4, vcc_lo, 0x200, v4
	v_add_co_ci_u32_e32 v5, vcc_lo, 0, v5, vcc_lo
	v_add_co_u32 v0, vcc_lo, v0, 8
	v_add_co_ci_u32_e32 v1, vcc_lo, 0, v1, vcc_lo
	v_add_co_u32 v9, vcc_lo, v9, -4
	v_add_co_ci_u32_e32 v10, vcc_lo, -1, v10, vcc_lo
	v_add_co_u32 v11, vcc_lo, v11, 32
	v_add_co_ci_u32_e32 v12, vcc_lo, 0, v12, vcc_lo
	s_delay_alu instid0(VALU_DEP_3) | instskip(SKIP_3) | instid1(VALU_DEP_1)
	v_cmp_eq_u64_e32 vcc_lo, 0, v[9:10]
	s_or_b32 s6, vcc_lo, s6
	s_waitcnt vmcnt(3)
	v_fmac_f32_e32 v26, v32, v36
	v_dual_fmac_f32 v27, 0, v36 :: v_dual_fmac_f32 v26, 0x80000000, v37
	s_delay_alu instid0(VALU_DEP_1) | instskip(NEXT) | instid1(VALU_DEP_2)
	v_dual_fmac_f32 v24, 0, v36 :: v_dual_fmac_f32 v27, v33, v37
	v_dual_fmac_f32 v29, 0, v36 :: v_dual_fmac_f32 v26, v13, v38
	s_delay_alu instid0(VALU_DEP_2) | instskip(NEXT) | instid1(VALU_DEP_2)
	v_fmac_f32_e32 v24, v32, v37
	v_dual_fmac_f32 v28, v33, v36 :: v_dual_fmac_f32 v29, v34, v37
	v_fmac_f32_e32 v25, v35, v36
	s_delay_alu instid0(VALU_DEP_4) | instskip(NEXT) | instid1(VALU_DEP_3)
	v_dual_fmac_f32 v27, 0, v38 :: v_dual_fmac_f32 v26, 0x80000000, v39
	v_fmac_f32_e32 v28, 0x80000000, v37
	s_delay_alu instid0(VALU_DEP_3) | instskip(SKIP_1) | instid1(VALU_DEP_2)
	v_dual_fmac_f32 v30, v34, v36 :: v_dual_fmac_f32 v25, 0x80000000, v37
	v_dual_fmac_f32 v31, 0, v36 :: v_dual_fmac_f32 v24, 0, v38
	v_dual_fmac_f32 v27, v14, v39 :: v_dual_fmac_f32 v30, 0x80000000, v37
	v_fmac_f32_e32 v29, 0, v38
	s_delay_alu instid0(VALU_DEP_3) | instskip(SKIP_1) | instid1(VALU_DEP_3)
	v_dual_fmac_f32 v31, v35, v37 :: v_dual_fmac_f32 v24, v13, v39
	s_waitcnt vmcnt(2)
	v_dual_fmac_f32 v28, v14, v38 :: v_dual_fmac_f32 v27, 0, v40
	s_delay_alu instid0(VALU_DEP_3) | instskip(SKIP_4) | instid1(VALU_DEP_3)
	v_fmac_f32_e32 v29, v15, v39
	v_fmac_f32_e32 v25, v16, v38
	s_waitcnt vmcnt(1)
	v_fmac_f32_e32 v26, v44, v40
	v_dual_fmac_f32 v28, 0x80000000, v39 :: v_dual_fmac_f32 v27, v45, v41
	v_dual_fmac_f32 v30, v15, v38 :: v_dual_fmac_f32 v25, 0x80000000, v39
	s_delay_alu instid0(VALU_DEP_3) | instskip(SKIP_1) | instid1(VALU_DEP_3)
	v_dual_fmac_f32 v31, 0, v38 :: v_dual_fmac_f32 v26, 0x80000000, v41
	v_fmac_f32_e32 v24, 0, v40
	v_dual_fmac_f32 v30, 0x80000000, v39 :: v_dual_fmac_f32 v29, 0, v40
	s_delay_alu instid0(VALU_DEP_3)
	v_fmac_f32_e32 v31, v16, v39
	s_waitcnt vmcnt(0)
	v_fmac_f32_e32 v26, v48, v42
	v_fmac_f32_e32 v24, v44, v41
	v_dual_fmac_f32 v28, v45, v40 :: v_dual_fmac_f32 v29, v46, v41
	v_fmac_f32_e32 v25, v47, v40
	s_delay_alu instid0(VALU_DEP_4) | instskip(NEXT) | instid1(VALU_DEP_3)
	v_dual_fmac_f32 v27, 0, v42 :: v_dual_fmac_f32 v26, 0x80000000, v43
	v_fmac_f32_e32 v28, 0x80000000, v41
	s_delay_alu instid0(VALU_DEP_3) | instskip(SKIP_1) | instid1(VALU_DEP_2)
	v_dual_fmac_f32 v30, v46, v40 :: v_dual_fmac_f32 v25, 0x80000000, v41
	v_dual_fmac_f32 v31, 0, v40 :: v_dual_fmac_f32 v24, 0, v42
	;; [unrolled: 1-line block ×3, first 2 shown]
	v_fmac_f32_e32 v29, 0, v42
	s_delay_alu instid0(VALU_DEP_3) | instskip(NEXT) | instid1(VALU_DEP_2)
	v_dual_fmac_f32 v31, v47, v41 :: v_dual_fmac_f32 v24, v48, v43
	v_dual_fmac_f32 v28, v49, v42 :: v_dual_fmac_f32 v29, v50, v43
	s_delay_alu instid0(VALU_DEP_1) | instskip(NEXT) | instid1(VALU_DEP_1)
	v_dual_fmac_f32 v25, v51, v42 :: v_dual_fmac_f32 v28, 0x80000000, v43
	v_dual_fmac_f32 v30, v50, v42 :: v_dual_fmac_f32 v25, 0x80000000, v43
	s_delay_alu instid0(VALU_DEP_1) | instskip(NEXT) | instid1(VALU_DEP_1)
	v_dual_fmac_f32 v31, 0, v42 :: v_dual_fmac_f32 v30, 0x80000000, v43
	v_fmac_f32_e32 v31, v51, v43
	s_and_not1_b32 exec_lo, exec_lo, s6
	s_cbranch_execnz .LBB126_35
; %bb.36:
	s_or_b32 exec_lo, exec_lo, s6
.LBB126_37:
	s_delay_alu instid0(SALU_CYCLE_1) | instskip(NEXT) | instid1(SALU_CYCLE_1)
	s_or_b32 exec_lo, exec_lo, s2
	s_mov_b32 s2, exec_lo
	v_cmpx_lt_u64_e32 23, v[6:7]
	s_cbranch_execz .LBB126_41
; %bb.38:
	v_lshlrev_b64 v[6:7], 2, v[0:1]
	s_mov_b32 s6, 0
	s_delay_alu instid0(VALU_DEP_1) | instskip(NEXT) | instid1(VALU_DEP_2)
	v_add_co_u32 v6, vcc_lo, v6, s8
	v_add_co_ci_u32_e32 v7, vcc_lo, s9, v7, vcc_lo
	s_delay_alu instid0(VALU_DEP_2) | instskip(NEXT) | instid1(VALU_DEP_2)
	v_add_co_u32 v6, vcc_lo, v6, 64
	v_add_co_ci_u32_e32 v7, vcc_lo, 0, v7, vcc_lo
.LBB126_39:                             ; =>This Inner Loop Header: Depth=1
	s_clause 0x3
	global_load_b32 v17, v[6:7], off offset:-64
	global_load_b32 v18, v[6:7], off offset:-32
	global_load_b32 v80, v[6:7], off
	global_load_b32 v81, v[6:7], off offset:32
	s_clause 0xd
	global_load_b128 v[9:12], v[4:5], off offset:48
	global_load_b128 v[13:16], v[4:5], off offset:32
	;; [unrolled: 1-line block ×3, first 2 shown]
	global_load_b128 v[36:39], v[4:5], off
	global_load_b128 v[40:43], v[4:5], off offset:560
	global_load_b128 v[44:47], v[4:5], off offset:544
	;; [unrolled: 1-line block ×10, first 2 shown]
	s_waitcnt vmcnt(17)
	v_subrev_nc_u32_e32 v17, s12, v17
	s_waitcnt vmcnt(16)
	v_subrev_nc_u32_e32 v18, s12, v18
	;; [unrolled: 2-line block ×4, first 2 shown]
	v_lshlrev_b32_e32 v17, 2, v17
	v_lshlrev_b32_e32 v80, 2, v18
	;; [unrolled: 1-line block ×3, first 2 shown]
	s_delay_alu instid0(VALU_DEP_4) | instskip(NEXT) | instid1(VALU_DEP_4)
	v_lshlrev_b32_e32 v84, 2, v81
	v_ashrrev_i32_e32 v18, 31, v17
	s_delay_alu instid0(VALU_DEP_4) | instskip(NEXT) | instid1(VALU_DEP_4)
	v_ashrrev_i32_e32 v81, 31, v80
	v_ashrrev_i32_e32 v83, 31, v82
	s_delay_alu instid0(VALU_DEP_4) | instskip(NEXT) | instid1(VALU_DEP_4)
	v_ashrrev_i32_e32 v85, 31, v84
	v_lshlrev_b64 v[17:18], 3, v[17:18]
	s_delay_alu instid0(VALU_DEP_4) | instskip(NEXT) | instid1(VALU_DEP_4)
	v_lshlrev_b64 v[80:81], 3, v[80:81]
	v_lshlrev_b64 v[82:83], 3, v[82:83]
	s_delay_alu instid0(VALU_DEP_4) | instskip(SKIP_1) | instid1(VALU_DEP_4)
	v_lshlrev_b64 v[84:85], 3, v[84:85]
	s_waitcnt lgkmcnt(0)
	v_add_co_u32 v17, vcc_lo, s4, v17
	v_add_co_ci_u32_e32 v18, vcc_lo, s5, v18, vcc_lo
	v_add_co_u32 v92, vcc_lo, s4, v80
	v_add_co_ci_u32_e32 v93, vcc_lo, s5, v81, vcc_lo
	;; [unrolled: 2-line block ×4, first 2 shown]
	s_clause 0x6
	global_load_b128 v[80:83], v[17:18], off
	global_load_b128 v[84:87], v[17:18], off offset:16
	global_load_b128 v[88:91], v[92:93], off
	global_load_b128 v[92:95], v[92:93], off offset:16
	;; [unrolled: 2-line block ×4, first 2 shown]
	global_load_b128 v[112:115], v[112:113], off offset:16
	global_load_b128 v[116:119], v[4:5], off offset:1584
	v_add_co_u32 v4, vcc_lo, 0x800, v4
	v_add_co_ci_u32_e32 v5, vcc_lo, 0, v5, vcc_lo
	v_add_co_u32 v0, vcc_lo, v0, 32
	v_add_co_ci_u32_e32 v1, vcc_lo, 0, v1, vcc_lo
	;; [unrolled: 2-line block ×3, first 2 shown]
	s_delay_alu instid0(VALU_DEP_3)
	v_cmp_ge_i64_e32 vcc_lo, v[0:1], v[2:3]
	s_or_b32 s6, vcc_lo, s6
	s_waitcnt vmcnt(9)
	v_fmac_f32_e32 v29, 0, v80
	v_fmac_f32_e32 v26, v36, v80
	;; [unrolled: 1-line block ×8, first 2 shown]
	v_dual_fmac_f32 v31, 0, v80 :: v_dual_fmac_f32 v24, v36, v81
	v_fmac_f32_e32 v28, v37, v80
	v_fmac_f32_e32 v27, v37, v81
	;; [unrolled: 1-line block ×3, first 2 shown]
	s_delay_alu instid0(VALU_DEP_4) | instskip(SKIP_1) | instid1(VALU_DEP_4)
	v_fmac_f32_e32 v31, v39, v81
	v_dual_fmac_f32 v30, 0x80000000, v81 :: v_dual_fmac_f32 v29, 0, v82
	v_dual_fmac_f32 v28, 0x80000000, v81 :: v_dual_fmac_f32 v27, 0, v82
	v_fmac_f32_e32 v26, v32, v82
	s_delay_alu instid0(VALU_DEP_3) | instskip(SKIP_1) | instid1(VALU_DEP_4)
	v_dual_fmac_f32 v24, 0, v82 :: v_dual_fmac_f32 v29, v34, v83
	v_fmac_f32_e32 v31, 0, v82
	v_fmac_f32_e32 v27, v33, v83
	s_delay_alu instid0(VALU_DEP_4) | instskip(SKIP_3) | instid1(VALU_DEP_4)
	v_dual_fmac_f32 v25, v35, v82 :: v_dual_fmac_f32 v26, 0x80000000, v83
	v_fmac_f32_e32 v30, v34, v82
	v_fmac_f32_e32 v24, v32, v83
	v_dual_fmac_f32 v28, v33, v82 :: v_dual_fmac_f32 v31, v35, v83
	v_fmac_f32_e32 v25, 0x80000000, v83
	s_waitcnt vmcnt(8)
	v_dual_fmac_f32 v30, 0x80000000, v83 :: v_dual_fmac_f32 v29, 0, v84
	s_delay_alu instid0(VALU_DEP_3) | instskip(SKIP_1) | instid1(VALU_DEP_3)
	v_dual_fmac_f32 v28, 0x80000000, v83 :: v_dual_fmac_f32 v27, 0, v84
	v_fmac_f32_e32 v26, v13, v84
	v_dual_fmac_f32 v24, 0, v84 :: v_dual_fmac_f32 v29, v15, v85
	v_fmac_f32_e32 v31, 0, v84
	s_delay_alu instid0(VALU_DEP_4) | instskip(NEXT) | instid1(VALU_DEP_4)
	v_fmac_f32_e32 v27, v14, v85
	v_dual_fmac_f32 v25, v16, v84 :: v_dual_fmac_f32 v26, 0x80000000, v85
	v_fmac_f32_e32 v30, v15, v84
	v_fmac_f32_e32 v24, v13, v85
	v_dual_fmac_f32 v28, v14, v84 :: v_dual_fmac_f32 v31, v16, v85
	s_delay_alu instid0(VALU_DEP_4) | instskip(NEXT) | instid1(VALU_DEP_4)
	v_fmac_f32_e32 v25, 0x80000000, v85
	v_dual_fmac_f32 v30, 0x80000000, v85 :: v_dual_fmac_f32 v29, 0, v86
	s_delay_alu instid0(VALU_DEP_3) | instskip(SKIP_1) | instid1(VALU_DEP_3)
	v_dual_fmac_f32 v28, 0x80000000, v85 :: v_dual_fmac_f32 v27, 0, v86
	v_fmac_f32_e32 v26, v9, v86
	v_dual_fmac_f32 v24, 0, v86 :: v_dual_fmac_f32 v29, v11, v87
	v_fmac_f32_e32 v31, 0, v86
	s_delay_alu instid0(VALU_DEP_4) | instskip(NEXT) | instid1(VALU_DEP_4)
	v_fmac_f32_e32 v27, v10, v87
	v_dual_fmac_f32 v25, v12, v86 :: v_dual_fmac_f32 v26, 0x80000000, v87
	v_fmac_f32_e32 v30, v11, v86
	v_fmac_f32_e32 v24, v9, v87
	v_dual_fmac_f32 v28, v10, v86 :: v_dual_fmac_f32 v31, v12, v87
	s_delay_alu instid0(VALU_DEP_4) | instskip(SKIP_2) | instid1(VALU_DEP_3)
	v_fmac_f32_e32 v25, 0x80000000, v87
	s_waitcnt vmcnt(7)
	v_dual_fmac_f32 v30, 0x80000000, v87 :: v_dual_fmac_f32 v29, 0, v88
	v_dual_fmac_f32 v28, 0x80000000, v87 :: v_dual_fmac_f32 v27, 0, v88
	v_fmac_f32_e32 v26, v52, v88
	s_delay_alu instid0(VALU_DEP_3) | instskip(SKIP_1) | instid1(VALU_DEP_4)
	v_dual_fmac_f32 v24, 0, v88 :: v_dual_fmac_f32 v29, v54, v89
	v_fmac_f32_e32 v31, 0, v88
	v_fmac_f32_e32 v27, v53, v89
	s_delay_alu instid0(VALU_DEP_4) | instskip(SKIP_3) | instid1(VALU_DEP_4)
	v_dual_fmac_f32 v25, v55, v88 :: v_dual_fmac_f32 v26, 0x80000000, v89
	v_fmac_f32_e32 v28, v53, v88
	v_fmac_f32_e32 v24, v52, v89
	v_dual_fmac_f32 v30, v54, v88 :: v_dual_fmac_f32 v31, v55, v89
	v_fmac_f32_e32 v25, 0x80000000, v89
	s_delay_alu instid0(VALU_DEP_4) | instskip(NEXT) | instid1(VALU_DEP_3)
	v_dual_fmac_f32 v28, 0x80000000, v89 :: v_dual_fmac_f32 v27, 0, v90
	v_dual_fmac_f32 v30, 0x80000000, v89 :: v_dual_fmac_f32 v29, 0, v90
	v_fmac_f32_e32 v26, v48, v90
	s_delay_alu instid0(VALU_DEP_3) | instskip(SKIP_1) | instid1(VALU_DEP_4)
	v_dual_fmac_f32 v24, 0, v90 :: v_dual_fmac_f32 v27, v49, v91
	v_fmac_f32_e32 v25, v51, v90
	v_fmac_f32_e32 v29, v50, v91
	s_delay_alu instid0(VALU_DEP_4) | instskip(SKIP_4) | instid1(VALU_DEP_3)
	v_fmac_f32_e32 v26, 0x80000000, v91
	v_fmac_f32_e32 v28, v49, v90
	v_dual_fmac_f32 v31, 0, v90 :: v_dual_fmac_f32 v24, v48, v91
	v_dual_fmac_f32 v30, v50, v90 :: v_dual_fmac_f32 v25, 0x80000000, v91
	s_waitcnt vmcnt(6)
	v_dual_fmac_f32 v28, 0x80000000, v91 :: v_dual_fmac_f32 v27, 0, v92
	s_delay_alu instid0(VALU_DEP_3) | instskip(NEXT) | instid1(VALU_DEP_3)
	v_fmac_f32_e32 v31, v51, v91
	v_dual_fmac_f32 v30, 0x80000000, v91 :: v_dual_fmac_f32 v29, 0, v92
	s_delay_alu instid0(VALU_DEP_3) | instskip(SKIP_2) | instid1(VALU_DEP_4)
	v_dual_fmac_f32 v26, v44, v92 :: v_dual_fmac_f32 v27, v45, v93
	v_fmac_f32_e32 v24, 0, v92
	v_fmac_f32_e32 v25, v47, v92
	v_fmac_f32_e32 v29, v46, v93
	s_delay_alu instid0(VALU_DEP_4) | instskip(SKIP_3) | instid1(VALU_DEP_3)
	v_fmac_f32_e32 v26, 0x80000000, v93
	v_fmac_f32_e32 v28, v45, v92
	v_dual_fmac_f32 v31, 0, v92 :: v_dual_fmac_f32 v24, v44, v93
	v_dual_fmac_f32 v30, v46, v92 :: v_dual_fmac_f32 v25, 0x80000000, v93
	v_dual_fmac_f32 v28, 0x80000000, v93 :: v_dual_fmac_f32 v27, 0, v94
	s_delay_alu instid0(VALU_DEP_3) | instskip(NEXT) | instid1(VALU_DEP_3)
	v_fmac_f32_e32 v31, v47, v93
	v_dual_fmac_f32 v30, 0x80000000, v93 :: v_dual_fmac_f32 v29, 0, v94
	s_delay_alu instid0(VALU_DEP_3) | instskip(SKIP_2) | instid1(VALU_DEP_4)
	v_dual_fmac_f32 v26, v40, v94 :: v_dual_fmac_f32 v27, v41, v95
	v_fmac_f32_e32 v24, 0, v94
	v_fmac_f32_e32 v25, v43, v94
	v_fmac_f32_e32 v29, v42, v95
	s_delay_alu instid0(VALU_DEP_4) | instskip(SKIP_4) | instid1(VALU_DEP_3)
	v_fmac_f32_e32 v26, 0x80000000, v95
	v_fmac_f32_e32 v28, v41, v94
	v_dual_fmac_f32 v31, 0, v94 :: v_dual_fmac_f32 v24, v40, v95
	v_dual_fmac_f32 v30, v42, v94 :: v_dual_fmac_f32 v25, 0x80000000, v95
	s_waitcnt vmcnt(5)
	v_dual_fmac_f32 v28, 0x80000000, v95 :: v_dual_fmac_f32 v27, 0, v96
	s_delay_alu instid0(VALU_DEP_3) | instskip(NEXT) | instid1(VALU_DEP_3)
	v_fmac_f32_e32 v31, v43, v95
	v_dual_fmac_f32 v30, 0x80000000, v95 :: v_dual_fmac_f32 v29, 0, v96
	s_delay_alu instid0(VALU_DEP_3) | instskip(SKIP_2) | instid1(VALU_DEP_4)
	v_dual_fmac_f32 v26, v68, v96 :: v_dual_fmac_f32 v27, v69, v97
	v_fmac_f32_e32 v24, 0, v96
	v_fmac_f32_e32 v25, v71, v96
	v_fmac_f32_e32 v29, v70, v97
	s_delay_alu instid0(VALU_DEP_4) | instskip(SKIP_3) | instid1(VALU_DEP_3)
	v_fmac_f32_e32 v26, 0x80000000, v97
	v_fmac_f32_e32 v28, v69, v96
	v_dual_fmac_f32 v31, 0, v96 :: v_dual_fmac_f32 v24, v68, v97
	v_dual_fmac_f32 v30, v70, v96 :: v_dual_fmac_f32 v25, 0x80000000, v97
	v_dual_fmac_f32 v28, 0x80000000, v97 :: v_dual_fmac_f32 v27, 0, v98
	s_delay_alu instid0(VALU_DEP_3) | instskip(NEXT) | instid1(VALU_DEP_3)
	v_fmac_f32_e32 v31, v71, v97
	v_dual_fmac_f32 v30, 0x80000000, v97 :: v_dual_fmac_f32 v29, 0, v98
	s_delay_alu instid0(VALU_DEP_3) | instskip(SKIP_2) | instid1(VALU_DEP_4)
	v_dual_fmac_f32 v26, v64, v98 :: v_dual_fmac_f32 v27, v65, v99
	v_fmac_f32_e32 v24, 0, v98
	;; [unrolled: 29-line block ×4, first 2 shown]
	v_fmac_f32_e32 v25, v75, v106
	v_fmac_f32_e32 v29, v74, v107
	s_delay_alu instid0(VALU_DEP_4) | instskip(SKIP_4) | instid1(VALU_DEP_3)
	v_fmac_f32_e32 v26, 0x80000000, v107
	v_fmac_f32_e32 v28, v73, v106
	v_dual_fmac_f32 v31, 0, v106 :: v_dual_fmac_f32 v24, v72, v107
	v_dual_fmac_f32 v30, v74, v106 :: v_dual_fmac_f32 v25, 0x80000000, v107
	s_waitcnt vmcnt(1)
	v_dual_fmac_f32 v28, 0x80000000, v107 :: v_dual_fmac_f32 v27, 0, v112
	s_delay_alu instid0(VALU_DEP_3) | instskip(NEXT) | instid1(VALU_DEP_3)
	v_fmac_f32_e32 v31, v75, v107
	v_dual_fmac_f32 v30, 0x80000000, v107 :: v_dual_fmac_f32 v29, 0, v112
	s_delay_alu instid0(VALU_DEP_3) | instskip(SKIP_2) | instid1(VALU_DEP_4)
	v_dual_fmac_f32 v26, v108, v112 :: v_dual_fmac_f32 v27, v109, v113
	v_fmac_f32_e32 v24, 0, v112
	v_fmac_f32_e32 v25, v111, v112
	;; [unrolled: 1-line block ×3, first 2 shown]
	s_delay_alu instid0(VALU_DEP_4) | instskip(SKIP_3) | instid1(VALU_DEP_3)
	v_fmac_f32_e32 v26, 0x80000000, v113
	v_fmac_f32_e32 v28, v109, v112
	v_dual_fmac_f32 v31, 0, v112 :: v_dual_fmac_f32 v24, v108, v113
	v_dual_fmac_f32 v30, v110, v112 :: v_dual_fmac_f32 v25, 0x80000000, v113
	v_dual_fmac_f32 v28, 0x80000000, v113 :: v_dual_fmac_f32 v27, 0, v114
	s_delay_alu instid0(VALU_DEP_3) | instskip(NEXT) | instid1(VALU_DEP_3)
	v_fmac_f32_e32 v31, v111, v113
	v_dual_fmac_f32 v30, 0x80000000, v113 :: v_dual_fmac_f32 v29, 0, v114
	s_waitcnt vmcnt(0)
	s_delay_alu instid0(VALU_DEP_3) | instskip(SKIP_3) | instid1(VALU_DEP_4)
	v_dual_fmac_f32 v26, v116, v114 :: v_dual_fmac_f32 v27, v117, v115
	v_fmac_f32_e32 v24, 0, v114
	v_fmac_f32_e32 v25, v119, v114
	;; [unrolled: 1-line block ×5, first 2 shown]
	v_dual_fmac_f32 v31, 0, v114 :: v_dual_fmac_f32 v24, v116, v115
	v_dual_fmac_f32 v30, v118, v114 :: v_dual_fmac_f32 v25, 0x80000000, v115
	s_delay_alu instid0(VALU_DEP_3) | instskip(NEXT) | instid1(VALU_DEP_3)
	v_fmac_f32_e32 v28, 0x80000000, v115
	v_fmac_f32_e32 v31, v119, v115
	s_delay_alu instid0(VALU_DEP_3)
	v_fmac_f32_e32 v30, 0x80000000, v115
	s_and_not1_b32 exec_lo, exec_lo, s6
	s_cbranch_execnz .LBB126_39
; %bb.40:
	s_or_b32 exec_lo, exec_lo, s6
.LBB126_41:
	s_delay_alu instid0(SALU_CYCLE_1)
	s_or_b32 exec_lo, exec_lo, s2
.LBB126_42:
	s_delay_alu instid0(SALU_CYCLE_1)
	s_or_b32 exec_lo, exec_lo, s3
.LBB126_43:
	v_mbcnt_lo_u32_b32 v0, -1, 0
	s_delay_alu instid0(VALU_DEP_1) | instskip(SKIP_2) | instid1(VALU_DEP_3)
	v_xor_b32_e32 v1, 4, v0
	v_xor_b32_e32 v10, 2, v0
	v_xor_b32_e32 v18, 1, v0
	v_cmp_gt_i32_e32 vcc_lo, 32, v1
	v_cndmask_b32_e32 v1, v0, v1, vcc_lo
	s_delay_alu instid0(VALU_DEP_4) | instskip(SKIP_2) | instid1(VALU_DEP_2)
	v_cmp_gt_i32_e32 vcc_lo, 32, v10
	v_cndmask_b32_e32 v10, v0, v10, vcc_lo
	v_cmp_gt_i32_e32 vcc_lo, 32, v18
	v_lshlrev_b32_e32 v10, 2, v10
	v_dual_cndmask_b32 v0, v0, v18 :: v_dual_lshlrev_b32 v1, 2, v1
	v_cmp_eq_u32_e32 vcc_lo, 7, v23
	ds_bpermute_b32 v2, v1, v26
	v_lshlrev_b32_e32 v18, 2, v0
	s_waitcnt lgkmcnt(0)
	v_add_f32_e32 v2, v26, v2
	ds_bpermute_b32 v3, v1, v24
	ds_bpermute_b32 v4, v1, v28
	;; [unrolled: 1-line block ×7, first 2 shown]
	s_waitcnt lgkmcnt(6)
	v_add_f32_e32 v3, v24, v3
	s_waitcnt lgkmcnt(4)
	v_dual_add_f32 v4, v28, v4 :: v_dual_add_f32 v5, v27, v5
	s_waitcnt lgkmcnt(2)
	v_dual_add_f32 v6, v30, v6 :: v_dual_add_f32 v7, v29, v7
	s_waitcnt lgkmcnt(1)
	v_add_f32_e32 v9, v25, v9
	s_waitcnt lgkmcnt(0)
	v_add_f32_e32 v11, v31, v1
	ds_bpermute_b32 v1, v10, v2
	ds_bpermute_b32 v12, v10, v3
	;; [unrolled: 1-line block ×8, first 2 shown]
	s_waitcnt lgkmcnt(6)
	v_dual_add_f32 v0, v2, v1 :: v_dual_add_f32 v1, v3, v12
	s_waitcnt lgkmcnt(4)
	v_dual_add_f32 v2, v4, v13 :: v_dual_add_f32 v3, v5, v14
	;; [unrolled: 2-line block ×4, first 2 shown]
	ds_bpermute_b32 v9, v18, v0
	ds_bpermute_b32 v10, v18, v1
	;; [unrolled: 1-line block ×8, first 2 shown]
	s_and_b32 exec_lo, exec_lo, vcc_lo
	s_cbranch_execz .LBB126_13
; %bb.44:
	s_load_b64 s[2:3], s[0:1], 0x50
	s_waitcnt lgkmcnt(0)
	v_dual_add_f32 v9, v0, v9 :: v_dual_add_f32 v0, v1, v10
	v_dual_add_f32 v10, v2, v11 :: v_dual_add_f32 v1, v3, v12
	;; [unrolled: 1-line block ×4, first 2 shown]
	s_delay_alu instid0(VALU_DEP_4)
	v_mul_f32_e64 v4, v0, -v22
	v_dual_mul_f32 v5, v0, v21 :: v_dual_lshlrev_b32 v8, 2, v8
	v_mul_f32_e64 v6, v1, -v22
	v_mul_f32_e32 v7, v1, v21
	v_mul_f32_e64 v0, v2, -v22
	v_mul_f32_e32 v1, v2, v21
	v_mul_f32_e64 v2, v3, -v22
	v_dual_fmac_f32 v6, v21, v10 :: v_dual_mul_f32 v3, v3, v21
	s_delay_alu instid0(VALU_DEP_4)
	v_fmac_f32_e32 v0, v21, v11
	v_cmp_eq_f32_e32 vcc_lo, 0, v19
	v_cmp_eq_f32_e64 s0, 0, v20
	v_dual_fmac_f32 v4, v21, v9 :: v_dual_fmac_f32 v7, v22, v10
	v_dual_fmac_f32 v5, v22, v9 :: v_dual_fmac_f32 v2, v21, v12
	v_fmac_f32_e32 v1, v22, v11
	v_fmac_f32_e32 v3, v22, v12
	s_and_b32 s0, vcc_lo, s0
	s_delay_alu instid0(SALU_CYCLE_1) | instskip(NEXT) | instid1(SALU_CYCLE_1)
	s_and_saveexec_b32 s1, s0
	s_xor_b32 s0, exec_lo, s1
; %bb.45:
	v_ashrrev_i32_e32 v9, 31, v8
                                        ; implicit-def: $vgpr19
                                        ; implicit-def: $vgpr20
	s_delay_alu instid0(VALU_DEP_1) | instskip(NEXT) | instid1(VALU_DEP_1)
	v_lshlrev_b64 v[8:9], 3, v[8:9]
	v_add_co_u32 v8, vcc_lo, s2, v8
	s_delay_alu instid0(VALU_DEP_2)
	v_add_co_ci_u32_e32 v9, vcc_lo, s3, v9, vcc_lo
	s_clause 0x1
	global_store_b128 v[8:9], v[4:7], off
	global_store_b128 v[8:9], v[0:3], off offset:16
                                        ; implicit-def: $vgpr4
                                        ; implicit-def: $vgpr8
                                        ; implicit-def: $vgpr0
; %bb.46:
	s_and_not1_saveexec_b32 s0, s0
	s_cbranch_execz .LBB126_13
; %bb.47:
	v_ashrrev_i32_e32 v9, 31, v8
	s_delay_alu instid0(VALU_DEP_1) | instskip(NEXT) | instid1(VALU_DEP_1)
	v_lshlrev_b64 v[8:9], 3, v[8:9]
	v_add_co_u32 v16, vcc_lo, s2, v8
	s_delay_alu instid0(VALU_DEP_2)
	v_add_co_ci_u32_e32 v17, vcc_lo, s3, v9, vcc_lo
	s_clause 0x1
	global_load_b128 v[8:11], v[16:17], off
	global_load_b128 v[12:15], v[16:17], off offset:16
	s_waitcnt vmcnt(1)
	v_dual_fmac_f32 v4, v19, v8 :: v_dual_fmac_f32 v7, v20, v10
	v_dual_fmac_f32 v5, v20, v8 :: v_dual_fmac_f32 v6, v19, v10
	s_waitcnt vmcnt(0)
	v_dual_fmac_f32 v0, v19, v12 :: v_dual_fmac_f32 v3, v20, v14
	v_dual_fmac_f32 v1, v20, v12 :: v_dual_fmac_f32 v2, v19, v14
	v_fma_f32 v4, -v20, v9, v4
	v_fmac_f32_e32 v5, v19, v9
	v_fma_f32 v6, -v20, v11, v6
	v_fmac_f32_e32 v7, v19, v11
	;; [unrolled: 2-line block ×4, first 2 shown]
	s_clause 0x1
	global_store_b128 v[16:17], v[4:7], off
	global_store_b128 v[16:17], v[0:3], off offset:16
	s_nop 0
	s_sendmsg sendmsg(MSG_DEALLOC_VGPRS)
	s_endpgm
	.section	.rodata,"a",@progbits
	.p2align	6, 0x0
	.amdhsa_kernel _ZN9rocsparseL18bsrxmvn_4x4_kernelILj128ELj8E21rocsparse_complex_numIfElifS2_S2_EEvT3_20rocsparse_direction_NS_24const_host_device_scalarIT1_EES3_PKS3_PKT2_SC_S9_PKT4_PKT5_S7_PT6_21rocsparse_index_base_b
		.amdhsa_group_segment_fixed_size 0
		.amdhsa_private_segment_fixed_size 0
		.amdhsa_kernarg_size 96
		.amdhsa_user_sgpr_count 15
		.amdhsa_user_sgpr_dispatch_ptr 0
		.amdhsa_user_sgpr_queue_ptr 0
		.amdhsa_user_sgpr_kernarg_segment_ptr 1
		.amdhsa_user_sgpr_dispatch_id 0
		.amdhsa_user_sgpr_private_segment_size 0
		.amdhsa_wavefront_size32 1
		.amdhsa_uses_dynamic_stack 0
		.amdhsa_enable_private_segment 0
		.amdhsa_system_sgpr_workgroup_id_x 1
		.amdhsa_system_sgpr_workgroup_id_y 0
		.amdhsa_system_sgpr_workgroup_id_z 0
		.amdhsa_system_sgpr_workgroup_info 0
		.amdhsa_system_vgpr_workitem_id 0
		.amdhsa_next_free_vgpr 124
		.amdhsa_next_free_sgpr 16
		.amdhsa_reserve_vcc 1
		.amdhsa_float_round_mode_32 0
		.amdhsa_float_round_mode_16_64 0
		.amdhsa_float_denorm_mode_32 3
		.amdhsa_float_denorm_mode_16_64 3
		.amdhsa_dx10_clamp 1
		.amdhsa_ieee_mode 1
		.amdhsa_fp16_overflow 0
		.amdhsa_workgroup_processor_mode 1
		.amdhsa_memory_ordered 1
		.amdhsa_forward_progress 0
		.amdhsa_shared_vgpr_count 0
		.amdhsa_exception_fp_ieee_invalid_op 0
		.amdhsa_exception_fp_denorm_src 0
		.amdhsa_exception_fp_ieee_div_zero 0
		.amdhsa_exception_fp_ieee_overflow 0
		.amdhsa_exception_fp_ieee_underflow 0
		.amdhsa_exception_fp_ieee_inexact 0
		.amdhsa_exception_int_div_zero 0
	.end_amdhsa_kernel
	.section	.text._ZN9rocsparseL18bsrxmvn_4x4_kernelILj128ELj8E21rocsparse_complex_numIfElifS2_S2_EEvT3_20rocsparse_direction_NS_24const_host_device_scalarIT1_EES3_PKS3_PKT2_SC_S9_PKT4_PKT5_S7_PT6_21rocsparse_index_base_b,"axG",@progbits,_ZN9rocsparseL18bsrxmvn_4x4_kernelILj128ELj8E21rocsparse_complex_numIfElifS2_S2_EEvT3_20rocsparse_direction_NS_24const_host_device_scalarIT1_EES3_PKS3_PKT2_SC_S9_PKT4_PKT5_S7_PT6_21rocsparse_index_base_b,comdat
.Lfunc_end126:
	.size	_ZN9rocsparseL18bsrxmvn_4x4_kernelILj128ELj8E21rocsparse_complex_numIfElifS2_S2_EEvT3_20rocsparse_direction_NS_24const_host_device_scalarIT1_EES3_PKS3_PKT2_SC_S9_PKT4_PKT5_S7_PT6_21rocsparse_index_base_b, .Lfunc_end126-_ZN9rocsparseL18bsrxmvn_4x4_kernelILj128ELj8E21rocsparse_complex_numIfElifS2_S2_EEvT3_20rocsparse_direction_NS_24const_host_device_scalarIT1_EES3_PKS3_PKT2_SC_S9_PKT4_PKT5_S7_PT6_21rocsparse_index_base_b
                                        ; -- End function
	.section	.AMDGPU.csdata,"",@progbits
; Kernel info:
; codeLenInByte = 7332
; NumSgprs: 18
; NumVgprs: 124
; ScratchSize: 0
; MemoryBound: 0
; FloatMode: 240
; IeeeMode: 1
; LDSByteSize: 0 bytes/workgroup (compile time only)
; SGPRBlocks: 2
; VGPRBlocks: 15
; NumSGPRsForWavesPerEU: 18
; NumVGPRsForWavesPerEU: 124
; Occupancy: 10
; WaveLimiterHint : 1
; COMPUTE_PGM_RSRC2:SCRATCH_EN: 0
; COMPUTE_PGM_RSRC2:USER_SGPR: 15
; COMPUTE_PGM_RSRC2:TRAP_HANDLER: 0
; COMPUTE_PGM_RSRC2:TGID_X_EN: 1
; COMPUTE_PGM_RSRC2:TGID_Y_EN: 0
; COMPUTE_PGM_RSRC2:TGID_Z_EN: 0
; COMPUTE_PGM_RSRC2:TIDIG_COMP_CNT: 0
	.section	.text._ZN9rocsparseL18bsrxmvn_4x4_kernelILj128ELj16E21rocsparse_complex_numIfElifS2_S2_EEvT3_20rocsparse_direction_NS_24const_host_device_scalarIT1_EES3_PKS3_PKT2_SC_S9_PKT4_PKT5_S7_PT6_21rocsparse_index_base_b,"axG",@progbits,_ZN9rocsparseL18bsrxmvn_4x4_kernelILj128ELj16E21rocsparse_complex_numIfElifS2_S2_EEvT3_20rocsparse_direction_NS_24const_host_device_scalarIT1_EES3_PKS3_PKT2_SC_S9_PKT4_PKT5_S7_PT6_21rocsparse_index_base_b,comdat
	.globl	_ZN9rocsparseL18bsrxmvn_4x4_kernelILj128ELj16E21rocsparse_complex_numIfElifS2_S2_EEvT3_20rocsparse_direction_NS_24const_host_device_scalarIT1_EES3_PKS3_PKT2_SC_S9_PKT4_PKT5_S7_PT6_21rocsparse_index_base_b ; -- Begin function _ZN9rocsparseL18bsrxmvn_4x4_kernelILj128ELj16E21rocsparse_complex_numIfElifS2_S2_EEvT3_20rocsparse_direction_NS_24const_host_device_scalarIT1_EES3_PKS3_PKT2_SC_S9_PKT4_PKT5_S7_PT6_21rocsparse_index_base_b
	.p2align	8
	.type	_ZN9rocsparseL18bsrxmvn_4x4_kernelILj128ELj16E21rocsparse_complex_numIfElifS2_S2_EEvT3_20rocsparse_direction_NS_24const_host_device_scalarIT1_EES3_PKS3_PKT2_SC_S9_PKT4_PKT5_S7_PT6_21rocsparse_index_base_b,@function
_ZN9rocsparseL18bsrxmvn_4x4_kernelILj128ELj16E21rocsparse_complex_numIfElifS2_S2_EEvT3_20rocsparse_direction_NS_24const_host_device_scalarIT1_EES3_PKS3_PKT2_SC_S9_PKT4_PKT5_S7_PT6_21rocsparse_index_base_b: ; @_ZN9rocsparseL18bsrxmvn_4x4_kernelILj128ELj16E21rocsparse_complex_numIfElifS2_S2_EEvT3_20rocsparse_direction_NS_24const_host_device_scalarIT1_EES3_PKS3_PKT2_SC_S9_PKT4_PKT5_S7_PT6_21rocsparse_index_base_b
; %bb.0:
	s_clause 0x2
	s_load_b64 s[12:13], s[0:1], 0x58
	s_load_b64 s[4:5], s[0:1], 0x8
	s_load_b64 s[2:3], s[0:1], 0x48
	s_waitcnt lgkmcnt(0)
	s_bitcmp1_b32 s13, 0
	v_mov_b32_e32 v21, s4
	s_cselect_b32 s6, -1, 0
	s_delay_alu instid0(SALU_CYCLE_1)
	s_and_b32 vcc_lo, exec_lo, s6
	s_xor_b32 s6, s6, -1
	s_cbranch_vccz .LBB127_14
; %bb.1:
	v_cndmask_b32_e64 v1, 0, 1, s6
	v_mov_b32_e32 v22, s5
	s_and_not1_b32 vcc_lo, exec_lo, s6
	s_cbranch_vccz .LBB127_15
.LBB127_2:
	s_delay_alu instid0(VALU_DEP_2)
	v_cmp_ne_u32_e32 vcc_lo, 1, v1
	v_mov_b32_e32 v19, s2
	s_cbranch_vccz .LBB127_16
.LBB127_3:
	v_cmp_ne_u32_e32 vcc_lo, 1, v1
	v_mov_b32_e32 v20, s3
	s_cbranch_vccnz .LBB127_5
.LBB127_4:
	v_dual_mov_b32 v1, s2 :: v_dual_mov_b32 v2, s3
	flat_load_b32 v20, v[1:2] offset:4
.LBB127_5:
	s_waitcnt vmcnt(0) lgkmcnt(0)
	v_cmp_eq_f32_e32 vcc_lo, 0, v21
	v_cmp_eq_f32_e64 s2, 0, v22
	s_delay_alu instid0(VALU_DEP_1)
	s_and_b32 s4, vcc_lo, s2
	s_mov_b32 s2, -1
	s_and_saveexec_b32 s3, s4
; %bb.6:
	v_cmp_neq_f32_e32 vcc_lo, 1.0, v19
	v_cmp_neq_f32_e64 s2, 0, v20
	s_delay_alu instid0(VALU_DEP_1) | instskip(NEXT) | instid1(SALU_CYCLE_1)
	s_or_b32 s2, vcc_lo, s2
	s_or_not1_b32 s2, s2, exec_lo
; %bb.7:
	s_or_b32 exec_lo, exec_lo, s3
	s_and_saveexec_b32 s3, s2
	s_cbranch_execz .LBB127_13
; %bb.8:
	s_clause 0x1
	s_load_b64 s[4:5], s[0:1], 0x18
	s_load_b64 s[2:3], s[0:1], 0x0
	v_lshrrev_b32_e32 v1, 4, v0
	s_delay_alu instid0(VALU_DEP_1)
	v_lshl_or_b32 v8, s15, 3, v1
	s_waitcnt lgkmcnt(0)
	s_cmp_lg_u64 s[4:5], 0
	s_cbranch_scc0 .LBB127_17
; %bb.9:
	s_load_b32 s6, s[0:1], 0x10
	s_mov_b32 s7, 0
                                        ; implicit-def: $vgpr1
	s_waitcnt lgkmcnt(0)
	v_cmp_gt_i32_e32 vcc_lo, s6, v8
	s_mov_b32 s6, 0
	s_and_saveexec_b32 s8, vcc_lo
	s_delay_alu instid0(SALU_CYCLE_1)
	s_xor_b32 s8, exec_lo, s8
	s_cbranch_execz .LBB127_11
; %bb.10:
	v_ashrrev_i32_e32 v9, 31, v8
	s_mov_b32 s6, exec_lo
	s_delay_alu instid0(VALU_DEP_1) | instskip(NEXT) | instid1(VALU_DEP_1)
	v_lshlrev_b64 v[1:2], 2, v[8:9]
	v_add_co_u32 v1, vcc_lo, s4, v1
	s_delay_alu instid0(VALU_DEP_2)
	v_add_co_ci_u32_e32 v2, vcc_lo, s5, v2, vcc_lo
	global_load_b32 v1, v[1:2], off
	s_waitcnt vmcnt(0)
	v_subrev_nc_u32_e32 v1, s12, v1
.LBB127_11:
	s_or_b32 exec_lo, exec_lo, s8
	s_delay_alu instid0(SALU_CYCLE_1)
	s_and_b32 vcc_lo, exec_lo, s7
	s_cbranch_vccz .LBB127_18
.LBB127_12:
	v_cmp_gt_i32_e32 vcc_lo, s2, v8
	s_and_not1_b32 s2, s6, exec_lo
	s_and_b32 s4, vcc_lo, exec_lo
	s_delay_alu instid0(SALU_CYCLE_1) | instskip(NEXT) | instid1(SALU_CYCLE_1)
	s_or_b32 s6, s2, s4
	s_and_b32 exec_lo, exec_lo, s6
	s_cbranch_execnz .LBB127_19
.LBB127_13:
	s_nop 0
	s_sendmsg sendmsg(MSG_DEALLOC_VGPRS)
	s_endpgm
.LBB127_14:
	v_dual_mov_b32 v1, s4 :: v_dual_mov_b32 v2, s5
	flat_load_b32 v21, v[1:2]
	v_cndmask_b32_e64 v1, 0, 1, s6
	v_mov_b32_e32 v22, s5
	s_and_not1_b32 vcc_lo, exec_lo, s6
	s_cbranch_vccnz .LBB127_2
.LBB127_15:
	v_dual_mov_b32 v2, s4 :: v_dual_mov_b32 v3, s5
	flat_load_b32 v22, v[2:3] offset:4
	v_cmp_ne_u32_e32 vcc_lo, 1, v1
	v_mov_b32_e32 v19, s2
	s_cbranch_vccnz .LBB127_3
.LBB127_16:
	v_dual_mov_b32 v2, s2 :: v_dual_mov_b32 v3, s3
	flat_load_b32 v19, v[2:3]
	v_cmp_ne_u32_e32 vcc_lo, 1, v1
	v_mov_b32_e32 v20, s3
	s_cbranch_vccz .LBB127_4
	s_branch .LBB127_5
.LBB127_17:
	s_mov_b32 s6, 0
                                        ; implicit-def: $vgpr1
	s_cbranch_execnz .LBB127_12
.LBB127_18:
	s_delay_alu instid0(VALU_DEP_1)
	v_mov_b32_e32 v8, v1
	s_and_b32 exec_lo, exec_lo, s6
	s_cbranch_execz .LBB127_13
.LBB127_19:
	s_load_b256 s[4:11], s[0:1], 0x20
	s_delay_alu instid0(VALU_DEP_1) | instskip(SKIP_1) | instid1(VALU_DEP_2)
	v_ashrrev_i32_e32 v9, 31, v8
	v_dual_mov_b32 v24, 0 :: v_dual_and_b32 v23, 15, v0
	v_lshlrev_b64 v[1:2], 3, v[8:9]
	s_waitcnt lgkmcnt(0)
	s_delay_alu instid0(VALU_DEP_1) | instskip(NEXT) | instid1(VALU_DEP_2)
	v_add_co_u32 v3, vcc_lo, s4, v1
	v_add_co_ci_u32_e32 v4, vcc_lo, s5, v2, vcc_lo
	v_add_co_u32 v1, vcc_lo, s6, v1
	v_add_co_ci_u32_e32 v2, vcc_lo, s7, v2, vcc_lo
	s_delay_alu instid0(VALU_DEP_4)
	v_add_co_u32 v5, vcc_lo, v3, 8
	global_load_b64 v[6:7], v[3:4], off
	v_add_co_ci_u32_e32 v9, vcc_lo, 0, v4, vcc_lo
	s_cmp_eq_u64 s[6:7], 0
	s_load_b64 s[4:5], s[0:1], 0x40
	s_cselect_b32 vcc_lo, -1, 0
	s_cmp_eq_u32 s3, 1
	v_cndmask_b32_e32 v2, v2, v9, vcc_lo
	v_cndmask_b32_e32 v1, v1, v5, vcc_lo
	s_mov_b32 s3, 0
	global_load_b64 v[2:3], v[1:2], off
	s_waitcnt vmcnt(1)
	v_sub_co_u32 v0, vcc_lo, v6, s12
	v_subrev_co_ci_u32_e32 v1, vcc_lo, 0, v7, vcc_lo
	s_delay_alu instid0(VALU_DEP_2) | instskip(NEXT) | instid1(VALU_DEP_2)
	v_add_co_u32 v0, vcc_lo, v0, v23
	v_add_co_ci_u32_e32 v1, vcc_lo, 0, v1, vcc_lo
	s_delay_alu instid0(VALU_DEP_1) | instskip(SKIP_3) | instid1(VALU_DEP_3)
	v_lshlrev_b64 v[4:5], 6, v[0:1]
	s_waitcnt vmcnt(0)
	v_sub_co_u32 v2, vcc_lo, v2, s12
	v_subrev_co_ci_u32_e32 v3, vcc_lo, 0, v3, vcc_lo
	v_add_co_u32 v4, vcc_lo, s10, v4
	s_delay_alu instid0(VALU_DEP_2)
	v_cmp_lt_i64_e64 s2, v[0:1], v[2:3]
	v_add_co_ci_u32_e32 v5, vcc_lo, s11, v5, vcc_lo
	s_cbranch_scc1 .LBB127_31
; %bb.20:
	v_dual_mov_b32 v26, 0 :: v_dual_mov_b32 v27, 0
	v_dual_mov_b32 v28, 0 :: v_dual_mov_b32 v29, 0
	;; [unrolled: 1-line block ×3, first 2 shown]
	v_mov_b32_e32 v25, 0
	s_and_saveexec_b32 s6, s2
	s_cbranch_execz .LBB127_30
; %bb.21:
	v_or_b32_e32 v9, 16, v23
	v_not_b32_e32 v12, v6
	v_not_b32_e32 v11, v7
	v_mov_b32_e32 v27, 0
	v_dual_mov_b32 v25, 0 :: v_dual_mov_b32 v30, 0
	v_sub_co_u32 v9, s7, v9, s12
	s_delay_alu instid0(VALU_DEP_1) | instskip(SKIP_1) | instid1(VALU_DEP_3)
	v_sub_co_ci_u32_e64 v10, null, 0, 0, s7
	v_sub_co_u32 v13, s7, s12, v23
	v_add_co_u32 v9, vcc_lo, v9, v6
	s_delay_alu instid0(VALU_DEP_3) | instskip(SKIP_2) | instid1(VALU_DEP_3)
	v_add_co_ci_u32_e32 v10, vcc_lo, v10, v7, vcc_lo
	v_sub_co_ci_u32_e64 v14, null, 0, 0, s7
	v_dual_mov_b32 v31, 0 :: v_dual_mov_b32 v26, 0
	v_cmp_gt_i64_e32 vcc_lo, v[9:10], v[2:3]
	v_dual_mov_b32 v29, 0 :: v_dual_mov_b32 v24, 0
	s_mov_b32 s10, 0
	s_mov_b32 s7, exec_lo
	v_mov_b32_e32 v28, 0
	v_dual_cndmask_b32 v10, v3, v10 :: v_dual_cndmask_b32 v9, v2, v9
	v_add_co_u32 v12, vcc_lo, v13, v12
	v_add_co_ci_u32_e32 v11, vcc_lo, v14, v11, vcc_lo
	s_delay_alu instid0(VALU_DEP_2) | instskip(NEXT) | instid1(VALU_DEP_2)
	v_add_co_u32 v13, vcc_lo, v12, v9
	v_add_co_ci_u32_e32 v14, vcc_lo, v11, v10, vcc_lo
	v_mov_b32_e32 v12, v1
	s_delay_alu instid0(VALU_DEP_3) | instskip(SKIP_1) | instid1(VALU_DEP_2)
	v_lshrrev_b32_e32 v9, 4, v13
	v_mov_b32_e32 v11, v0
	v_add_nc_u32_e32 v9, 1, v9
	s_delay_alu instid0(VALU_DEP_1) | instskip(SKIP_1) | instid1(VALU_DEP_2)
	v_dual_mov_b32 v10, v5 :: v_dual_and_b32 v15, 3, v9
	v_mov_b32_e32 v9, v4
	v_cmpx_ne_u32_e32 0, v15
	s_cbranch_execz .LBB127_25
; %bb.22:
	v_lshlrev_b64 v[9:10], 2, v[0:1]
	v_dual_mov_b32 v16, 0 :: v_dual_lshlrev_b32 v15, 2, v15
	v_dual_mov_b32 v12, v1 :: v_dual_mov_b32 v11, v0
	s_delay_alu instid0(VALU_DEP_2) | instskip(NEXT) | instid1(VALU_DEP_4)
	v_mov_b32_e32 v24, v16
	v_add_co_u32 v17, vcc_lo, s8, v9
	v_add_co_ci_u32_e32 v18, vcc_lo, s9, v10, vcc_lo
	v_dual_mov_b32 v10, v5 :: v_dual_mov_b32 v9, v4
	v_mov_b32_e32 v26, v16
	v_mov_b32_e32 v27, v16
	;; [unrolled: 1-line block ×7, first 2 shown]
.LBB127_23:                             ; =>This Inner Loop Header: Depth=1
	global_load_b32 v48, v[17:18], off
	s_clause 0x3
	global_load_b128 v[32:35], v[9:10], off offset:48
	global_load_b128 v[36:39], v[9:10], off offset:32
	;; [unrolled: 1-line block ×3, first 2 shown]
	global_load_b128 v[44:47], v[9:10], off
	s_waitcnt vmcnt(4)
	v_subrev_nc_u32_e32 v48, s12, v48
	s_delay_alu instid0(VALU_DEP_1) | instskip(NEXT) | instid1(VALU_DEP_1)
	v_lshlrev_b32_e32 v48, 2, v48
	v_ashrrev_i32_e32 v49, 31, v48
	s_delay_alu instid0(VALU_DEP_1) | instskip(SKIP_1) | instid1(VALU_DEP_1)
	v_lshlrev_b64 v[48:49], 3, v[48:49]
	s_waitcnt lgkmcnt(0)
	v_add_co_u32 v52, vcc_lo, s4, v48
	s_delay_alu instid0(VALU_DEP_2)
	v_add_co_ci_u32_e32 v53, vcc_lo, s5, v49, vcc_lo
	v_add_co_u32 v9, vcc_lo, 0x400, v9
	v_add_co_ci_u32_e32 v10, vcc_lo, 0, v10, vcc_lo
	s_clause 0x1
	global_load_b128 v[48:51], v[52:53], off
	global_load_b128 v[52:55], v[52:53], off offset:16
	v_add_co_u32 v11, vcc_lo, v11, 16
	v_add_co_ci_u32_e32 v12, vcc_lo, 0, v12, vcc_lo
	v_add_co_u32 v15, vcc_lo, v15, -4
	v_add_co_ci_u32_e32 v16, vcc_lo, -1, v16, vcc_lo
	v_add_co_u32 v17, vcc_lo, v17, 64
	v_add_co_ci_u32_e32 v18, vcc_lo, 0, v18, vcc_lo
	s_delay_alu instid0(VALU_DEP_3)
	v_cmp_eq_u64_e32 vcc_lo, 0, v[15:16]
	s_or_b32 s10, vcc_lo, s10
	s_waitcnt vmcnt(1)
	v_fmac_f32_e32 v29, 0, v48
	v_fmac_f32_e32 v25, v32, v48
	;; [unrolled: 1-line block ×3, first 2 shown]
	s_delay_alu instid0(VALU_DEP_3) | instskip(NEXT) | instid1(VALU_DEP_3)
	v_dual_fmac_f32 v24, 0, v48 :: v_dual_fmac_f32 v29, v36, v49
	v_fmac_f32_e32 v25, 0x80000000, v49
	s_delay_alu instid0(VALU_DEP_3) | instskip(NEXT) | instid1(VALU_DEP_3)
	v_dual_fmac_f32 v27, 0, v48 :: v_dual_fmac_f32 v26, 0x80000000, v49
	v_dual_fmac_f32 v30, v36, v48 :: v_dual_fmac_f32 v29, 0, v50
	v_fmac_f32_e32 v31, 0, v48
	s_delay_alu instid0(VALU_DEP_3) | instskip(SKIP_4) | instid1(VALU_DEP_4)
	v_fmac_f32_e32 v27, v40, v49
	v_fmac_f32_e32 v28, v40, v48
	;; [unrolled: 1-line block ×4, first 2 shown]
	v_dual_fmac_f32 v31, v32, v49 :: v_dual_fmac_f32 v26, v45, v50
	v_dual_fmac_f32 v27, 0, v50 :: v_dual_fmac_f32 v28, 0x80000000, v49
	s_delay_alu instid0(VALU_DEP_4) | instskip(NEXT) | instid1(VALU_DEP_3)
	v_fmac_f32_e32 v24, 0, v50
	v_dual_fmac_f32 v25, v33, v50 :: v_dual_fmac_f32 v26, 0x80000000, v51
	s_delay_alu instid0(VALU_DEP_3) | instskip(NEXT) | instid1(VALU_DEP_4)
	v_fmac_f32_e32 v27, v41, v51
	v_fmac_f32_e32 v28, v41, v50
	s_delay_alu instid0(VALU_DEP_4) | instskip(SKIP_1) | instid1(VALU_DEP_3)
	v_dual_fmac_f32 v31, 0, v50 :: v_dual_fmac_f32 v24, v45, v51
	s_waitcnt vmcnt(0)
	v_dual_fmac_f32 v30, v37, v50 :: v_dual_fmac_f32 v27, 0, v52
	v_dual_fmac_f32 v29, v37, v51 :: v_dual_fmac_f32 v26, v46, v52
	v_fmac_f32_e32 v25, 0x80000000, v51
	v_fmac_f32_e32 v28, 0x80000000, v51
	v_dual_fmac_f32 v31, v33, v51 :: v_dual_fmac_f32 v24, 0, v52
	s_delay_alu instid0(VALU_DEP_3) | instskip(SKIP_1) | instid1(VALU_DEP_4)
	v_dual_fmac_f32 v30, 0x80000000, v51 :: v_dual_fmac_f32 v25, v34, v52
	v_fmac_f32_e32 v29, 0, v52
	v_fmac_f32_e32 v28, v42, v52
	s_delay_alu instid0(VALU_DEP_4) | instskip(SKIP_2) | instid1(VALU_DEP_4)
	v_dual_fmac_f32 v31, 0, v52 :: v_dual_fmac_f32 v26, 0x80000000, v53
	v_fmac_f32_e32 v27, v42, v53
	v_fmac_f32_e32 v25, 0x80000000, v53
	v_fmac_f32_e32 v28, 0x80000000, v53
	s_delay_alu instid0(VALU_DEP_4) | instskip(NEXT) | instid1(VALU_DEP_4)
	v_dual_fmac_f32 v29, v38, v53 :: v_dual_fmac_f32 v26, v47, v54
	v_dual_fmac_f32 v30, v38, v52 :: v_dual_fmac_f32 v27, 0, v54
	s_delay_alu instid0(VALU_DEP_2) | instskip(SKIP_2) | instid1(VALU_DEP_4)
	v_dual_fmac_f32 v24, v46, v53 :: v_dual_fmac_f32 v29, 0, v54
	v_fmac_f32_e32 v25, v35, v54
	v_dual_fmac_f32 v31, v34, v53 :: v_dual_fmac_f32 v28, v43, v54
	v_fmac_f32_e32 v30, 0x80000000, v53
	s_delay_alu instid0(VALU_DEP_4) | instskip(NEXT) | instid1(VALU_DEP_3)
	v_fmac_f32_e32 v24, 0, v54
	v_dual_fmac_f32 v26, 0x80000000, v55 :: v_dual_fmac_f32 v31, 0, v54
	s_delay_alu instid0(VALU_DEP_4) | instskip(NEXT) | instid1(VALU_DEP_4)
	v_fmac_f32_e32 v28, 0x80000000, v55
	v_dual_fmac_f32 v30, v39, v54 :: v_dual_fmac_f32 v25, 0x80000000, v55
	s_delay_alu instid0(VALU_DEP_4) | instskip(SKIP_2) | instid1(VALU_DEP_4)
	v_fmac_f32_e32 v24, v47, v55
	v_fmac_f32_e32 v27, v43, v55
	;; [unrolled: 1-line block ×5, first 2 shown]
	s_and_not1_b32 exec_lo, exec_lo, s10
	s_cbranch_execnz .LBB127_23
; %bb.24:
	s_or_b32 exec_lo, exec_lo, s10
.LBB127_25:
	s_delay_alu instid0(SALU_CYCLE_1) | instskip(NEXT) | instid1(SALU_CYCLE_1)
	s_or_b32 exec_lo, exec_lo, s7
	s_mov_b32 s7, exec_lo
	v_cmpx_lt_u64_e32 47, v[13:14]
	s_cbranch_execz .LBB127_29
; %bb.26:
	v_lshlrev_b64 v[13:14], 2, v[11:12]
	s_mov_b32 s10, 0
	s_delay_alu instid0(VALU_DEP_1) | instskip(NEXT) | instid1(VALU_DEP_2)
	v_add_co_u32 v13, vcc_lo, v13, s8
	v_add_co_ci_u32_e32 v14, vcc_lo, s9, v14, vcc_lo
	s_delay_alu instid0(VALU_DEP_2) | instskip(NEXT) | instid1(VALU_DEP_2)
	v_add_co_u32 v13, vcc_lo, 0x80, v13
	v_add_co_ci_u32_e32 v14, vcc_lo, 0, v14, vcc_lo
.LBB127_27:                             ; =>This Inner Loop Header: Depth=1
	s_clause 0x3
	global_load_b32 v92, v[13:14], off offset:-128
	global_load_b32 v93, v[13:14], off offset:-64
	global_load_b32 v94, v[13:14], off
	global_load_b32 v95, v[13:14], off offset:64
	s_clause 0xf
	global_load_b128 v[15:18], v[9:10], off offset:48
	global_load_b128 v[32:35], v[9:10], off offset:32
	;; [unrolled: 1-line block ×3, first 2 shown]
	global_load_b128 v[40:43], v[9:10], off
	global_load_b128 v[44:47], v[9:10], off offset:1072
	global_load_b128 v[48:51], v[9:10], off offset:1056
	;; [unrolled: 1-line block ×12, first 2 shown]
	s_waitcnt vmcnt(19)
	v_subrev_nc_u32_e32 v92, s12, v92
	s_waitcnt vmcnt(18)
	v_subrev_nc_u32_e32 v93, s12, v93
	;; [unrolled: 2-line block ×4, first 2 shown]
	v_lshlrev_b32_e32 v92, 2, v92
	v_lshlrev_b32_e32 v94, 2, v93
	;; [unrolled: 1-line block ×3, first 2 shown]
	s_delay_alu instid0(VALU_DEP_4) | instskip(NEXT) | instid1(VALU_DEP_4)
	v_lshlrev_b32_e32 v98, 2, v95
	v_ashrrev_i32_e32 v93, 31, v92
	s_delay_alu instid0(VALU_DEP_4) | instskip(NEXT) | instid1(VALU_DEP_4)
	v_ashrrev_i32_e32 v95, 31, v94
	v_ashrrev_i32_e32 v97, 31, v96
	s_delay_alu instid0(VALU_DEP_4) | instskip(NEXT) | instid1(VALU_DEP_4)
	v_ashrrev_i32_e32 v99, 31, v98
	v_lshlrev_b64 v[92:93], 3, v[92:93]
	s_delay_alu instid0(VALU_DEP_4) | instskip(NEXT) | instid1(VALU_DEP_4)
	v_lshlrev_b64 v[94:95], 3, v[94:95]
	v_lshlrev_b64 v[96:97], 3, v[96:97]
	s_delay_alu instid0(VALU_DEP_4) | instskip(SKIP_1) | instid1(VALU_DEP_4)
	v_lshlrev_b64 v[98:99], 3, v[98:99]
	s_waitcnt lgkmcnt(0)
	v_add_co_u32 v100, vcc_lo, s4, v92
	v_add_co_ci_u32_e32 v101, vcc_lo, s5, v93, vcc_lo
	v_add_co_u32 v104, vcc_lo, s4, v94
	v_add_co_ci_u32_e32 v105, vcc_lo, s5, v95, vcc_lo
	;; [unrolled: 2-line block ×4, first 2 shown]
	s_clause 0x7
	global_load_b128 v[92:95], v[100:101], off
	global_load_b128 v[96:99], v[100:101], off offset:16
	global_load_b128 v[100:103], v[104:105], off
	global_load_b128 v[104:107], v[104:105], off offset:16
	;; [unrolled: 2-line block ×4, first 2 shown]
	v_add_co_u32 v11, vcc_lo, v11, 64
	v_add_co_ci_u32_e32 v12, vcc_lo, 0, v12, vcc_lo
	v_add_co_u32 v9, vcc_lo, 0x1000, v9
	v_add_co_ci_u32_e32 v10, vcc_lo, 0, v10, vcc_lo
	;; [unrolled: 2-line block ×3, first 2 shown]
	v_cmp_ge_i64_e32 vcc_lo, v[11:12], v[2:3]
	s_or_b32 s10, vcc_lo, s10
	s_waitcnt vmcnt(7)
	v_fmac_f32_e32 v29, 0, v92
	v_fmac_f32_e32 v27, 0, v92
	;; [unrolled: 1-line block ×5, first 2 shown]
	s_delay_alu instid0(VALU_DEP_4)
	v_dual_fmac_f32 v24, 0, v92 :: v_dual_fmac_f32 v27, v36, v93
	v_fmac_f32_e32 v28, v36, v92
	v_fmac_f32_e32 v29, v32, v93
	v_dual_fmac_f32 v30, v32, v92 :: v_dual_fmac_f32 v25, 0x80000000, v93
	v_fmac_f32_e32 v26, 0x80000000, v93
	v_fmac_f32_e32 v31, v15, v93
	s_delay_alu instid0(VALU_DEP_4) | instskip(NEXT) | instid1(VALU_DEP_4)
	v_dual_fmac_f32 v29, 0, v94 :: v_dual_fmac_f32 v24, v40, v93
	v_dual_fmac_f32 v30, 0x80000000, v93 :: v_dual_fmac_f32 v27, 0, v94
	s_delay_alu instid0(VALU_DEP_3) | instskip(SKIP_2) | instid1(VALU_DEP_4)
	v_dual_fmac_f32 v31, 0, v94 :: v_dual_fmac_f32 v28, 0x80000000, v93
	v_fmac_f32_e32 v25, v16, v94
	v_fmac_f32_e32 v26, v41, v94
	v_dual_fmac_f32 v24, 0, v94 :: v_dual_fmac_f32 v27, v37, v95
	s_delay_alu instid0(VALU_DEP_4)
	v_dual_fmac_f32 v28, v37, v94 :: v_dual_fmac_f32 v31, v16, v95
	v_fmac_f32_e32 v30, v33, v94
	v_fmac_f32_e32 v29, v33, v95
	;; [unrolled: 1-line block ×4, first 2 shown]
	s_waitcnt vmcnt(6)
	v_dual_fmac_f32 v24, v41, v95 :: v_dual_fmac_f32 v31, 0, v96
	s_delay_alu instid0(VALU_DEP_3)
	v_dual_fmac_f32 v28, 0x80000000, v95 :: v_dual_fmac_f32 v25, v17, v96
	v_dual_fmac_f32 v27, 0, v96 :: v_dual_fmac_f32 v30, 0x80000000, v95
	v_fmac_f32_e32 v29, 0, v96
	v_fmac_f32_e32 v26, v42, v96
	;; [unrolled: 1-line block ×3, first 2 shown]
	v_dual_fmac_f32 v28, v38, v96 :: v_dual_fmac_f32 v25, 0x80000000, v97
	v_fmac_f32_e32 v27, v38, v97
	v_dual_fmac_f32 v30, v34, v96 :: v_dual_fmac_f32 v31, v17, v97
	v_fmac_f32_e32 v26, 0x80000000, v97
	v_fmac_f32_e32 v29, v34, v97
	s_delay_alu instid0(VALU_DEP_4) | instskip(SKIP_4) | instid1(VALU_DEP_4)
	v_dual_fmac_f32 v27, 0, v98 :: v_dual_fmac_f32 v24, v42, v97
	v_dual_fmac_f32 v28, 0x80000000, v97 :: v_dual_fmac_f32 v25, v18, v98
	;; [unrolled: 1-line block ×3, first 2 shown]
	v_fmac_f32_e32 v26, v43, v98
	v_fmac_f32_e32 v29, 0, v98
	v_dual_fmac_f32 v25, 0x80000000, v99 :: v_dual_fmac_f32 v24, 0, v98
	v_fmac_f32_e32 v27, v39, v99
	v_dual_fmac_f32 v28, v39, v98 :: v_dual_fmac_f32 v31, v18, v99
	v_fmac_f32_e32 v30, v35, v98
	v_fmac_f32_e32 v29, v35, v99
	;; [unrolled: 1-line block ×3, first 2 shown]
	s_waitcnt vmcnt(5)
	v_dual_fmac_f32 v24, v43, v99 :: v_dual_fmac_f32 v25, v44, v100
	v_dual_fmac_f32 v28, 0x80000000, v99 :: v_dual_fmac_f32 v31, 0, v100
	;; [unrolled: 1-line block ×3, first 2 shown]
	v_fmac_f32_e32 v29, 0, v100
	v_fmac_f32_e32 v26, v56, v100
	;; [unrolled: 1-line block ×3, first 2 shown]
	v_dual_fmac_f32 v28, v52, v100 :: v_dual_fmac_f32 v25, 0x80000000, v101
	v_fmac_f32_e32 v27, v52, v101
	v_fmac_f32_e32 v30, v48, v100
	;; [unrolled: 1-line block ×4, first 2 shown]
	v_dual_fmac_f32 v24, v56, v101 :: v_dual_fmac_f32 v25, v45, v102
	s_delay_alu instid0(VALU_DEP_4) | instskip(NEXT) | instid1(VALU_DEP_4)
	v_dual_fmac_f32 v27, 0, v102 :: v_dual_fmac_f32 v30, 0x80000000, v101
	v_fmac_f32_e32 v29, 0, v102
	s_delay_alu instid0(VALU_DEP_4) | instskip(SKIP_1) | instid1(VALU_DEP_3)
	v_dual_fmac_f32 v31, v44, v101 :: v_dual_fmac_f32 v26, v57, v102
	v_fmac_f32_e32 v28, 0x80000000, v101
	v_dual_fmac_f32 v24, 0, v102 :: v_dual_fmac_f32 v29, v49, v103
	s_delay_alu instid0(VALU_DEP_3) | instskip(NEXT) | instid1(VALU_DEP_3)
	v_dual_fmac_f32 v31, 0, v102 :: v_dual_fmac_f32 v26, 0x80000000, v103
	v_dual_fmac_f32 v28, v53, v102 :: v_dual_fmac_f32 v25, 0x80000000, v103
	v_fmac_f32_e32 v27, v53, v103
	v_fmac_f32_e32 v30, v49, v102
	s_waitcnt vmcnt(4)
	v_dual_fmac_f32 v24, v57, v103 :: v_dual_fmac_f32 v29, 0, v104
	v_fmac_f32_e32 v25, v46, v104
	v_dual_fmac_f32 v31, v45, v103 :: v_dual_fmac_f32 v26, v58, v104
	v_dual_fmac_f32 v28, 0x80000000, v103 :: v_dual_fmac_f32 v27, 0, v104
	v_fmac_f32_e32 v30, 0x80000000, v103
	v_dual_fmac_f32 v24, 0, v104 :: v_dual_fmac_f32 v29, v50, v105
	s_delay_alu instid0(VALU_DEP_4) | instskip(NEXT) | instid1(VALU_DEP_4)
	v_fmac_f32_e32 v31, 0, v104
	v_dual_fmac_f32 v28, v54, v104 :: v_dual_fmac_f32 v25, 0x80000000, v105
	s_delay_alu instid0(VALU_DEP_3) | instskip(SKIP_2) | instid1(VALU_DEP_4)
	v_dual_fmac_f32 v26, 0x80000000, v105 :: v_dual_fmac_f32 v29, 0, v106
	v_fmac_f32_e32 v27, v54, v105
	v_fmac_f32_e32 v30, v50, v104
	v_dual_fmac_f32 v24, v58, v105 :: v_dual_fmac_f32 v25, v47, v106
	s_delay_alu instid0(VALU_DEP_4) | instskip(NEXT) | instid1(VALU_DEP_4)
	v_dual_fmac_f32 v31, v46, v105 :: v_dual_fmac_f32 v26, v59, v106
	v_dual_fmac_f32 v28, 0x80000000, v105 :: v_dual_fmac_f32 v27, 0, v106
	s_delay_alu instid0(VALU_DEP_4) | instskip(NEXT) | instid1(VALU_DEP_4)
	v_fmac_f32_e32 v30, 0x80000000, v105
	v_dual_fmac_f32 v24, 0, v106 :: v_dual_fmac_f32 v29, v51, v107
	s_delay_alu instid0(VALU_DEP_4) | instskip(NEXT) | instid1(VALU_DEP_4)
	v_fmac_f32_e32 v31, 0, v106
	v_dual_fmac_f32 v28, v55, v106 :: v_dual_fmac_f32 v25, 0x80000000, v107
	s_waitcnt vmcnt(3)
	s_delay_alu instid0(VALU_DEP_3) | instskip(SKIP_3) | instid1(VALU_DEP_4)
	v_dual_fmac_f32 v26, 0x80000000, v107 :: v_dual_fmac_f32 v29, 0, v108
	v_fmac_f32_e32 v27, v55, v107
	v_fmac_f32_e32 v30, v51, v106
	v_dual_fmac_f32 v24, v59, v107 :: v_dual_fmac_f32 v25, v60, v108
	v_dual_fmac_f32 v31, v47, v107 :: v_dual_fmac_f32 v26, v72, v108
	s_delay_alu instid0(VALU_DEP_4) | instskip(NEXT) | instid1(VALU_DEP_4)
	v_dual_fmac_f32 v28, 0x80000000, v107 :: v_dual_fmac_f32 v27, 0, v108
	v_fmac_f32_e32 v30, 0x80000000, v107
	s_delay_alu instid0(VALU_DEP_4) | instskip(NEXT) | instid1(VALU_DEP_4)
	v_dual_fmac_f32 v24, 0, v108 :: v_dual_fmac_f32 v29, v64, v109
	v_fmac_f32_e32 v31, 0, v108
	s_delay_alu instid0(VALU_DEP_4) | instskip(NEXT) | instid1(VALU_DEP_3)
	v_dual_fmac_f32 v28, v68, v108 :: v_dual_fmac_f32 v25, 0x80000000, v109
	v_dual_fmac_f32 v26, 0x80000000, v109 :: v_dual_fmac_f32 v29, 0, v110
	v_fmac_f32_e32 v27, v68, v109
	v_fmac_f32_e32 v30, v64, v108
	s_delay_alu instid0(VALU_DEP_4) | instskip(NEXT) | instid1(VALU_DEP_4)
	v_dual_fmac_f32 v24, v72, v109 :: v_dual_fmac_f32 v25, v61, v110
	v_dual_fmac_f32 v31, v60, v109 :: v_dual_fmac_f32 v26, v73, v110
	s_delay_alu instid0(VALU_DEP_4) | instskip(NEXT) | instid1(VALU_DEP_4)
	v_dual_fmac_f32 v28, 0x80000000, v109 :: v_dual_fmac_f32 v27, 0, v110
	v_fmac_f32_e32 v30, 0x80000000, v109
	s_delay_alu instid0(VALU_DEP_4) | instskip(NEXT) | instid1(VALU_DEP_4)
	v_dual_fmac_f32 v24, 0, v110 :: v_dual_fmac_f32 v29, v65, v111
	v_fmac_f32_e32 v31, 0, v110
	s_delay_alu instid0(VALU_DEP_4) | instskip(SKIP_1) | instid1(VALU_DEP_3)
	v_dual_fmac_f32 v28, v69, v110 :: v_dual_fmac_f32 v25, 0x80000000, v111
	s_waitcnt vmcnt(2)
	v_dual_fmac_f32 v26, 0x80000000, v111 :: v_dual_fmac_f32 v29, 0, v112
	v_fmac_f32_e32 v27, v69, v111
	v_fmac_f32_e32 v30, v65, v110
	v_dual_fmac_f32 v24, v73, v111 :: v_dual_fmac_f32 v25, v62, v112
	s_delay_alu instid0(VALU_DEP_4) | instskip(NEXT) | instid1(VALU_DEP_4)
	v_dual_fmac_f32 v31, v61, v111 :: v_dual_fmac_f32 v26, v74, v112
	v_dual_fmac_f32 v28, 0x80000000, v111 :: v_dual_fmac_f32 v27, 0, v112
	s_delay_alu instid0(VALU_DEP_4) | instskip(NEXT) | instid1(VALU_DEP_4)
	v_fmac_f32_e32 v30, 0x80000000, v111
	v_dual_fmac_f32 v24, 0, v112 :: v_dual_fmac_f32 v29, v66, v113
	s_delay_alu instid0(VALU_DEP_4) | instskip(NEXT) | instid1(VALU_DEP_4)
	v_fmac_f32_e32 v31, 0, v112
	v_dual_fmac_f32 v28, v70, v112 :: v_dual_fmac_f32 v25, 0x80000000, v113
	s_delay_alu instid0(VALU_DEP_3) | instskip(SKIP_2) | instid1(VALU_DEP_4)
	v_dual_fmac_f32 v26, 0x80000000, v113 :: v_dual_fmac_f32 v29, 0, v114
	v_fmac_f32_e32 v27, v70, v113
	v_fmac_f32_e32 v30, v66, v112
	v_dual_fmac_f32 v24, v74, v113 :: v_dual_fmac_f32 v25, v63, v114
	s_delay_alu instid0(VALU_DEP_4) | instskip(NEXT) | instid1(VALU_DEP_4)
	v_dual_fmac_f32 v31, v62, v113 :: v_dual_fmac_f32 v26, v75, v114
	v_dual_fmac_f32 v28, 0x80000000, v113 :: v_dual_fmac_f32 v27, 0, v114
	s_delay_alu instid0(VALU_DEP_4) | instskip(NEXT) | instid1(VALU_DEP_4)
	v_fmac_f32_e32 v30, 0x80000000, v113
	v_dual_fmac_f32 v24, 0, v114 :: v_dual_fmac_f32 v29, v67, v115
	s_delay_alu instid0(VALU_DEP_4) | instskip(NEXT) | instid1(VALU_DEP_4)
	v_fmac_f32_e32 v31, 0, v114
	v_dual_fmac_f32 v28, v71, v114 :: v_dual_fmac_f32 v25, 0x80000000, v115
	s_waitcnt vmcnt(1)
	s_delay_alu instid0(VALU_DEP_3) | instskip(SKIP_3) | instid1(VALU_DEP_4)
	v_dual_fmac_f32 v26, 0x80000000, v115 :: v_dual_fmac_f32 v29, 0, v116
	v_fmac_f32_e32 v27, v71, v115
	v_fmac_f32_e32 v30, v67, v114
	v_dual_fmac_f32 v24, v75, v115 :: v_dual_fmac_f32 v25, v76, v116
	v_dual_fmac_f32 v31, v63, v115 :: v_dual_fmac_f32 v26, v88, v116
	s_delay_alu instid0(VALU_DEP_4) | instskip(NEXT) | instid1(VALU_DEP_4)
	v_dual_fmac_f32 v28, 0x80000000, v115 :: v_dual_fmac_f32 v27, 0, v116
	v_fmac_f32_e32 v30, 0x80000000, v115
	s_delay_alu instid0(VALU_DEP_4) | instskip(NEXT) | instid1(VALU_DEP_4)
	v_dual_fmac_f32 v24, 0, v116 :: v_dual_fmac_f32 v29, v80, v117
	v_fmac_f32_e32 v31, 0, v116
	s_delay_alu instid0(VALU_DEP_4) | instskip(NEXT) | instid1(VALU_DEP_3)
	v_dual_fmac_f32 v28, v84, v116 :: v_dual_fmac_f32 v25, 0x80000000, v117
	v_dual_fmac_f32 v26, 0x80000000, v117 :: v_dual_fmac_f32 v29, 0, v118
	v_fmac_f32_e32 v27, v84, v117
	v_fmac_f32_e32 v30, v80, v116
	s_delay_alu instid0(VALU_DEP_4) | instskip(NEXT) | instid1(VALU_DEP_4)
	v_dual_fmac_f32 v24, v88, v117 :: v_dual_fmac_f32 v25, v77, v118
	v_dual_fmac_f32 v31, v76, v117 :: v_dual_fmac_f32 v26, v89, v118
	s_delay_alu instid0(VALU_DEP_4) | instskip(NEXT) | instid1(VALU_DEP_4)
	v_dual_fmac_f32 v28, 0x80000000, v117 :: v_dual_fmac_f32 v27, 0, v118
	v_fmac_f32_e32 v30, 0x80000000, v117
	s_delay_alu instid0(VALU_DEP_4) | instskip(NEXT) | instid1(VALU_DEP_4)
	v_dual_fmac_f32 v24, 0, v118 :: v_dual_fmac_f32 v29, v81, v119
	v_fmac_f32_e32 v31, 0, v118
	s_delay_alu instid0(VALU_DEP_4) | instskip(SKIP_1) | instid1(VALU_DEP_3)
	v_dual_fmac_f32 v28, v85, v118 :: v_dual_fmac_f32 v25, 0x80000000, v119
	s_waitcnt vmcnt(0)
	v_dual_fmac_f32 v26, 0x80000000, v119 :: v_dual_fmac_f32 v29, 0, v120
	v_fmac_f32_e32 v27, v85, v119
	v_fmac_f32_e32 v30, v81, v118
	v_dual_fmac_f32 v24, v89, v119 :: v_dual_fmac_f32 v25, v78, v120
	s_delay_alu instid0(VALU_DEP_4) | instskip(NEXT) | instid1(VALU_DEP_4)
	v_dual_fmac_f32 v31, v77, v119 :: v_dual_fmac_f32 v26, v90, v120
	v_dual_fmac_f32 v28, 0x80000000, v119 :: v_dual_fmac_f32 v27, 0, v120
	s_delay_alu instid0(VALU_DEP_4) | instskip(NEXT) | instid1(VALU_DEP_4)
	v_fmac_f32_e32 v30, 0x80000000, v119
	v_dual_fmac_f32 v24, 0, v120 :: v_dual_fmac_f32 v29, v82, v121
	s_delay_alu instid0(VALU_DEP_4) | instskip(NEXT) | instid1(VALU_DEP_4)
	v_fmac_f32_e32 v31, 0, v120
	v_dual_fmac_f32 v28, v86, v120 :: v_dual_fmac_f32 v25, 0x80000000, v121
	s_delay_alu instid0(VALU_DEP_3) | instskip(SKIP_2) | instid1(VALU_DEP_4)
	v_dual_fmac_f32 v26, 0x80000000, v121 :: v_dual_fmac_f32 v29, 0, v122
	v_fmac_f32_e32 v27, v86, v121
	v_fmac_f32_e32 v30, v82, v120
	v_dual_fmac_f32 v24, v90, v121 :: v_dual_fmac_f32 v25, v79, v122
	s_delay_alu instid0(VALU_DEP_4) | instskip(NEXT) | instid1(VALU_DEP_4)
	v_dual_fmac_f32 v31, v78, v121 :: v_dual_fmac_f32 v26, v91, v122
	v_dual_fmac_f32 v28, 0x80000000, v121 :: v_dual_fmac_f32 v27, 0, v122
	s_delay_alu instid0(VALU_DEP_4) | instskip(NEXT) | instid1(VALU_DEP_4)
	v_fmac_f32_e32 v30, 0x80000000, v121
	v_dual_fmac_f32 v24, 0, v122 :: v_dual_fmac_f32 v29, v83, v123
	s_delay_alu instid0(VALU_DEP_4) | instskip(NEXT) | instid1(VALU_DEP_4)
	v_fmac_f32_e32 v31, 0, v122
	v_dual_fmac_f32 v28, v87, v122 :: v_dual_fmac_f32 v25, 0x80000000, v123
	v_fmac_f32_e32 v27, v87, v123
	v_fmac_f32_e32 v30, v83, v122
	;; [unrolled: 1-line block ×7, first 2 shown]
	s_and_not1_b32 exec_lo, exec_lo, s10
	s_cbranch_execnz .LBB127_27
; %bb.28:
	s_or_b32 exec_lo, exec_lo, s10
.LBB127_29:
	s_delay_alu instid0(SALU_CYCLE_1)
	s_or_b32 exec_lo, exec_lo, s7
.LBB127_30:
	s_delay_alu instid0(SALU_CYCLE_1) | instskip(NEXT) | instid1(SALU_CYCLE_1)
	s_or_b32 exec_lo, exec_lo, s6
	s_and_not1_b32 vcc_lo, exec_lo, s3
	s_cbranch_vccz .LBB127_32
	s_branch .LBB127_43
.LBB127_31:
                                        ; implicit-def: $vgpr24
                                        ; implicit-def: $vgpr26
                                        ; implicit-def: $vgpr27
                                        ; implicit-def: $vgpr28
                                        ; implicit-def: $vgpr29
                                        ; implicit-def: $vgpr30
                                        ; implicit-def: $vgpr31
                                        ; implicit-def: $vgpr25
.LBB127_32:
	v_dual_mov_b32 v24, 0 :: v_dual_mov_b32 v27, 0
	v_dual_mov_b32 v26, 0 :: v_dual_mov_b32 v29, 0
	;; [unrolled: 1-line block ×4, first 2 shown]
	s_and_saveexec_b32 s3, s2
	s_cbranch_execz .LBB127_42
; %bb.33:
	v_or_b32_e32 v9, 16, v23
	v_dual_mov_b32 v25, 0 :: v_dual_mov_b32 v28, 0
	v_dual_mov_b32 v31, 0 :: v_dual_mov_b32 v26, 0
	s_delay_alu instid0(VALU_DEP_3) | instskip(NEXT) | instid1(VALU_DEP_1)
	v_sub_co_u32 v9, s2, v9, s12
	v_sub_co_ci_u32_e64 v10, null, 0, 0, s2
	v_sub_co_u32 v11, s2, s12, v23
	s_delay_alu instid0(VALU_DEP_3) | instskip(NEXT) | instid1(VALU_DEP_3)
	v_add_co_u32 v9, vcc_lo, v9, v6
	v_add_co_ci_u32_e32 v10, vcc_lo, v10, v7, vcc_lo
	v_not_b32_e32 v6, v6
	v_not_b32_e32 v7, v7
	v_sub_co_ci_u32_e64 v12, null, 0, 0, s2
	s_delay_alu instid0(VALU_DEP_4)
	v_cmp_gt_i64_e32 vcc_lo, v[9:10], v[2:3]
	v_mov_b32_e32 v29, 0
	v_mov_b32_e32 v27, 0
	s_mov_b32 s6, 0
	s_mov_b32 s2, exec_lo
	v_mov_b32_e32 v30, 0
	v_dual_cndmask_b32 v10, v3, v10 :: v_dual_cndmask_b32 v9, v2, v9
	v_add_co_u32 v6, vcc_lo, v11, v6
	v_add_co_ci_u32_e32 v7, vcc_lo, v12, v7, vcc_lo
	v_mov_b32_e32 v24, 0
	s_delay_alu instid0(VALU_DEP_3) | instskip(NEXT) | instid1(VALU_DEP_3)
	v_add_co_u32 v6, vcc_lo, v6, v9
	v_add_co_ci_u32_e32 v7, vcc_lo, v7, v10, vcc_lo
	s_delay_alu instid0(VALU_DEP_2) | instskip(NEXT) | instid1(VALU_DEP_1)
	v_lshrrev_b32_e32 v9, 4, v6
	v_add_nc_u32_e32 v9, 1, v9
	s_delay_alu instid0(VALU_DEP_1) | instskip(NEXT) | instid1(VALU_DEP_1)
	v_and_b32_e32 v9, 3, v9
	v_cmpx_ne_u32_e32 0, v9
	s_cbranch_execz .LBB127_37
; %bb.34:
	v_lshlrev_b64 v[11:12], 2, v[0:1]
	v_dual_mov_b32 v10, 0 :: v_dual_lshlrev_b32 v9, 2, v9
	s_delay_alu instid0(VALU_DEP_1) | instskip(NEXT) | instid1(VALU_DEP_3)
	v_mov_b32_e32 v24, v10
	v_add_co_u32 v11, vcc_lo, s8, v11
	s_delay_alu instid0(VALU_DEP_4)
	v_add_co_ci_u32_e32 v12, vcc_lo, s9, v12, vcc_lo
	v_mov_b32_e32 v26, v10
	v_mov_b32_e32 v27, v10
	;; [unrolled: 1-line block ×7, first 2 shown]
.LBB127_35:                             ; =>This Inner Loop Header: Depth=1
	global_load_b32 v17, v[11:12], off
	s_clause 0x1
	global_load_b128 v[13:16], v[4:5], off offset:16
	global_load_b128 v[32:35], v[4:5], off
	s_waitcnt vmcnt(2)
	v_subrev_nc_u32_e32 v17, s12, v17
	s_delay_alu instid0(VALU_DEP_1) | instskip(NEXT) | instid1(VALU_DEP_1)
	v_lshlrev_b32_e32 v17, 2, v17
	v_ashrrev_i32_e32 v18, 31, v17
	s_delay_alu instid0(VALU_DEP_1) | instskip(SKIP_1) | instid1(VALU_DEP_1)
	v_lshlrev_b64 v[17:18], 3, v[17:18]
	s_waitcnt lgkmcnt(0)
	v_add_co_u32 v17, vcc_lo, s4, v17
	s_delay_alu instid0(VALU_DEP_2)
	v_add_co_ci_u32_e32 v18, vcc_lo, s5, v18, vcc_lo
	s_clause 0x1
	global_load_b128 v[36:39], v[17:18], off
	global_load_b128 v[40:43], v[17:18], off offset:16
	s_clause 0x1
	global_load_b128 v[44:47], v[4:5], off offset:32
	global_load_b128 v[48:51], v[4:5], off offset:48
	v_add_co_u32 v4, vcc_lo, 0x400, v4
	v_add_co_ci_u32_e32 v5, vcc_lo, 0, v5, vcc_lo
	v_add_co_u32 v0, vcc_lo, v0, 16
	v_add_co_ci_u32_e32 v1, vcc_lo, 0, v1, vcc_lo
	v_add_co_u32 v9, vcc_lo, v9, -4
	v_add_co_ci_u32_e32 v10, vcc_lo, -1, v10, vcc_lo
	v_add_co_u32 v11, vcc_lo, v11, 64
	v_add_co_ci_u32_e32 v12, vcc_lo, 0, v12, vcc_lo
	s_delay_alu instid0(VALU_DEP_3) | instskip(SKIP_3) | instid1(VALU_DEP_1)
	v_cmp_eq_u64_e32 vcc_lo, 0, v[9:10]
	s_or_b32 s6, vcc_lo, s6
	s_waitcnt vmcnt(3)
	v_fmac_f32_e32 v26, v32, v36
	v_dual_fmac_f32 v27, 0, v36 :: v_dual_fmac_f32 v26, 0x80000000, v37
	s_delay_alu instid0(VALU_DEP_1) | instskip(NEXT) | instid1(VALU_DEP_2)
	v_dual_fmac_f32 v24, 0, v36 :: v_dual_fmac_f32 v27, v33, v37
	v_dual_fmac_f32 v29, 0, v36 :: v_dual_fmac_f32 v26, v13, v38
	s_delay_alu instid0(VALU_DEP_2) | instskip(NEXT) | instid1(VALU_DEP_2)
	v_fmac_f32_e32 v24, v32, v37
	v_dual_fmac_f32 v28, v33, v36 :: v_dual_fmac_f32 v29, v34, v37
	v_fmac_f32_e32 v25, v35, v36
	s_delay_alu instid0(VALU_DEP_4) | instskip(NEXT) | instid1(VALU_DEP_3)
	v_dual_fmac_f32 v27, 0, v38 :: v_dual_fmac_f32 v26, 0x80000000, v39
	v_fmac_f32_e32 v28, 0x80000000, v37
	s_delay_alu instid0(VALU_DEP_3) | instskip(SKIP_1) | instid1(VALU_DEP_2)
	v_dual_fmac_f32 v30, v34, v36 :: v_dual_fmac_f32 v25, 0x80000000, v37
	v_dual_fmac_f32 v31, 0, v36 :: v_dual_fmac_f32 v24, 0, v38
	;; [unrolled: 1-line block ×3, first 2 shown]
	v_fmac_f32_e32 v29, 0, v38
	s_delay_alu instid0(VALU_DEP_3) | instskip(SKIP_1) | instid1(VALU_DEP_3)
	v_dual_fmac_f32 v31, v35, v37 :: v_dual_fmac_f32 v24, v13, v39
	s_waitcnt vmcnt(2)
	v_dual_fmac_f32 v28, v14, v38 :: v_dual_fmac_f32 v27, 0, v40
	s_delay_alu instid0(VALU_DEP_3) | instskip(SKIP_4) | instid1(VALU_DEP_3)
	v_fmac_f32_e32 v29, v15, v39
	v_fmac_f32_e32 v25, v16, v38
	s_waitcnt vmcnt(1)
	v_fmac_f32_e32 v26, v44, v40
	v_dual_fmac_f32 v28, 0x80000000, v39 :: v_dual_fmac_f32 v27, v45, v41
	v_dual_fmac_f32 v30, v15, v38 :: v_dual_fmac_f32 v25, 0x80000000, v39
	s_delay_alu instid0(VALU_DEP_3) | instskip(SKIP_1) | instid1(VALU_DEP_3)
	v_dual_fmac_f32 v31, 0, v38 :: v_dual_fmac_f32 v26, 0x80000000, v41
	v_fmac_f32_e32 v24, 0, v40
	v_dual_fmac_f32 v30, 0x80000000, v39 :: v_dual_fmac_f32 v29, 0, v40
	s_delay_alu instid0(VALU_DEP_3)
	v_fmac_f32_e32 v31, v16, v39
	s_waitcnt vmcnt(0)
	v_fmac_f32_e32 v26, v48, v42
	v_fmac_f32_e32 v24, v44, v41
	v_dual_fmac_f32 v28, v45, v40 :: v_dual_fmac_f32 v29, v46, v41
	v_fmac_f32_e32 v25, v47, v40
	s_delay_alu instid0(VALU_DEP_4) | instskip(NEXT) | instid1(VALU_DEP_3)
	v_dual_fmac_f32 v27, 0, v42 :: v_dual_fmac_f32 v26, 0x80000000, v43
	v_fmac_f32_e32 v28, 0x80000000, v41
	s_delay_alu instid0(VALU_DEP_3) | instskip(SKIP_1) | instid1(VALU_DEP_2)
	v_dual_fmac_f32 v30, v46, v40 :: v_dual_fmac_f32 v25, 0x80000000, v41
	v_dual_fmac_f32 v31, 0, v40 :: v_dual_fmac_f32 v24, 0, v42
	;; [unrolled: 1-line block ×3, first 2 shown]
	v_fmac_f32_e32 v29, 0, v42
	s_delay_alu instid0(VALU_DEP_3) | instskip(NEXT) | instid1(VALU_DEP_2)
	v_dual_fmac_f32 v31, v47, v41 :: v_dual_fmac_f32 v24, v48, v43
	v_dual_fmac_f32 v28, v49, v42 :: v_dual_fmac_f32 v29, v50, v43
	s_delay_alu instid0(VALU_DEP_1) | instskip(NEXT) | instid1(VALU_DEP_1)
	v_dual_fmac_f32 v25, v51, v42 :: v_dual_fmac_f32 v28, 0x80000000, v43
	v_dual_fmac_f32 v30, v50, v42 :: v_dual_fmac_f32 v25, 0x80000000, v43
	s_delay_alu instid0(VALU_DEP_1) | instskip(NEXT) | instid1(VALU_DEP_1)
	v_dual_fmac_f32 v31, 0, v42 :: v_dual_fmac_f32 v30, 0x80000000, v43
	v_fmac_f32_e32 v31, v51, v43
	s_and_not1_b32 exec_lo, exec_lo, s6
	s_cbranch_execnz .LBB127_35
; %bb.36:
	s_or_b32 exec_lo, exec_lo, s6
.LBB127_37:
	s_delay_alu instid0(SALU_CYCLE_1) | instskip(NEXT) | instid1(SALU_CYCLE_1)
	s_or_b32 exec_lo, exec_lo, s2
	s_mov_b32 s2, exec_lo
	v_cmpx_lt_u64_e32 47, v[6:7]
	s_cbranch_execz .LBB127_41
; %bb.38:
	v_lshlrev_b64 v[6:7], 2, v[0:1]
	s_mov_b32 s6, 0
	s_delay_alu instid0(VALU_DEP_1) | instskip(NEXT) | instid1(VALU_DEP_2)
	v_add_co_u32 v6, vcc_lo, v6, s8
	v_add_co_ci_u32_e32 v7, vcc_lo, s9, v7, vcc_lo
	s_delay_alu instid0(VALU_DEP_2) | instskip(NEXT) | instid1(VALU_DEP_2)
	v_add_co_u32 v6, vcc_lo, 0x80, v6
	v_add_co_ci_u32_e32 v7, vcc_lo, 0, v7, vcc_lo
.LBB127_39:                             ; =>This Inner Loop Header: Depth=1
	s_clause 0x3
	global_load_b32 v17, v[6:7], off offset:-128
	global_load_b32 v18, v[6:7], off offset:-64
	global_load_b32 v80, v[6:7], off
	global_load_b32 v81, v[6:7], off offset:64
	s_clause 0xd
	global_load_b128 v[9:12], v[4:5], off offset:48
	global_load_b128 v[13:16], v[4:5], off offset:32
	;; [unrolled: 1-line block ×3, first 2 shown]
	global_load_b128 v[36:39], v[4:5], off
	global_load_b128 v[40:43], v[4:5], off offset:1072
	global_load_b128 v[44:47], v[4:5], off offset:1056
	global_load_b128 v[48:51], v[4:5], off offset:1040
	global_load_b128 v[52:55], v[4:5], off offset:1024
	global_load_b128 v[56:59], v[4:5], off offset:2096
	global_load_b128 v[60:63], v[4:5], off offset:2080
	global_load_b128 v[64:67], v[4:5], off offset:2064
	global_load_b128 v[68:71], v[4:5], off offset:2048
	global_load_b128 v[72:75], v[4:5], off offset:3088
	global_load_b128 v[76:79], v[4:5], off offset:3072
	s_waitcnt vmcnt(17)
	v_subrev_nc_u32_e32 v17, s12, v17
	s_waitcnt vmcnt(16)
	v_subrev_nc_u32_e32 v18, s12, v18
	;; [unrolled: 2-line block ×4, first 2 shown]
	v_lshlrev_b32_e32 v17, 2, v17
	v_lshlrev_b32_e32 v80, 2, v18
	;; [unrolled: 1-line block ×3, first 2 shown]
	s_delay_alu instid0(VALU_DEP_4) | instskip(NEXT) | instid1(VALU_DEP_4)
	v_lshlrev_b32_e32 v84, 2, v81
	v_ashrrev_i32_e32 v18, 31, v17
	s_delay_alu instid0(VALU_DEP_4) | instskip(NEXT) | instid1(VALU_DEP_4)
	v_ashrrev_i32_e32 v81, 31, v80
	v_ashrrev_i32_e32 v83, 31, v82
	s_delay_alu instid0(VALU_DEP_4) | instskip(NEXT) | instid1(VALU_DEP_4)
	v_ashrrev_i32_e32 v85, 31, v84
	v_lshlrev_b64 v[17:18], 3, v[17:18]
	s_delay_alu instid0(VALU_DEP_4) | instskip(NEXT) | instid1(VALU_DEP_4)
	v_lshlrev_b64 v[80:81], 3, v[80:81]
	v_lshlrev_b64 v[82:83], 3, v[82:83]
	s_delay_alu instid0(VALU_DEP_4) | instskip(SKIP_1) | instid1(VALU_DEP_4)
	v_lshlrev_b64 v[84:85], 3, v[84:85]
	s_waitcnt lgkmcnt(0)
	v_add_co_u32 v17, vcc_lo, s4, v17
	v_add_co_ci_u32_e32 v18, vcc_lo, s5, v18, vcc_lo
	v_add_co_u32 v92, vcc_lo, s4, v80
	v_add_co_ci_u32_e32 v93, vcc_lo, s5, v81, vcc_lo
	v_add_co_u32 v100, vcc_lo, s4, v82
	v_add_co_ci_u32_e32 v101, vcc_lo, s5, v83, vcc_lo
	v_add_co_u32 v112, vcc_lo, s4, v84
	v_add_co_ci_u32_e32 v113, vcc_lo, s5, v85, vcc_lo
	s_clause 0x6
	global_load_b128 v[80:83], v[17:18], off
	global_load_b128 v[84:87], v[17:18], off offset:16
	global_load_b128 v[88:91], v[92:93], off
	global_load_b128 v[92:95], v[92:93], off offset:16
	;; [unrolled: 2-line block ×4, first 2 shown]
	global_load_b128 v[112:115], v[112:113], off offset:16
	global_load_b128 v[116:119], v[4:5], off offset:3120
	v_add_co_u32 v4, vcc_lo, 0x1000, v4
	v_add_co_ci_u32_e32 v5, vcc_lo, 0, v5, vcc_lo
	v_add_co_u32 v0, vcc_lo, v0, 64
	v_add_co_ci_u32_e32 v1, vcc_lo, 0, v1, vcc_lo
	;; [unrolled: 2-line block ×3, first 2 shown]
	s_delay_alu instid0(VALU_DEP_3)
	v_cmp_ge_i64_e32 vcc_lo, v[0:1], v[2:3]
	s_or_b32 s6, vcc_lo, s6
	s_waitcnt vmcnt(9)
	v_fmac_f32_e32 v29, 0, v80
	v_fmac_f32_e32 v26, v36, v80
	v_fmac_f32_e32 v24, 0, v80
	v_fmac_f32_e32 v27, 0, v80
	v_fmac_f32_e32 v25, v39, v80
	v_fmac_f32_e32 v29, v38, v81
	v_fmac_f32_e32 v26, 0x80000000, v81
	v_fmac_f32_e32 v30, v38, v80
	v_dual_fmac_f32 v31, 0, v80 :: v_dual_fmac_f32 v24, v36, v81
	v_fmac_f32_e32 v28, v37, v80
	v_fmac_f32_e32 v27, v37, v81
	v_fmac_f32_e32 v25, 0x80000000, v81
	s_delay_alu instid0(VALU_DEP_4) | instskip(SKIP_1) | instid1(VALU_DEP_4)
	v_fmac_f32_e32 v31, v39, v81
	v_dual_fmac_f32 v30, 0x80000000, v81 :: v_dual_fmac_f32 v29, 0, v82
	v_dual_fmac_f32 v28, 0x80000000, v81 :: v_dual_fmac_f32 v27, 0, v82
	v_fmac_f32_e32 v26, v32, v82
	s_delay_alu instid0(VALU_DEP_3) | instskip(SKIP_1) | instid1(VALU_DEP_4)
	v_dual_fmac_f32 v24, 0, v82 :: v_dual_fmac_f32 v29, v34, v83
	v_fmac_f32_e32 v31, 0, v82
	v_fmac_f32_e32 v27, v33, v83
	s_delay_alu instid0(VALU_DEP_4) | instskip(SKIP_3) | instid1(VALU_DEP_4)
	v_dual_fmac_f32 v25, v35, v82 :: v_dual_fmac_f32 v26, 0x80000000, v83
	v_fmac_f32_e32 v30, v34, v82
	v_fmac_f32_e32 v24, v32, v83
	v_dual_fmac_f32 v28, v33, v82 :: v_dual_fmac_f32 v31, v35, v83
	v_fmac_f32_e32 v25, 0x80000000, v83
	s_waitcnt vmcnt(8)
	v_dual_fmac_f32 v30, 0x80000000, v83 :: v_dual_fmac_f32 v29, 0, v84
	s_delay_alu instid0(VALU_DEP_3) | instskip(SKIP_1) | instid1(VALU_DEP_3)
	v_dual_fmac_f32 v28, 0x80000000, v83 :: v_dual_fmac_f32 v27, 0, v84
	v_fmac_f32_e32 v26, v13, v84
	v_dual_fmac_f32 v24, 0, v84 :: v_dual_fmac_f32 v29, v15, v85
	v_fmac_f32_e32 v31, 0, v84
	s_delay_alu instid0(VALU_DEP_4) | instskip(NEXT) | instid1(VALU_DEP_4)
	v_fmac_f32_e32 v27, v14, v85
	v_dual_fmac_f32 v25, v16, v84 :: v_dual_fmac_f32 v26, 0x80000000, v85
	v_fmac_f32_e32 v30, v15, v84
	v_fmac_f32_e32 v24, v13, v85
	v_dual_fmac_f32 v28, v14, v84 :: v_dual_fmac_f32 v31, v16, v85
	s_delay_alu instid0(VALU_DEP_4) | instskip(NEXT) | instid1(VALU_DEP_4)
	v_fmac_f32_e32 v25, 0x80000000, v85
	v_dual_fmac_f32 v30, 0x80000000, v85 :: v_dual_fmac_f32 v29, 0, v86
	s_delay_alu instid0(VALU_DEP_3) | instskip(SKIP_1) | instid1(VALU_DEP_3)
	v_dual_fmac_f32 v28, 0x80000000, v85 :: v_dual_fmac_f32 v27, 0, v86
	v_fmac_f32_e32 v26, v9, v86
	v_dual_fmac_f32 v24, 0, v86 :: v_dual_fmac_f32 v29, v11, v87
	v_fmac_f32_e32 v31, 0, v86
	s_delay_alu instid0(VALU_DEP_4) | instskip(NEXT) | instid1(VALU_DEP_4)
	v_fmac_f32_e32 v27, v10, v87
	v_dual_fmac_f32 v25, v12, v86 :: v_dual_fmac_f32 v26, 0x80000000, v87
	v_fmac_f32_e32 v30, v11, v86
	v_fmac_f32_e32 v24, v9, v87
	v_dual_fmac_f32 v28, v10, v86 :: v_dual_fmac_f32 v31, v12, v87
	s_delay_alu instid0(VALU_DEP_4) | instskip(SKIP_2) | instid1(VALU_DEP_3)
	v_fmac_f32_e32 v25, 0x80000000, v87
	s_waitcnt vmcnt(7)
	v_dual_fmac_f32 v30, 0x80000000, v87 :: v_dual_fmac_f32 v29, 0, v88
	v_dual_fmac_f32 v28, 0x80000000, v87 :: v_dual_fmac_f32 v27, 0, v88
	v_fmac_f32_e32 v26, v52, v88
	s_delay_alu instid0(VALU_DEP_3) | instskip(SKIP_1) | instid1(VALU_DEP_4)
	v_dual_fmac_f32 v24, 0, v88 :: v_dual_fmac_f32 v29, v54, v89
	v_fmac_f32_e32 v31, 0, v88
	v_fmac_f32_e32 v27, v53, v89
	s_delay_alu instid0(VALU_DEP_4) | instskip(SKIP_3) | instid1(VALU_DEP_4)
	v_dual_fmac_f32 v25, v55, v88 :: v_dual_fmac_f32 v26, 0x80000000, v89
	v_fmac_f32_e32 v28, v53, v88
	v_fmac_f32_e32 v24, v52, v89
	v_dual_fmac_f32 v30, v54, v88 :: v_dual_fmac_f32 v31, v55, v89
	v_fmac_f32_e32 v25, 0x80000000, v89
	s_delay_alu instid0(VALU_DEP_4) | instskip(NEXT) | instid1(VALU_DEP_3)
	v_dual_fmac_f32 v28, 0x80000000, v89 :: v_dual_fmac_f32 v27, 0, v90
	v_dual_fmac_f32 v30, 0x80000000, v89 :: v_dual_fmac_f32 v29, 0, v90
	v_fmac_f32_e32 v26, v48, v90
	s_delay_alu instid0(VALU_DEP_3) | instskip(SKIP_1) | instid1(VALU_DEP_4)
	v_dual_fmac_f32 v24, 0, v90 :: v_dual_fmac_f32 v27, v49, v91
	v_fmac_f32_e32 v25, v51, v90
	v_fmac_f32_e32 v29, v50, v91
	s_delay_alu instid0(VALU_DEP_4) | instskip(SKIP_4) | instid1(VALU_DEP_3)
	v_fmac_f32_e32 v26, 0x80000000, v91
	v_fmac_f32_e32 v28, v49, v90
	v_dual_fmac_f32 v31, 0, v90 :: v_dual_fmac_f32 v24, v48, v91
	v_dual_fmac_f32 v30, v50, v90 :: v_dual_fmac_f32 v25, 0x80000000, v91
	s_waitcnt vmcnt(6)
	v_dual_fmac_f32 v28, 0x80000000, v91 :: v_dual_fmac_f32 v27, 0, v92
	s_delay_alu instid0(VALU_DEP_3) | instskip(NEXT) | instid1(VALU_DEP_3)
	v_fmac_f32_e32 v31, v51, v91
	v_dual_fmac_f32 v30, 0x80000000, v91 :: v_dual_fmac_f32 v29, 0, v92
	s_delay_alu instid0(VALU_DEP_3) | instskip(SKIP_2) | instid1(VALU_DEP_4)
	v_dual_fmac_f32 v26, v44, v92 :: v_dual_fmac_f32 v27, v45, v93
	v_fmac_f32_e32 v24, 0, v92
	v_fmac_f32_e32 v25, v47, v92
	v_fmac_f32_e32 v29, v46, v93
	s_delay_alu instid0(VALU_DEP_4) | instskip(SKIP_3) | instid1(VALU_DEP_3)
	v_fmac_f32_e32 v26, 0x80000000, v93
	v_fmac_f32_e32 v28, v45, v92
	v_dual_fmac_f32 v31, 0, v92 :: v_dual_fmac_f32 v24, v44, v93
	v_dual_fmac_f32 v30, v46, v92 :: v_dual_fmac_f32 v25, 0x80000000, v93
	v_dual_fmac_f32 v28, 0x80000000, v93 :: v_dual_fmac_f32 v27, 0, v94
	s_delay_alu instid0(VALU_DEP_3) | instskip(NEXT) | instid1(VALU_DEP_3)
	v_fmac_f32_e32 v31, v47, v93
	v_dual_fmac_f32 v30, 0x80000000, v93 :: v_dual_fmac_f32 v29, 0, v94
	s_delay_alu instid0(VALU_DEP_3) | instskip(SKIP_2) | instid1(VALU_DEP_4)
	v_dual_fmac_f32 v26, v40, v94 :: v_dual_fmac_f32 v27, v41, v95
	v_fmac_f32_e32 v24, 0, v94
	v_fmac_f32_e32 v25, v43, v94
	v_fmac_f32_e32 v29, v42, v95
	s_delay_alu instid0(VALU_DEP_4) | instskip(SKIP_4) | instid1(VALU_DEP_3)
	v_fmac_f32_e32 v26, 0x80000000, v95
	v_fmac_f32_e32 v28, v41, v94
	v_dual_fmac_f32 v31, 0, v94 :: v_dual_fmac_f32 v24, v40, v95
	v_dual_fmac_f32 v30, v42, v94 :: v_dual_fmac_f32 v25, 0x80000000, v95
	s_waitcnt vmcnt(5)
	v_dual_fmac_f32 v28, 0x80000000, v95 :: v_dual_fmac_f32 v27, 0, v96
	s_delay_alu instid0(VALU_DEP_3) | instskip(NEXT) | instid1(VALU_DEP_3)
	v_fmac_f32_e32 v31, v43, v95
	v_dual_fmac_f32 v30, 0x80000000, v95 :: v_dual_fmac_f32 v29, 0, v96
	s_delay_alu instid0(VALU_DEP_3) | instskip(SKIP_2) | instid1(VALU_DEP_4)
	v_dual_fmac_f32 v26, v68, v96 :: v_dual_fmac_f32 v27, v69, v97
	v_fmac_f32_e32 v24, 0, v96
	v_fmac_f32_e32 v25, v71, v96
	v_fmac_f32_e32 v29, v70, v97
	s_delay_alu instid0(VALU_DEP_4) | instskip(SKIP_3) | instid1(VALU_DEP_3)
	v_fmac_f32_e32 v26, 0x80000000, v97
	v_fmac_f32_e32 v28, v69, v96
	v_dual_fmac_f32 v31, 0, v96 :: v_dual_fmac_f32 v24, v68, v97
	v_dual_fmac_f32 v30, v70, v96 :: v_dual_fmac_f32 v25, 0x80000000, v97
	v_dual_fmac_f32 v28, 0x80000000, v97 :: v_dual_fmac_f32 v27, 0, v98
	s_delay_alu instid0(VALU_DEP_3) | instskip(NEXT) | instid1(VALU_DEP_3)
	v_fmac_f32_e32 v31, v71, v97
	v_dual_fmac_f32 v30, 0x80000000, v97 :: v_dual_fmac_f32 v29, 0, v98
	s_delay_alu instid0(VALU_DEP_3) | instskip(SKIP_2) | instid1(VALU_DEP_4)
	v_dual_fmac_f32 v26, v64, v98 :: v_dual_fmac_f32 v27, v65, v99
	v_fmac_f32_e32 v24, 0, v98
	;; [unrolled: 29-line block ×4, first 2 shown]
	v_fmac_f32_e32 v25, v75, v106
	v_fmac_f32_e32 v29, v74, v107
	s_delay_alu instid0(VALU_DEP_4) | instskip(SKIP_4) | instid1(VALU_DEP_3)
	v_fmac_f32_e32 v26, 0x80000000, v107
	v_fmac_f32_e32 v28, v73, v106
	v_dual_fmac_f32 v31, 0, v106 :: v_dual_fmac_f32 v24, v72, v107
	v_dual_fmac_f32 v30, v74, v106 :: v_dual_fmac_f32 v25, 0x80000000, v107
	s_waitcnt vmcnt(1)
	v_dual_fmac_f32 v28, 0x80000000, v107 :: v_dual_fmac_f32 v27, 0, v112
	s_delay_alu instid0(VALU_DEP_3) | instskip(NEXT) | instid1(VALU_DEP_3)
	v_fmac_f32_e32 v31, v75, v107
	v_dual_fmac_f32 v30, 0x80000000, v107 :: v_dual_fmac_f32 v29, 0, v112
	s_delay_alu instid0(VALU_DEP_3) | instskip(SKIP_2) | instid1(VALU_DEP_4)
	v_dual_fmac_f32 v26, v108, v112 :: v_dual_fmac_f32 v27, v109, v113
	v_fmac_f32_e32 v24, 0, v112
	v_fmac_f32_e32 v25, v111, v112
	;; [unrolled: 1-line block ×3, first 2 shown]
	s_delay_alu instid0(VALU_DEP_4) | instskip(SKIP_3) | instid1(VALU_DEP_3)
	v_fmac_f32_e32 v26, 0x80000000, v113
	v_fmac_f32_e32 v28, v109, v112
	v_dual_fmac_f32 v31, 0, v112 :: v_dual_fmac_f32 v24, v108, v113
	v_dual_fmac_f32 v30, v110, v112 :: v_dual_fmac_f32 v25, 0x80000000, v113
	v_dual_fmac_f32 v28, 0x80000000, v113 :: v_dual_fmac_f32 v27, 0, v114
	s_delay_alu instid0(VALU_DEP_3) | instskip(NEXT) | instid1(VALU_DEP_3)
	v_fmac_f32_e32 v31, v111, v113
	v_dual_fmac_f32 v30, 0x80000000, v113 :: v_dual_fmac_f32 v29, 0, v114
	s_waitcnt vmcnt(0)
	s_delay_alu instid0(VALU_DEP_3) | instskip(SKIP_3) | instid1(VALU_DEP_4)
	v_dual_fmac_f32 v26, v116, v114 :: v_dual_fmac_f32 v27, v117, v115
	v_fmac_f32_e32 v24, 0, v114
	v_fmac_f32_e32 v25, v119, v114
	;; [unrolled: 1-line block ×5, first 2 shown]
	v_dual_fmac_f32 v31, 0, v114 :: v_dual_fmac_f32 v24, v116, v115
	v_dual_fmac_f32 v30, v118, v114 :: v_dual_fmac_f32 v25, 0x80000000, v115
	s_delay_alu instid0(VALU_DEP_3) | instskip(NEXT) | instid1(VALU_DEP_3)
	v_fmac_f32_e32 v28, 0x80000000, v115
	v_fmac_f32_e32 v31, v119, v115
	s_delay_alu instid0(VALU_DEP_3)
	v_fmac_f32_e32 v30, 0x80000000, v115
	s_and_not1_b32 exec_lo, exec_lo, s6
	s_cbranch_execnz .LBB127_39
; %bb.40:
	s_or_b32 exec_lo, exec_lo, s6
.LBB127_41:
	s_delay_alu instid0(SALU_CYCLE_1)
	s_or_b32 exec_lo, exec_lo, s2
.LBB127_42:
	s_delay_alu instid0(SALU_CYCLE_1)
	s_or_b32 exec_lo, exec_lo, s3
.LBB127_43:
	v_mbcnt_lo_u32_b32 v0, -1, 0
	s_delay_alu instid0(VALU_DEP_1) | instskip(SKIP_2) | instid1(VALU_DEP_3)
	v_xor_b32_e32 v1, 8, v0
	v_xor_b32_e32 v10, 4, v0
	;; [unrolled: 1-line block ×3, first 2 shown]
	v_cmp_gt_i32_e32 vcc_lo, 32, v1
	v_cndmask_b32_e32 v1, v0, v1, vcc_lo
	s_delay_alu instid0(VALU_DEP_4) | instskip(SKIP_2) | instid1(VALU_DEP_2)
	v_cmp_gt_i32_e32 vcc_lo, 32, v10
	v_cndmask_b32_e32 v10, v0, v10, vcc_lo
	v_cmp_gt_i32_e32 vcc_lo, 32, v18
	v_lshlrev_b32_e32 v10, 2, v10
	v_dual_cndmask_b32 v18, v0, v18 :: v_dual_lshlrev_b32 v1, 2, v1
	ds_bpermute_b32 v2, v1, v26
	v_lshlrev_b32_e32 v18, 2, v18
	s_waitcnt lgkmcnt(0)
	v_add_f32_e32 v2, v26, v2
	ds_bpermute_b32 v3, v1, v24
	ds_bpermute_b32 v4, v1, v28
	;; [unrolled: 1-line block ×8, first 2 shown]
	s_waitcnt lgkmcnt(7)
	v_add_f32_e32 v3, v24, v3
	s_waitcnt lgkmcnt(5)
	v_dual_add_f32 v4, v28, v4 :: v_dual_add_f32 v5, v27, v5
	s_waitcnt lgkmcnt(3)
	v_dual_add_f32 v6, v30, v6 :: v_dual_add_f32 v7, v29, v7
	s_waitcnt lgkmcnt(2)
	v_add_f32_e32 v9, v25, v9
	s_waitcnt lgkmcnt(1)
	v_add_f32_e32 v1, v31, v1
	ds_bpermute_b32 v12, v10, v3
	ds_bpermute_b32 v13, v10, v4
	;; [unrolled: 1-line block ×7, first 2 shown]
	s_waitcnt lgkmcnt(6)
	v_dual_add_f32 v2, v2, v11 :: v_dual_add_f32 v3, v3, v12
	s_waitcnt lgkmcnt(4)
	v_dual_add_f32 v4, v4, v13 :: v_dual_add_f32 v5, v5, v14
	;; [unrolled: 2-line block ×3, first 2 shown]
	s_waitcnt lgkmcnt(1)
	v_add_f32_e32 v9, v9, v17
	ds_bpermute_b32 v11, v18, v3
	s_waitcnt lgkmcnt(1)
	v_add_f32_e32 v10, v1, v10
	ds_bpermute_b32 v1, v18, v2
	ds_bpermute_b32 v12, v18, v4
	;; [unrolled: 1-line block ×7, first 2 shown]
	v_xor_b32_e32 v18, 1, v0
	s_delay_alu instid0(VALU_DEP_1) | instskip(SKIP_2) | instid1(VALU_DEP_2)
	v_cmp_gt_i32_e32 vcc_lo, 32, v18
	v_cndmask_b32_e32 v0, v0, v18, vcc_lo
	v_cmp_eq_u32_e32 vcc_lo, 15, v23
	v_lshlrev_b32_e32 v18, 2, v0
	s_waitcnt lgkmcnt(6)
	v_dual_add_f32 v0, v2, v1 :: v_dual_add_f32 v1, v3, v11
	s_waitcnt lgkmcnt(4)
	v_dual_add_f32 v2, v4, v12 :: v_dual_add_f32 v3, v5, v13
	;; [unrolled: 2-line block ×4, first 2 shown]
	ds_bpermute_b32 v9, v18, v0
	ds_bpermute_b32 v10, v18, v1
	;; [unrolled: 1-line block ×8, first 2 shown]
	s_and_b32 exec_lo, exec_lo, vcc_lo
	s_cbranch_execz .LBB127_13
; %bb.44:
	s_load_b64 s[2:3], s[0:1], 0x50
	s_waitcnt lgkmcnt(0)
	v_dual_add_f32 v9, v0, v9 :: v_dual_add_f32 v0, v1, v10
	v_dual_add_f32 v10, v2, v11 :: v_dual_add_f32 v1, v3, v12
	;; [unrolled: 1-line block ×4, first 2 shown]
	s_delay_alu instid0(VALU_DEP_4)
	v_mul_f32_e64 v4, v0, -v22
	v_dual_mul_f32 v5, v0, v21 :: v_dual_lshlrev_b32 v8, 2, v8
	v_mul_f32_e64 v6, v1, -v22
	v_mul_f32_e32 v7, v1, v21
	v_mul_f32_e64 v0, v2, -v22
	v_mul_f32_e32 v1, v2, v21
	v_mul_f32_e64 v2, v3, -v22
	v_dual_fmac_f32 v6, v21, v10 :: v_dual_mul_f32 v3, v3, v21
	s_delay_alu instid0(VALU_DEP_4)
	v_fmac_f32_e32 v0, v21, v11
	v_cmp_eq_f32_e32 vcc_lo, 0, v19
	v_cmp_eq_f32_e64 s0, 0, v20
	v_dual_fmac_f32 v4, v21, v9 :: v_dual_fmac_f32 v7, v22, v10
	v_dual_fmac_f32 v5, v22, v9 :: v_dual_fmac_f32 v2, v21, v12
	v_fmac_f32_e32 v1, v22, v11
	v_fmac_f32_e32 v3, v22, v12
	s_and_b32 s0, vcc_lo, s0
	s_delay_alu instid0(SALU_CYCLE_1) | instskip(NEXT) | instid1(SALU_CYCLE_1)
	s_and_saveexec_b32 s1, s0
	s_xor_b32 s0, exec_lo, s1
; %bb.45:
	v_ashrrev_i32_e32 v9, 31, v8
                                        ; implicit-def: $vgpr19
                                        ; implicit-def: $vgpr20
	s_delay_alu instid0(VALU_DEP_1) | instskip(NEXT) | instid1(VALU_DEP_1)
	v_lshlrev_b64 v[8:9], 3, v[8:9]
	v_add_co_u32 v8, vcc_lo, s2, v8
	s_delay_alu instid0(VALU_DEP_2)
	v_add_co_ci_u32_e32 v9, vcc_lo, s3, v9, vcc_lo
	s_clause 0x1
	global_store_b128 v[8:9], v[4:7], off
	global_store_b128 v[8:9], v[0:3], off offset:16
                                        ; implicit-def: $vgpr4
                                        ; implicit-def: $vgpr8
                                        ; implicit-def: $vgpr0
; %bb.46:
	s_and_not1_saveexec_b32 s0, s0
	s_cbranch_execz .LBB127_13
; %bb.47:
	v_ashrrev_i32_e32 v9, 31, v8
	s_delay_alu instid0(VALU_DEP_1) | instskip(NEXT) | instid1(VALU_DEP_1)
	v_lshlrev_b64 v[8:9], 3, v[8:9]
	v_add_co_u32 v16, vcc_lo, s2, v8
	s_delay_alu instid0(VALU_DEP_2)
	v_add_co_ci_u32_e32 v17, vcc_lo, s3, v9, vcc_lo
	s_clause 0x1
	global_load_b128 v[8:11], v[16:17], off
	global_load_b128 v[12:15], v[16:17], off offset:16
	s_waitcnt vmcnt(1)
	v_dual_fmac_f32 v4, v19, v8 :: v_dual_fmac_f32 v7, v20, v10
	v_dual_fmac_f32 v5, v20, v8 :: v_dual_fmac_f32 v6, v19, v10
	s_waitcnt vmcnt(0)
	v_dual_fmac_f32 v0, v19, v12 :: v_dual_fmac_f32 v3, v20, v14
	v_dual_fmac_f32 v1, v20, v12 :: v_dual_fmac_f32 v2, v19, v14
	v_fma_f32 v4, -v20, v9, v4
	v_fmac_f32_e32 v5, v19, v9
	v_fma_f32 v6, -v20, v11, v6
	v_fmac_f32_e32 v7, v19, v11
	;; [unrolled: 2-line block ×4, first 2 shown]
	s_clause 0x1
	global_store_b128 v[16:17], v[4:7], off
	global_store_b128 v[16:17], v[0:3], off offset:16
	s_nop 0
	s_sendmsg sendmsg(MSG_DEALLOC_VGPRS)
	s_endpgm
	.section	.rodata,"a",@progbits
	.p2align	6, 0x0
	.amdhsa_kernel _ZN9rocsparseL18bsrxmvn_4x4_kernelILj128ELj16E21rocsparse_complex_numIfElifS2_S2_EEvT3_20rocsparse_direction_NS_24const_host_device_scalarIT1_EES3_PKS3_PKT2_SC_S9_PKT4_PKT5_S7_PT6_21rocsparse_index_base_b
		.amdhsa_group_segment_fixed_size 0
		.amdhsa_private_segment_fixed_size 0
		.amdhsa_kernarg_size 96
		.amdhsa_user_sgpr_count 15
		.amdhsa_user_sgpr_dispatch_ptr 0
		.amdhsa_user_sgpr_queue_ptr 0
		.amdhsa_user_sgpr_kernarg_segment_ptr 1
		.amdhsa_user_sgpr_dispatch_id 0
		.amdhsa_user_sgpr_private_segment_size 0
		.amdhsa_wavefront_size32 1
		.amdhsa_uses_dynamic_stack 0
		.amdhsa_enable_private_segment 0
		.amdhsa_system_sgpr_workgroup_id_x 1
		.amdhsa_system_sgpr_workgroup_id_y 0
		.amdhsa_system_sgpr_workgroup_id_z 0
		.amdhsa_system_sgpr_workgroup_info 0
		.amdhsa_system_vgpr_workitem_id 0
		.amdhsa_next_free_vgpr 124
		.amdhsa_next_free_sgpr 16
		.amdhsa_reserve_vcc 1
		.amdhsa_float_round_mode_32 0
		.amdhsa_float_round_mode_16_64 0
		.amdhsa_float_denorm_mode_32 3
		.amdhsa_float_denorm_mode_16_64 3
		.amdhsa_dx10_clamp 1
		.amdhsa_ieee_mode 1
		.amdhsa_fp16_overflow 0
		.amdhsa_workgroup_processor_mode 1
		.amdhsa_memory_ordered 1
		.amdhsa_forward_progress 0
		.amdhsa_shared_vgpr_count 0
		.amdhsa_exception_fp_ieee_invalid_op 0
		.amdhsa_exception_fp_denorm_src 0
		.amdhsa_exception_fp_ieee_div_zero 0
		.amdhsa_exception_fp_ieee_overflow 0
		.amdhsa_exception_fp_ieee_underflow 0
		.amdhsa_exception_fp_ieee_inexact 0
		.amdhsa_exception_int_div_zero 0
	.end_amdhsa_kernel
	.section	.text._ZN9rocsparseL18bsrxmvn_4x4_kernelILj128ELj16E21rocsparse_complex_numIfElifS2_S2_EEvT3_20rocsparse_direction_NS_24const_host_device_scalarIT1_EES3_PKS3_PKT2_SC_S9_PKT4_PKT5_S7_PT6_21rocsparse_index_base_b,"axG",@progbits,_ZN9rocsparseL18bsrxmvn_4x4_kernelILj128ELj16E21rocsparse_complex_numIfElifS2_S2_EEvT3_20rocsparse_direction_NS_24const_host_device_scalarIT1_EES3_PKS3_PKT2_SC_S9_PKT4_PKT5_S7_PT6_21rocsparse_index_base_b,comdat
.Lfunc_end127:
	.size	_ZN9rocsparseL18bsrxmvn_4x4_kernelILj128ELj16E21rocsparse_complex_numIfElifS2_S2_EEvT3_20rocsparse_direction_NS_24const_host_device_scalarIT1_EES3_PKS3_PKT2_SC_S9_PKT4_PKT5_S7_PT6_21rocsparse_index_base_b, .Lfunc_end127-_ZN9rocsparseL18bsrxmvn_4x4_kernelILj128ELj16E21rocsparse_complex_numIfElifS2_S2_EEvT3_20rocsparse_direction_NS_24const_host_device_scalarIT1_EES3_PKS3_PKT2_SC_S9_PKT4_PKT5_S7_PT6_21rocsparse_index_base_b
                                        ; -- End function
	.section	.AMDGPU.csdata,"",@progbits
; Kernel info:
; codeLenInByte = 7476
; NumSgprs: 18
; NumVgprs: 124
; ScratchSize: 0
; MemoryBound: 0
; FloatMode: 240
; IeeeMode: 1
; LDSByteSize: 0 bytes/workgroup (compile time only)
; SGPRBlocks: 2
; VGPRBlocks: 15
; NumSGPRsForWavesPerEU: 18
; NumVGPRsForWavesPerEU: 124
; Occupancy: 10
; WaveLimiterHint : 1
; COMPUTE_PGM_RSRC2:SCRATCH_EN: 0
; COMPUTE_PGM_RSRC2:USER_SGPR: 15
; COMPUTE_PGM_RSRC2:TRAP_HANDLER: 0
; COMPUTE_PGM_RSRC2:TGID_X_EN: 1
; COMPUTE_PGM_RSRC2:TGID_Y_EN: 0
; COMPUTE_PGM_RSRC2:TGID_Z_EN: 0
; COMPUTE_PGM_RSRC2:TIDIG_COMP_CNT: 0
	.section	.text._ZN9rocsparseL18bsrxmvn_4x4_kernelILj128ELj32E21rocsparse_complex_numIfElifS2_S2_EEvT3_20rocsparse_direction_NS_24const_host_device_scalarIT1_EES3_PKS3_PKT2_SC_S9_PKT4_PKT5_S7_PT6_21rocsparse_index_base_b,"axG",@progbits,_ZN9rocsparseL18bsrxmvn_4x4_kernelILj128ELj32E21rocsparse_complex_numIfElifS2_S2_EEvT3_20rocsparse_direction_NS_24const_host_device_scalarIT1_EES3_PKS3_PKT2_SC_S9_PKT4_PKT5_S7_PT6_21rocsparse_index_base_b,comdat
	.globl	_ZN9rocsparseL18bsrxmvn_4x4_kernelILj128ELj32E21rocsparse_complex_numIfElifS2_S2_EEvT3_20rocsparse_direction_NS_24const_host_device_scalarIT1_EES3_PKS3_PKT2_SC_S9_PKT4_PKT5_S7_PT6_21rocsparse_index_base_b ; -- Begin function _ZN9rocsparseL18bsrxmvn_4x4_kernelILj128ELj32E21rocsparse_complex_numIfElifS2_S2_EEvT3_20rocsparse_direction_NS_24const_host_device_scalarIT1_EES3_PKS3_PKT2_SC_S9_PKT4_PKT5_S7_PT6_21rocsparse_index_base_b
	.p2align	8
	.type	_ZN9rocsparseL18bsrxmvn_4x4_kernelILj128ELj32E21rocsparse_complex_numIfElifS2_S2_EEvT3_20rocsparse_direction_NS_24const_host_device_scalarIT1_EES3_PKS3_PKT2_SC_S9_PKT4_PKT5_S7_PT6_21rocsparse_index_base_b,@function
_ZN9rocsparseL18bsrxmvn_4x4_kernelILj128ELj32E21rocsparse_complex_numIfElifS2_S2_EEvT3_20rocsparse_direction_NS_24const_host_device_scalarIT1_EES3_PKS3_PKT2_SC_S9_PKT4_PKT5_S7_PT6_21rocsparse_index_base_b: ; @_ZN9rocsparseL18bsrxmvn_4x4_kernelILj128ELj32E21rocsparse_complex_numIfElifS2_S2_EEvT3_20rocsparse_direction_NS_24const_host_device_scalarIT1_EES3_PKS3_PKT2_SC_S9_PKT4_PKT5_S7_PT6_21rocsparse_index_base_b
; %bb.0:
	s_clause 0x2
	s_load_b64 s[12:13], s[0:1], 0x58
	s_load_b64 s[4:5], s[0:1], 0x8
	;; [unrolled: 1-line block ×3, first 2 shown]
	s_waitcnt lgkmcnt(0)
	s_bitcmp1_b32 s13, 0
	v_mov_b32_e32 v21, s4
	s_cselect_b32 s6, -1, 0
	s_delay_alu instid0(SALU_CYCLE_1)
	s_and_b32 vcc_lo, exec_lo, s6
	s_xor_b32 s6, s6, -1
	s_cbranch_vccz .LBB128_14
; %bb.1:
	v_cndmask_b32_e64 v1, 0, 1, s6
	v_mov_b32_e32 v22, s5
	s_and_not1_b32 vcc_lo, exec_lo, s6
	s_cbranch_vccz .LBB128_15
.LBB128_2:
	s_delay_alu instid0(VALU_DEP_2)
	v_cmp_ne_u32_e32 vcc_lo, 1, v1
	v_mov_b32_e32 v19, s2
	s_cbranch_vccz .LBB128_16
.LBB128_3:
	v_cmp_ne_u32_e32 vcc_lo, 1, v1
	v_mov_b32_e32 v20, s3
	s_cbranch_vccnz .LBB128_5
.LBB128_4:
	v_dual_mov_b32 v1, s2 :: v_dual_mov_b32 v2, s3
	flat_load_b32 v20, v[1:2] offset:4
.LBB128_5:
	s_waitcnt vmcnt(0) lgkmcnt(0)
	v_cmp_eq_f32_e32 vcc_lo, 0, v21
	v_cmp_eq_f32_e64 s2, 0, v22
	s_delay_alu instid0(VALU_DEP_1)
	s_and_b32 s4, vcc_lo, s2
	s_mov_b32 s2, -1
	s_and_saveexec_b32 s3, s4
; %bb.6:
	v_cmp_neq_f32_e32 vcc_lo, 1.0, v19
	v_cmp_neq_f32_e64 s2, 0, v20
	s_delay_alu instid0(VALU_DEP_1) | instskip(NEXT) | instid1(SALU_CYCLE_1)
	s_or_b32 s2, vcc_lo, s2
	s_or_not1_b32 s2, s2, exec_lo
; %bb.7:
	s_or_b32 exec_lo, exec_lo, s3
	s_and_saveexec_b32 s3, s2
	s_cbranch_execz .LBB128_13
; %bb.8:
	s_clause 0x1
	s_load_b64 s[4:5], s[0:1], 0x18
	s_load_b64 s[2:3], s[0:1], 0x0
	v_lshrrev_b32_e32 v1, 5, v0
	s_delay_alu instid0(VALU_DEP_1)
	v_lshl_or_b32 v8, s15, 2, v1
	s_waitcnt lgkmcnt(0)
	s_cmp_lg_u64 s[4:5], 0
	s_cbranch_scc0 .LBB128_17
; %bb.9:
	s_load_b32 s6, s[0:1], 0x10
	s_mov_b32 s7, 0
                                        ; implicit-def: $vgpr1
	s_waitcnt lgkmcnt(0)
	v_cmp_gt_i32_e32 vcc_lo, s6, v8
	s_mov_b32 s6, 0
	s_and_saveexec_b32 s8, vcc_lo
	s_delay_alu instid0(SALU_CYCLE_1)
	s_xor_b32 s8, exec_lo, s8
	s_cbranch_execz .LBB128_11
; %bb.10:
	v_ashrrev_i32_e32 v9, 31, v8
	s_mov_b32 s6, exec_lo
	s_delay_alu instid0(VALU_DEP_1) | instskip(NEXT) | instid1(VALU_DEP_1)
	v_lshlrev_b64 v[1:2], 2, v[8:9]
	v_add_co_u32 v1, vcc_lo, s4, v1
	s_delay_alu instid0(VALU_DEP_2)
	v_add_co_ci_u32_e32 v2, vcc_lo, s5, v2, vcc_lo
	global_load_b32 v1, v[1:2], off
	s_waitcnt vmcnt(0)
	v_subrev_nc_u32_e32 v1, s12, v1
.LBB128_11:
	s_or_b32 exec_lo, exec_lo, s8
	s_delay_alu instid0(SALU_CYCLE_1)
	s_and_b32 vcc_lo, exec_lo, s7
	s_cbranch_vccz .LBB128_18
.LBB128_12:
	v_cmp_gt_i32_e32 vcc_lo, s2, v8
	s_and_not1_b32 s2, s6, exec_lo
	s_and_b32 s4, vcc_lo, exec_lo
	s_delay_alu instid0(SALU_CYCLE_1) | instskip(NEXT) | instid1(SALU_CYCLE_1)
	s_or_b32 s6, s2, s4
	s_and_b32 exec_lo, exec_lo, s6
	s_cbranch_execnz .LBB128_19
.LBB128_13:
	s_nop 0
	s_sendmsg sendmsg(MSG_DEALLOC_VGPRS)
	s_endpgm
.LBB128_14:
	v_dual_mov_b32 v1, s4 :: v_dual_mov_b32 v2, s5
	flat_load_b32 v21, v[1:2]
	v_cndmask_b32_e64 v1, 0, 1, s6
	v_mov_b32_e32 v22, s5
	s_and_not1_b32 vcc_lo, exec_lo, s6
	s_cbranch_vccnz .LBB128_2
.LBB128_15:
	v_dual_mov_b32 v2, s4 :: v_dual_mov_b32 v3, s5
	flat_load_b32 v22, v[2:3] offset:4
	v_cmp_ne_u32_e32 vcc_lo, 1, v1
	v_mov_b32_e32 v19, s2
	s_cbranch_vccnz .LBB128_3
.LBB128_16:
	v_dual_mov_b32 v2, s2 :: v_dual_mov_b32 v3, s3
	flat_load_b32 v19, v[2:3]
	v_cmp_ne_u32_e32 vcc_lo, 1, v1
	v_mov_b32_e32 v20, s3
	s_cbranch_vccz .LBB128_4
	s_branch .LBB128_5
.LBB128_17:
	s_mov_b32 s6, 0
                                        ; implicit-def: $vgpr1
	s_cbranch_execnz .LBB128_12
.LBB128_18:
	s_delay_alu instid0(VALU_DEP_1)
	v_mov_b32_e32 v8, v1
	s_and_b32 exec_lo, exec_lo, s6
	s_cbranch_execz .LBB128_13
.LBB128_19:
	s_load_b256 s[4:11], s[0:1], 0x20
	s_delay_alu instid0(VALU_DEP_1) | instskip(SKIP_1) | instid1(VALU_DEP_2)
	v_ashrrev_i32_e32 v9, 31, v8
	v_dual_mov_b32 v24, 0 :: v_dual_and_b32 v23, 31, v0
	v_lshlrev_b64 v[1:2], 3, v[8:9]
	s_waitcnt lgkmcnt(0)
	s_delay_alu instid0(VALU_DEP_1) | instskip(NEXT) | instid1(VALU_DEP_2)
	v_add_co_u32 v3, vcc_lo, s4, v1
	v_add_co_ci_u32_e32 v4, vcc_lo, s5, v2, vcc_lo
	v_add_co_u32 v1, vcc_lo, s6, v1
	v_add_co_ci_u32_e32 v2, vcc_lo, s7, v2, vcc_lo
	s_delay_alu instid0(VALU_DEP_4)
	v_add_co_u32 v5, vcc_lo, v3, 8
	global_load_b64 v[6:7], v[3:4], off
	v_add_co_ci_u32_e32 v9, vcc_lo, 0, v4, vcc_lo
	s_cmp_eq_u64 s[6:7], 0
	s_load_b64 s[4:5], s[0:1], 0x40
	s_cselect_b32 vcc_lo, -1, 0
	s_cmp_eq_u32 s3, 1
	v_cndmask_b32_e32 v2, v2, v9, vcc_lo
	v_cndmask_b32_e32 v1, v1, v5, vcc_lo
	s_mov_b32 s3, 0
	global_load_b64 v[2:3], v[1:2], off
	s_waitcnt vmcnt(1)
	v_sub_co_u32 v0, vcc_lo, v6, s12
	v_subrev_co_ci_u32_e32 v1, vcc_lo, 0, v7, vcc_lo
	s_delay_alu instid0(VALU_DEP_2) | instskip(NEXT) | instid1(VALU_DEP_2)
	v_add_co_u32 v0, vcc_lo, v0, v23
	v_add_co_ci_u32_e32 v1, vcc_lo, 0, v1, vcc_lo
	s_delay_alu instid0(VALU_DEP_1) | instskip(SKIP_3) | instid1(VALU_DEP_3)
	v_lshlrev_b64 v[4:5], 6, v[0:1]
	s_waitcnt vmcnt(0)
	v_sub_co_u32 v2, vcc_lo, v2, s12
	v_subrev_co_ci_u32_e32 v3, vcc_lo, 0, v3, vcc_lo
	v_add_co_u32 v4, vcc_lo, s10, v4
	s_delay_alu instid0(VALU_DEP_2)
	v_cmp_lt_i64_e64 s2, v[0:1], v[2:3]
	v_add_co_ci_u32_e32 v5, vcc_lo, s11, v5, vcc_lo
	s_cbranch_scc1 .LBB128_31
; %bb.20:
	v_dual_mov_b32 v26, 0 :: v_dual_mov_b32 v27, 0
	v_dual_mov_b32 v28, 0 :: v_dual_mov_b32 v29, 0
	;; [unrolled: 1-line block ×3, first 2 shown]
	v_mov_b32_e32 v25, 0
	s_and_saveexec_b32 s6, s2
	s_cbranch_execz .LBB128_30
; %bb.21:
	v_or_b32_e32 v9, 32, v23
	v_not_b32_e32 v12, v6
	v_not_b32_e32 v11, v7
	v_mov_b32_e32 v27, 0
	v_dual_mov_b32 v25, 0 :: v_dual_mov_b32 v30, 0
	v_sub_co_u32 v9, s7, v9, s12
	s_delay_alu instid0(VALU_DEP_1) | instskip(SKIP_1) | instid1(VALU_DEP_3)
	v_sub_co_ci_u32_e64 v10, null, 0, 0, s7
	v_sub_co_u32 v13, s7, s12, v23
	v_add_co_u32 v9, vcc_lo, v9, v6
	s_delay_alu instid0(VALU_DEP_3) | instskip(SKIP_2) | instid1(VALU_DEP_3)
	v_add_co_ci_u32_e32 v10, vcc_lo, v10, v7, vcc_lo
	v_sub_co_ci_u32_e64 v14, null, 0, 0, s7
	v_dual_mov_b32 v31, 0 :: v_dual_mov_b32 v26, 0
	v_cmp_gt_i64_e32 vcc_lo, v[9:10], v[2:3]
	v_dual_mov_b32 v29, 0 :: v_dual_mov_b32 v24, 0
	s_mov_b32 s10, 0
	s_mov_b32 s7, exec_lo
	v_mov_b32_e32 v28, 0
	v_dual_cndmask_b32 v10, v3, v10 :: v_dual_cndmask_b32 v9, v2, v9
	v_add_co_u32 v12, vcc_lo, v13, v12
	v_add_co_ci_u32_e32 v11, vcc_lo, v14, v11, vcc_lo
	s_delay_alu instid0(VALU_DEP_2) | instskip(NEXT) | instid1(VALU_DEP_2)
	v_add_co_u32 v13, vcc_lo, v12, v9
	v_add_co_ci_u32_e32 v14, vcc_lo, v11, v10, vcc_lo
	v_mov_b32_e32 v12, v1
	s_delay_alu instid0(VALU_DEP_3) | instskip(SKIP_1) | instid1(VALU_DEP_2)
	v_lshrrev_b32_e32 v9, 5, v13
	v_mov_b32_e32 v11, v0
	v_add_nc_u32_e32 v9, 1, v9
	s_delay_alu instid0(VALU_DEP_1) | instskip(SKIP_1) | instid1(VALU_DEP_2)
	v_dual_mov_b32 v10, v5 :: v_dual_and_b32 v15, 3, v9
	v_mov_b32_e32 v9, v4
	v_cmpx_ne_u32_e32 0, v15
	s_cbranch_execz .LBB128_25
; %bb.22:
	v_lshlrev_b64 v[9:10], 2, v[0:1]
	v_dual_mov_b32 v16, 0 :: v_dual_lshlrev_b32 v15, 2, v15
	v_dual_mov_b32 v12, v1 :: v_dual_mov_b32 v11, v0
	s_delay_alu instid0(VALU_DEP_2) | instskip(NEXT) | instid1(VALU_DEP_4)
	v_mov_b32_e32 v24, v16
	v_add_co_u32 v17, vcc_lo, s8, v9
	v_add_co_ci_u32_e32 v18, vcc_lo, s9, v10, vcc_lo
	v_dual_mov_b32 v10, v5 :: v_dual_mov_b32 v9, v4
	v_mov_b32_e32 v26, v16
	v_mov_b32_e32 v27, v16
	;; [unrolled: 1-line block ×7, first 2 shown]
.LBB128_23:                             ; =>This Inner Loop Header: Depth=1
	global_load_b32 v48, v[17:18], off
	s_clause 0x3
	global_load_b128 v[32:35], v[9:10], off offset:48
	global_load_b128 v[36:39], v[9:10], off offset:32
	;; [unrolled: 1-line block ×3, first 2 shown]
	global_load_b128 v[44:47], v[9:10], off
	s_waitcnt vmcnt(4)
	v_subrev_nc_u32_e32 v48, s12, v48
	s_delay_alu instid0(VALU_DEP_1) | instskip(NEXT) | instid1(VALU_DEP_1)
	v_lshlrev_b32_e32 v48, 2, v48
	v_ashrrev_i32_e32 v49, 31, v48
	s_delay_alu instid0(VALU_DEP_1) | instskip(SKIP_1) | instid1(VALU_DEP_1)
	v_lshlrev_b64 v[48:49], 3, v[48:49]
	s_waitcnt lgkmcnt(0)
	v_add_co_u32 v52, vcc_lo, s4, v48
	s_delay_alu instid0(VALU_DEP_2)
	v_add_co_ci_u32_e32 v53, vcc_lo, s5, v49, vcc_lo
	v_add_co_u32 v9, vcc_lo, 0x800, v9
	v_add_co_ci_u32_e32 v10, vcc_lo, 0, v10, vcc_lo
	s_clause 0x1
	global_load_b128 v[48:51], v[52:53], off
	global_load_b128 v[52:55], v[52:53], off offset:16
	v_add_co_u32 v11, vcc_lo, v11, 32
	v_add_co_ci_u32_e32 v12, vcc_lo, 0, v12, vcc_lo
	v_add_co_u32 v15, vcc_lo, v15, -4
	v_add_co_ci_u32_e32 v16, vcc_lo, -1, v16, vcc_lo
	v_add_co_u32 v17, vcc_lo, 0x80, v17
	v_add_co_ci_u32_e32 v18, vcc_lo, 0, v18, vcc_lo
	s_delay_alu instid0(VALU_DEP_3)
	v_cmp_eq_u64_e32 vcc_lo, 0, v[15:16]
	s_or_b32 s10, vcc_lo, s10
	s_waitcnt vmcnt(1)
	v_fmac_f32_e32 v29, 0, v48
	v_fmac_f32_e32 v25, v32, v48
	v_fmac_f32_e32 v26, v44, v48
	s_delay_alu instid0(VALU_DEP_3) | instskip(NEXT) | instid1(VALU_DEP_3)
	v_dual_fmac_f32 v24, 0, v48 :: v_dual_fmac_f32 v29, v36, v49
	v_fmac_f32_e32 v25, 0x80000000, v49
	s_delay_alu instid0(VALU_DEP_3) | instskip(NEXT) | instid1(VALU_DEP_3)
	v_dual_fmac_f32 v27, 0, v48 :: v_dual_fmac_f32 v26, 0x80000000, v49
	v_dual_fmac_f32 v30, v36, v48 :: v_dual_fmac_f32 v29, 0, v50
	v_fmac_f32_e32 v31, 0, v48
	s_delay_alu instid0(VALU_DEP_3) | instskip(SKIP_4) | instid1(VALU_DEP_4)
	v_fmac_f32_e32 v27, v40, v49
	v_fmac_f32_e32 v28, v40, v48
	;; [unrolled: 1-line block ×4, first 2 shown]
	v_dual_fmac_f32 v31, v32, v49 :: v_dual_fmac_f32 v26, v45, v50
	v_dual_fmac_f32 v27, 0, v50 :: v_dual_fmac_f32 v28, 0x80000000, v49
	s_delay_alu instid0(VALU_DEP_4) | instskip(NEXT) | instid1(VALU_DEP_3)
	v_fmac_f32_e32 v24, 0, v50
	v_dual_fmac_f32 v25, v33, v50 :: v_dual_fmac_f32 v26, 0x80000000, v51
	s_delay_alu instid0(VALU_DEP_3) | instskip(NEXT) | instid1(VALU_DEP_4)
	v_fmac_f32_e32 v27, v41, v51
	v_fmac_f32_e32 v28, v41, v50
	s_delay_alu instid0(VALU_DEP_4) | instskip(SKIP_1) | instid1(VALU_DEP_3)
	v_dual_fmac_f32 v31, 0, v50 :: v_dual_fmac_f32 v24, v45, v51
	s_waitcnt vmcnt(0)
	v_dual_fmac_f32 v30, v37, v50 :: v_dual_fmac_f32 v27, 0, v52
	v_dual_fmac_f32 v29, v37, v51 :: v_dual_fmac_f32 v26, v46, v52
	v_fmac_f32_e32 v25, 0x80000000, v51
	v_fmac_f32_e32 v28, 0x80000000, v51
	v_dual_fmac_f32 v31, v33, v51 :: v_dual_fmac_f32 v24, 0, v52
	s_delay_alu instid0(VALU_DEP_3) | instskip(SKIP_1) | instid1(VALU_DEP_4)
	v_dual_fmac_f32 v30, 0x80000000, v51 :: v_dual_fmac_f32 v25, v34, v52
	v_fmac_f32_e32 v29, 0, v52
	v_fmac_f32_e32 v28, v42, v52
	s_delay_alu instid0(VALU_DEP_4) | instskip(SKIP_2) | instid1(VALU_DEP_4)
	v_dual_fmac_f32 v31, 0, v52 :: v_dual_fmac_f32 v26, 0x80000000, v53
	v_fmac_f32_e32 v27, v42, v53
	v_fmac_f32_e32 v25, 0x80000000, v53
	;; [unrolled: 1-line block ×3, first 2 shown]
	s_delay_alu instid0(VALU_DEP_4) | instskip(NEXT) | instid1(VALU_DEP_4)
	v_dual_fmac_f32 v29, v38, v53 :: v_dual_fmac_f32 v26, v47, v54
	v_dual_fmac_f32 v30, v38, v52 :: v_dual_fmac_f32 v27, 0, v54
	s_delay_alu instid0(VALU_DEP_2) | instskip(SKIP_2) | instid1(VALU_DEP_4)
	v_dual_fmac_f32 v24, v46, v53 :: v_dual_fmac_f32 v29, 0, v54
	v_fmac_f32_e32 v25, v35, v54
	v_dual_fmac_f32 v31, v34, v53 :: v_dual_fmac_f32 v28, v43, v54
	v_fmac_f32_e32 v30, 0x80000000, v53
	s_delay_alu instid0(VALU_DEP_4) | instskip(NEXT) | instid1(VALU_DEP_3)
	v_fmac_f32_e32 v24, 0, v54
	v_dual_fmac_f32 v26, 0x80000000, v55 :: v_dual_fmac_f32 v31, 0, v54
	s_delay_alu instid0(VALU_DEP_4) | instskip(NEXT) | instid1(VALU_DEP_4)
	v_fmac_f32_e32 v28, 0x80000000, v55
	v_dual_fmac_f32 v30, v39, v54 :: v_dual_fmac_f32 v25, 0x80000000, v55
	s_delay_alu instid0(VALU_DEP_4) | instskip(SKIP_2) | instid1(VALU_DEP_4)
	v_fmac_f32_e32 v24, v47, v55
	v_fmac_f32_e32 v27, v43, v55
	;; [unrolled: 1-line block ×5, first 2 shown]
	s_and_not1_b32 exec_lo, exec_lo, s10
	s_cbranch_execnz .LBB128_23
; %bb.24:
	s_or_b32 exec_lo, exec_lo, s10
.LBB128_25:
	s_delay_alu instid0(SALU_CYCLE_1) | instskip(NEXT) | instid1(SALU_CYCLE_1)
	s_or_b32 exec_lo, exec_lo, s7
	s_mov_b32 s7, exec_lo
	v_cmpx_lt_u64_e32 0x5f, v[13:14]
	s_cbranch_execz .LBB128_29
; %bb.26:
	v_lshlrev_b64 v[13:14], 2, v[11:12]
	s_mov_b32 s10, 0
	s_delay_alu instid0(VALU_DEP_1) | instskip(NEXT) | instid1(VALU_DEP_2)
	v_add_co_u32 v13, vcc_lo, v13, s8
	v_add_co_ci_u32_e32 v14, vcc_lo, s9, v14, vcc_lo
	s_delay_alu instid0(VALU_DEP_2) | instskip(NEXT) | instid1(VALU_DEP_2)
	v_add_co_u32 v13, vcc_lo, 0x100, v13
	v_add_co_ci_u32_e32 v14, vcc_lo, 0, v14, vcc_lo
.LBB128_27:                             ; =>This Inner Loop Header: Depth=1
	s_clause 0x3
	global_load_b32 v92, v[13:14], off offset:-256
	global_load_b32 v93, v[13:14], off offset:-128
	global_load_b32 v94, v[13:14], off
	global_load_b32 v95, v[13:14], off offset:128
	s_clause 0x3
	global_load_b128 v[15:18], v[9:10], off offset:48
	global_load_b128 v[32:35], v[9:10], off offset:32
	;; [unrolled: 1-line block ×3, first 2 shown]
	global_load_b128 v[40:43], v[9:10], off
	v_add_co_u32 v88, vcc_lo, 0x1000, v9
	v_add_co_ci_u32_e32 v89, vcc_lo, 0, v10, vcc_lo
	s_clause 0xb
	global_load_b128 v[44:47], v[9:10], off offset:2096
	global_load_b128 v[48:51], v[9:10], off offset:2080
	;; [unrolled: 1-line block ×6, first 2 shown]
	global_load_b128 v[68:71], v[88:89], off
	global_load_b128 v[72:75], v[88:89], off offset:16
	global_load_b128 v[76:79], v[88:89], off offset:2096
	;; [unrolled: 1-line block ×5, first 2 shown]
	s_waitcnt vmcnt(19)
	v_subrev_nc_u32_e32 v92, s12, v92
	s_waitcnt vmcnt(18)
	v_subrev_nc_u32_e32 v93, s12, v93
	;; [unrolled: 2-line block ×4, first 2 shown]
	v_lshlrev_b32_e32 v92, 2, v92
	v_lshlrev_b32_e32 v94, 2, v93
	;; [unrolled: 1-line block ×3, first 2 shown]
	s_delay_alu instid0(VALU_DEP_4) | instskip(NEXT) | instid1(VALU_DEP_4)
	v_lshlrev_b32_e32 v98, 2, v95
	v_ashrrev_i32_e32 v93, 31, v92
	s_delay_alu instid0(VALU_DEP_4) | instskip(NEXT) | instid1(VALU_DEP_4)
	v_ashrrev_i32_e32 v95, 31, v94
	v_ashrrev_i32_e32 v97, 31, v96
	s_delay_alu instid0(VALU_DEP_4) | instskip(NEXT) | instid1(VALU_DEP_4)
	v_ashrrev_i32_e32 v99, 31, v98
	v_lshlrev_b64 v[92:93], 3, v[92:93]
	s_delay_alu instid0(VALU_DEP_4) | instskip(NEXT) | instid1(VALU_DEP_4)
	v_lshlrev_b64 v[94:95], 3, v[94:95]
	v_lshlrev_b64 v[96:97], 3, v[96:97]
	s_delay_alu instid0(VALU_DEP_4) | instskip(SKIP_1) | instid1(VALU_DEP_4)
	v_lshlrev_b64 v[98:99], 3, v[98:99]
	s_waitcnt lgkmcnt(0)
	v_add_co_u32 v100, vcc_lo, s4, v92
	v_add_co_ci_u32_e32 v101, vcc_lo, s5, v93, vcc_lo
	v_add_co_u32 v104, vcc_lo, s4, v94
	v_add_co_ci_u32_e32 v105, vcc_lo, s5, v95, vcc_lo
	;; [unrolled: 2-line block ×4, first 2 shown]
	s_clause 0x7
	global_load_b128 v[92:95], v[100:101], off
	global_load_b128 v[96:99], v[100:101], off offset:16
	global_load_b128 v[100:103], v[104:105], off
	global_load_b128 v[104:107], v[104:105], off offset:16
	;; [unrolled: 2-line block ×4, first 2 shown]
	v_add_co_u32 v11, vcc_lo, 0x80, v11
	v_add_co_ci_u32_e32 v12, vcc_lo, 0, v12, vcc_lo
	v_add_co_u32 v13, vcc_lo, 0x200, v13
	v_add_co_ci_u32_e32 v14, vcc_lo, 0, v14, vcc_lo
	;; [unrolled: 2-line block ×3, first 2 shown]
	v_cmp_ge_i64_e32 vcc_lo, v[11:12], v[2:3]
	s_or_b32 s10, vcc_lo, s10
	s_waitcnt vmcnt(7)
	v_fmac_f32_e32 v29, 0, v92
	v_fmac_f32_e32 v27, 0, v92
	v_fmac_f32_e32 v25, v15, v92
	v_fmac_f32_e32 v26, v40, v92
	v_fmac_f32_e32 v31, 0, v92
	s_delay_alu instid0(VALU_DEP_4)
	v_dual_fmac_f32 v24, 0, v92 :: v_dual_fmac_f32 v27, v36, v93
	v_fmac_f32_e32 v28, v36, v92
	v_fmac_f32_e32 v29, v32, v93
	v_dual_fmac_f32 v30, v32, v92 :: v_dual_fmac_f32 v25, 0x80000000, v93
	v_fmac_f32_e32 v26, 0x80000000, v93
	v_fmac_f32_e32 v31, v15, v93
	s_delay_alu instid0(VALU_DEP_4) | instskip(NEXT) | instid1(VALU_DEP_4)
	v_dual_fmac_f32 v29, 0, v94 :: v_dual_fmac_f32 v24, v40, v93
	v_dual_fmac_f32 v30, 0x80000000, v93 :: v_dual_fmac_f32 v27, 0, v94
	s_delay_alu instid0(VALU_DEP_3) | instskip(SKIP_2) | instid1(VALU_DEP_4)
	v_dual_fmac_f32 v31, 0, v94 :: v_dual_fmac_f32 v28, 0x80000000, v93
	v_fmac_f32_e32 v25, v16, v94
	v_fmac_f32_e32 v26, v41, v94
	v_dual_fmac_f32 v24, 0, v94 :: v_dual_fmac_f32 v27, v37, v95
	s_delay_alu instid0(VALU_DEP_4)
	v_dual_fmac_f32 v28, v37, v94 :: v_dual_fmac_f32 v31, v16, v95
	v_fmac_f32_e32 v30, v33, v94
	v_fmac_f32_e32 v29, v33, v95
	;; [unrolled: 1-line block ×4, first 2 shown]
	s_waitcnt vmcnt(6)
	v_dual_fmac_f32 v24, v41, v95 :: v_dual_fmac_f32 v31, 0, v96
	s_delay_alu instid0(VALU_DEP_3)
	v_dual_fmac_f32 v28, 0x80000000, v95 :: v_dual_fmac_f32 v25, v17, v96
	v_dual_fmac_f32 v27, 0, v96 :: v_dual_fmac_f32 v30, 0x80000000, v95
	v_fmac_f32_e32 v29, 0, v96
	v_fmac_f32_e32 v26, v42, v96
	;; [unrolled: 1-line block ×3, first 2 shown]
	v_dual_fmac_f32 v28, v38, v96 :: v_dual_fmac_f32 v25, 0x80000000, v97
	v_fmac_f32_e32 v27, v38, v97
	v_dual_fmac_f32 v30, v34, v96 :: v_dual_fmac_f32 v31, v17, v97
	v_fmac_f32_e32 v26, 0x80000000, v97
	v_fmac_f32_e32 v29, v34, v97
	s_delay_alu instid0(VALU_DEP_4) | instskip(SKIP_4) | instid1(VALU_DEP_4)
	v_dual_fmac_f32 v27, 0, v98 :: v_dual_fmac_f32 v24, v42, v97
	v_dual_fmac_f32 v28, 0x80000000, v97 :: v_dual_fmac_f32 v25, v18, v98
	;; [unrolled: 1-line block ×3, first 2 shown]
	v_fmac_f32_e32 v26, v43, v98
	v_fmac_f32_e32 v29, 0, v98
	v_dual_fmac_f32 v25, 0x80000000, v99 :: v_dual_fmac_f32 v24, 0, v98
	v_fmac_f32_e32 v27, v39, v99
	v_dual_fmac_f32 v28, v39, v98 :: v_dual_fmac_f32 v31, v18, v99
	v_fmac_f32_e32 v30, v35, v98
	v_fmac_f32_e32 v29, v35, v99
	;; [unrolled: 1-line block ×3, first 2 shown]
	s_waitcnt vmcnt(5)
	v_dual_fmac_f32 v24, v43, v99 :: v_dual_fmac_f32 v25, v44, v100
	v_dual_fmac_f32 v28, 0x80000000, v99 :: v_dual_fmac_f32 v31, 0, v100
	;; [unrolled: 1-line block ×3, first 2 shown]
	v_fmac_f32_e32 v29, 0, v100
	v_fmac_f32_e32 v26, v56, v100
	;; [unrolled: 1-line block ×3, first 2 shown]
	v_dual_fmac_f32 v28, v52, v100 :: v_dual_fmac_f32 v25, 0x80000000, v101
	v_fmac_f32_e32 v27, v52, v101
	v_fmac_f32_e32 v30, v48, v100
	;; [unrolled: 1-line block ×4, first 2 shown]
	v_dual_fmac_f32 v24, v56, v101 :: v_dual_fmac_f32 v25, v45, v102
	s_delay_alu instid0(VALU_DEP_4) | instskip(NEXT) | instid1(VALU_DEP_4)
	v_dual_fmac_f32 v27, 0, v102 :: v_dual_fmac_f32 v30, 0x80000000, v101
	v_fmac_f32_e32 v29, 0, v102
	s_delay_alu instid0(VALU_DEP_4) | instskip(SKIP_1) | instid1(VALU_DEP_3)
	v_dual_fmac_f32 v31, v44, v101 :: v_dual_fmac_f32 v26, v57, v102
	v_fmac_f32_e32 v28, 0x80000000, v101
	v_dual_fmac_f32 v24, 0, v102 :: v_dual_fmac_f32 v29, v49, v103
	s_delay_alu instid0(VALU_DEP_3) | instskip(NEXT) | instid1(VALU_DEP_3)
	v_dual_fmac_f32 v31, 0, v102 :: v_dual_fmac_f32 v26, 0x80000000, v103
	v_dual_fmac_f32 v28, v53, v102 :: v_dual_fmac_f32 v25, 0x80000000, v103
	v_fmac_f32_e32 v27, v53, v103
	v_fmac_f32_e32 v30, v49, v102
	s_waitcnt vmcnt(4)
	v_dual_fmac_f32 v24, v57, v103 :: v_dual_fmac_f32 v29, 0, v104
	v_fmac_f32_e32 v25, v46, v104
	v_dual_fmac_f32 v31, v45, v103 :: v_dual_fmac_f32 v26, v58, v104
	v_dual_fmac_f32 v28, 0x80000000, v103 :: v_dual_fmac_f32 v27, 0, v104
	v_fmac_f32_e32 v30, 0x80000000, v103
	v_dual_fmac_f32 v24, 0, v104 :: v_dual_fmac_f32 v29, v50, v105
	s_delay_alu instid0(VALU_DEP_4) | instskip(NEXT) | instid1(VALU_DEP_4)
	v_fmac_f32_e32 v31, 0, v104
	v_dual_fmac_f32 v28, v54, v104 :: v_dual_fmac_f32 v25, 0x80000000, v105
	s_delay_alu instid0(VALU_DEP_3) | instskip(SKIP_2) | instid1(VALU_DEP_4)
	v_dual_fmac_f32 v26, 0x80000000, v105 :: v_dual_fmac_f32 v29, 0, v106
	v_fmac_f32_e32 v27, v54, v105
	v_fmac_f32_e32 v30, v50, v104
	v_dual_fmac_f32 v24, v58, v105 :: v_dual_fmac_f32 v25, v47, v106
	s_delay_alu instid0(VALU_DEP_4) | instskip(NEXT) | instid1(VALU_DEP_4)
	v_dual_fmac_f32 v31, v46, v105 :: v_dual_fmac_f32 v26, v59, v106
	v_dual_fmac_f32 v28, 0x80000000, v105 :: v_dual_fmac_f32 v27, 0, v106
	s_delay_alu instid0(VALU_DEP_4) | instskip(NEXT) | instid1(VALU_DEP_4)
	v_fmac_f32_e32 v30, 0x80000000, v105
	v_dual_fmac_f32 v24, 0, v106 :: v_dual_fmac_f32 v29, v51, v107
	s_delay_alu instid0(VALU_DEP_4) | instskip(NEXT) | instid1(VALU_DEP_4)
	v_fmac_f32_e32 v31, 0, v106
	v_dual_fmac_f32 v28, v55, v106 :: v_dual_fmac_f32 v25, 0x80000000, v107
	s_waitcnt vmcnt(3)
	s_delay_alu instid0(VALU_DEP_3) | instskip(SKIP_3) | instid1(VALU_DEP_4)
	v_dual_fmac_f32 v26, 0x80000000, v107 :: v_dual_fmac_f32 v29, 0, v108
	v_fmac_f32_e32 v27, v55, v107
	v_fmac_f32_e32 v30, v51, v106
	v_dual_fmac_f32 v24, v59, v107 :: v_dual_fmac_f32 v25, v60, v108
	v_dual_fmac_f32 v31, v47, v107 :: v_dual_fmac_f32 v26, v68, v108
	s_delay_alu instid0(VALU_DEP_4) | instskip(NEXT) | instid1(VALU_DEP_4)
	v_dual_fmac_f32 v28, 0x80000000, v107 :: v_dual_fmac_f32 v27, 0, v108
	v_fmac_f32_e32 v30, 0x80000000, v107
	s_delay_alu instid0(VALU_DEP_4) | instskip(NEXT) | instid1(VALU_DEP_4)
	v_dual_fmac_f32 v24, 0, v108 :: v_dual_fmac_f32 v29, v64, v109
	v_fmac_f32_e32 v31, 0, v108
	s_delay_alu instid0(VALU_DEP_4) | instskip(NEXT) | instid1(VALU_DEP_3)
	v_dual_fmac_f32 v28, v72, v108 :: v_dual_fmac_f32 v25, 0x80000000, v109
	v_dual_fmac_f32 v26, 0x80000000, v109 :: v_dual_fmac_f32 v29, 0, v110
	v_fmac_f32_e32 v27, v72, v109
	v_fmac_f32_e32 v30, v64, v108
	s_delay_alu instid0(VALU_DEP_4) | instskip(NEXT) | instid1(VALU_DEP_4)
	v_dual_fmac_f32 v24, v68, v109 :: v_dual_fmac_f32 v25, v61, v110
	v_dual_fmac_f32 v31, v60, v109 :: v_dual_fmac_f32 v26, v69, v110
	s_delay_alu instid0(VALU_DEP_4) | instskip(NEXT) | instid1(VALU_DEP_4)
	v_dual_fmac_f32 v28, 0x80000000, v109 :: v_dual_fmac_f32 v27, 0, v110
	v_fmac_f32_e32 v30, 0x80000000, v109
	s_delay_alu instid0(VALU_DEP_4) | instskip(NEXT) | instid1(VALU_DEP_4)
	v_dual_fmac_f32 v24, 0, v110 :: v_dual_fmac_f32 v29, v65, v111
	v_fmac_f32_e32 v31, 0, v110
	s_delay_alu instid0(VALU_DEP_4) | instskip(SKIP_1) | instid1(VALU_DEP_3)
	v_dual_fmac_f32 v28, v73, v110 :: v_dual_fmac_f32 v25, 0x80000000, v111
	s_waitcnt vmcnt(2)
	v_dual_fmac_f32 v26, 0x80000000, v111 :: v_dual_fmac_f32 v29, 0, v112
	v_fmac_f32_e32 v27, v73, v111
	v_fmac_f32_e32 v30, v65, v110
	v_dual_fmac_f32 v24, v69, v111 :: v_dual_fmac_f32 v25, v62, v112
	s_delay_alu instid0(VALU_DEP_4) | instskip(NEXT) | instid1(VALU_DEP_4)
	v_dual_fmac_f32 v31, v61, v111 :: v_dual_fmac_f32 v26, v70, v112
	v_dual_fmac_f32 v28, 0x80000000, v111 :: v_dual_fmac_f32 v27, 0, v112
	s_delay_alu instid0(VALU_DEP_4) | instskip(NEXT) | instid1(VALU_DEP_4)
	v_fmac_f32_e32 v30, 0x80000000, v111
	v_dual_fmac_f32 v24, 0, v112 :: v_dual_fmac_f32 v29, v66, v113
	s_delay_alu instid0(VALU_DEP_4) | instskip(NEXT) | instid1(VALU_DEP_4)
	v_fmac_f32_e32 v31, 0, v112
	v_dual_fmac_f32 v28, v74, v112 :: v_dual_fmac_f32 v25, 0x80000000, v113
	s_delay_alu instid0(VALU_DEP_3) | instskip(SKIP_2) | instid1(VALU_DEP_4)
	v_dual_fmac_f32 v26, 0x80000000, v113 :: v_dual_fmac_f32 v29, 0, v114
	v_fmac_f32_e32 v27, v74, v113
	v_fmac_f32_e32 v30, v66, v112
	v_dual_fmac_f32 v24, v70, v113 :: v_dual_fmac_f32 v25, v63, v114
	s_delay_alu instid0(VALU_DEP_4) | instskip(NEXT) | instid1(VALU_DEP_4)
	v_dual_fmac_f32 v31, v62, v113 :: v_dual_fmac_f32 v26, v71, v114
	v_dual_fmac_f32 v28, 0x80000000, v113 :: v_dual_fmac_f32 v27, 0, v114
	s_delay_alu instid0(VALU_DEP_4) | instskip(NEXT) | instid1(VALU_DEP_4)
	v_fmac_f32_e32 v30, 0x80000000, v113
	v_dual_fmac_f32 v24, 0, v114 :: v_dual_fmac_f32 v29, v67, v115
	s_delay_alu instid0(VALU_DEP_4) | instskip(NEXT) | instid1(VALU_DEP_4)
	v_fmac_f32_e32 v31, 0, v114
	v_dual_fmac_f32 v28, v75, v114 :: v_dual_fmac_f32 v25, 0x80000000, v115
	s_waitcnt vmcnt(1)
	s_delay_alu instid0(VALU_DEP_3) | instskip(SKIP_3) | instid1(VALU_DEP_4)
	v_dual_fmac_f32 v26, 0x80000000, v115 :: v_dual_fmac_f32 v29, 0, v116
	v_fmac_f32_e32 v27, v75, v115
	v_fmac_f32_e32 v30, v67, v114
	v_dual_fmac_f32 v24, v71, v115 :: v_dual_fmac_f32 v25, v76, v116
	v_dual_fmac_f32 v31, v63, v115 :: v_dual_fmac_f32 v26, v88, v116
	s_delay_alu instid0(VALU_DEP_4) | instskip(NEXT) | instid1(VALU_DEP_4)
	v_dual_fmac_f32 v28, 0x80000000, v115 :: v_dual_fmac_f32 v27, 0, v116
	v_fmac_f32_e32 v30, 0x80000000, v115
	s_delay_alu instid0(VALU_DEP_4) | instskip(NEXT) | instid1(VALU_DEP_4)
	v_dual_fmac_f32 v24, 0, v116 :: v_dual_fmac_f32 v29, v80, v117
	v_fmac_f32_e32 v31, 0, v116
	s_delay_alu instid0(VALU_DEP_4) | instskip(NEXT) | instid1(VALU_DEP_3)
	v_dual_fmac_f32 v28, v84, v116 :: v_dual_fmac_f32 v25, 0x80000000, v117
	v_dual_fmac_f32 v26, 0x80000000, v117 :: v_dual_fmac_f32 v29, 0, v118
	v_fmac_f32_e32 v27, v84, v117
	v_fmac_f32_e32 v30, v80, v116
	s_delay_alu instid0(VALU_DEP_4) | instskip(NEXT) | instid1(VALU_DEP_4)
	v_dual_fmac_f32 v24, v88, v117 :: v_dual_fmac_f32 v25, v77, v118
	v_dual_fmac_f32 v31, v76, v117 :: v_dual_fmac_f32 v26, v89, v118
	s_delay_alu instid0(VALU_DEP_4) | instskip(NEXT) | instid1(VALU_DEP_4)
	v_dual_fmac_f32 v28, 0x80000000, v117 :: v_dual_fmac_f32 v27, 0, v118
	v_fmac_f32_e32 v30, 0x80000000, v117
	s_delay_alu instid0(VALU_DEP_4) | instskip(NEXT) | instid1(VALU_DEP_4)
	v_dual_fmac_f32 v24, 0, v118 :: v_dual_fmac_f32 v29, v81, v119
	v_fmac_f32_e32 v31, 0, v118
	s_delay_alu instid0(VALU_DEP_4) | instskip(SKIP_1) | instid1(VALU_DEP_3)
	v_dual_fmac_f32 v28, v85, v118 :: v_dual_fmac_f32 v25, 0x80000000, v119
	s_waitcnt vmcnt(0)
	v_dual_fmac_f32 v26, 0x80000000, v119 :: v_dual_fmac_f32 v29, 0, v120
	v_fmac_f32_e32 v27, v85, v119
	v_fmac_f32_e32 v30, v81, v118
	v_dual_fmac_f32 v24, v89, v119 :: v_dual_fmac_f32 v25, v78, v120
	s_delay_alu instid0(VALU_DEP_4) | instskip(NEXT) | instid1(VALU_DEP_4)
	v_dual_fmac_f32 v31, v77, v119 :: v_dual_fmac_f32 v26, v90, v120
	v_dual_fmac_f32 v28, 0x80000000, v119 :: v_dual_fmac_f32 v27, 0, v120
	s_delay_alu instid0(VALU_DEP_4) | instskip(NEXT) | instid1(VALU_DEP_4)
	v_fmac_f32_e32 v30, 0x80000000, v119
	v_dual_fmac_f32 v24, 0, v120 :: v_dual_fmac_f32 v29, v82, v121
	s_delay_alu instid0(VALU_DEP_4) | instskip(NEXT) | instid1(VALU_DEP_4)
	v_fmac_f32_e32 v31, 0, v120
	v_dual_fmac_f32 v28, v86, v120 :: v_dual_fmac_f32 v25, 0x80000000, v121
	s_delay_alu instid0(VALU_DEP_3) | instskip(SKIP_2) | instid1(VALU_DEP_4)
	v_dual_fmac_f32 v26, 0x80000000, v121 :: v_dual_fmac_f32 v29, 0, v122
	v_fmac_f32_e32 v27, v86, v121
	v_fmac_f32_e32 v30, v82, v120
	v_dual_fmac_f32 v24, v90, v121 :: v_dual_fmac_f32 v25, v79, v122
	s_delay_alu instid0(VALU_DEP_4) | instskip(NEXT) | instid1(VALU_DEP_4)
	v_dual_fmac_f32 v31, v78, v121 :: v_dual_fmac_f32 v26, v91, v122
	v_dual_fmac_f32 v28, 0x80000000, v121 :: v_dual_fmac_f32 v27, 0, v122
	s_delay_alu instid0(VALU_DEP_4) | instskip(NEXT) | instid1(VALU_DEP_4)
	v_fmac_f32_e32 v30, 0x80000000, v121
	v_dual_fmac_f32 v24, 0, v122 :: v_dual_fmac_f32 v29, v83, v123
	s_delay_alu instid0(VALU_DEP_4) | instskip(NEXT) | instid1(VALU_DEP_4)
	v_fmac_f32_e32 v31, 0, v122
	v_dual_fmac_f32 v28, v87, v122 :: v_dual_fmac_f32 v25, 0x80000000, v123
	v_fmac_f32_e32 v27, v87, v123
	v_fmac_f32_e32 v30, v83, v122
	;; [unrolled: 1-line block ×7, first 2 shown]
	s_and_not1_b32 exec_lo, exec_lo, s10
	s_cbranch_execnz .LBB128_27
; %bb.28:
	s_or_b32 exec_lo, exec_lo, s10
.LBB128_29:
	s_delay_alu instid0(SALU_CYCLE_1)
	s_or_b32 exec_lo, exec_lo, s7
.LBB128_30:
	s_delay_alu instid0(SALU_CYCLE_1) | instskip(NEXT) | instid1(SALU_CYCLE_1)
	s_or_b32 exec_lo, exec_lo, s6
	s_and_not1_b32 vcc_lo, exec_lo, s3
	s_cbranch_vccz .LBB128_32
	s_branch .LBB128_43
.LBB128_31:
                                        ; implicit-def: $vgpr24
                                        ; implicit-def: $vgpr26
                                        ; implicit-def: $vgpr27
                                        ; implicit-def: $vgpr28
                                        ; implicit-def: $vgpr29
                                        ; implicit-def: $vgpr30
                                        ; implicit-def: $vgpr31
                                        ; implicit-def: $vgpr25
.LBB128_32:
	v_dual_mov_b32 v24, 0 :: v_dual_mov_b32 v27, 0
	v_dual_mov_b32 v26, 0 :: v_dual_mov_b32 v29, 0
	;; [unrolled: 1-line block ×4, first 2 shown]
	s_and_saveexec_b32 s3, s2
	s_cbranch_execz .LBB128_42
; %bb.33:
	v_or_b32_e32 v9, 32, v23
	v_dual_mov_b32 v25, 0 :: v_dual_mov_b32 v28, 0
	v_dual_mov_b32 v31, 0 :: v_dual_mov_b32 v26, 0
	s_delay_alu instid0(VALU_DEP_3) | instskip(NEXT) | instid1(VALU_DEP_1)
	v_sub_co_u32 v9, s2, v9, s12
	v_sub_co_ci_u32_e64 v10, null, 0, 0, s2
	v_sub_co_u32 v11, s2, s12, v23
	s_delay_alu instid0(VALU_DEP_3) | instskip(NEXT) | instid1(VALU_DEP_3)
	v_add_co_u32 v9, vcc_lo, v9, v6
	v_add_co_ci_u32_e32 v10, vcc_lo, v10, v7, vcc_lo
	v_not_b32_e32 v6, v6
	v_not_b32_e32 v7, v7
	v_sub_co_ci_u32_e64 v12, null, 0, 0, s2
	s_delay_alu instid0(VALU_DEP_4)
	v_cmp_gt_i64_e32 vcc_lo, v[9:10], v[2:3]
	v_mov_b32_e32 v29, 0
	v_mov_b32_e32 v27, 0
	s_mov_b32 s6, 0
	s_mov_b32 s2, exec_lo
	v_mov_b32_e32 v30, 0
	v_dual_cndmask_b32 v10, v3, v10 :: v_dual_cndmask_b32 v9, v2, v9
	v_add_co_u32 v6, vcc_lo, v11, v6
	v_add_co_ci_u32_e32 v7, vcc_lo, v12, v7, vcc_lo
	v_mov_b32_e32 v24, 0
	s_delay_alu instid0(VALU_DEP_3) | instskip(NEXT) | instid1(VALU_DEP_3)
	v_add_co_u32 v6, vcc_lo, v6, v9
	v_add_co_ci_u32_e32 v7, vcc_lo, v7, v10, vcc_lo
	s_delay_alu instid0(VALU_DEP_2) | instskip(NEXT) | instid1(VALU_DEP_1)
	v_lshrrev_b32_e32 v9, 5, v6
	v_add_nc_u32_e32 v9, 1, v9
	s_delay_alu instid0(VALU_DEP_1) | instskip(NEXT) | instid1(VALU_DEP_1)
	v_and_b32_e32 v9, 3, v9
	v_cmpx_ne_u32_e32 0, v9
	s_cbranch_execz .LBB128_37
; %bb.34:
	v_lshlrev_b64 v[11:12], 2, v[0:1]
	v_dual_mov_b32 v10, 0 :: v_dual_lshlrev_b32 v9, 2, v9
	s_delay_alu instid0(VALU_DEP_1) | instskip(NEXT) | instid1(VALU_DEP_3)
	v_mov_b32_e32 v24, v10
	v_add_co_u32 v11, vcc_lo, s8, v11
	s_delay_alu instid0(VALU_DEP_4)
	v_add_co_ci_u32_e32 v12, vcc_lo, s9, v12, vcc_lo
	v_mov_b32_e32 v26, v10
	v_mov_b32_e32 v27, v10
	;; [unrolled: 1-line block ×7, first 2 shown]
.LBB128_35:                             ; =>This Inner Loop Header: Depth=1
	global_load_b32 v17, v[11:12], off
	s_clause 0x1
	global_load_b128 v[13:16], v[4:5], off offset:16
	global_load_b128 v[32:35], v[4:5], off
	s_waitcnt vmcnt(2)
	v_subrev_nc_u32_e32 v17, s12, v17
	s_delay_alu instid0(VALU_DEP_1) | instskip(NEXT) | instid1(VALU_DEP_1)
	v_lshlrev_b32_e32 v17, 2, v17
	v_ashrrev_i32_e32 v18, 31, v17
	s_delay_alu instid0(VALU_DEP_1) | instskip(SKIP_1) | instid1(VALU_DEP_1)
	v_lshlrev_b64 v[17:18], 3, v[17:18]
	s_waitcnt lgkmcnt(0)
	v_add_co_u32 v17, vcc_lo, s4, v17
	s_delay_alu instid0(VALU_DEP_2)
	v_add_co_ci_u32_e32 v18, vcc_lo, s5, v18, vcc_lo
	s_clause 0x1
	global_load_b128 v[36:39], v[17:18], off
	global_load_b128 v[40:43], v[17:18], off offset:16
	s_clause 0x1
	global_load_b128 v[44:47], v[4:5], off offset:32
	global_load_b128 v[48:51], v[4:5], off offset:48
	v_add_co_u32 v4, vcc_lo, 0x800, v4
	v_add_co_ci_u32_e32 v5, vcc_lo, 0, v5, vcc_lo
	v_add_co_u32 v0, vcc_lo, v0, 32
	v_add_co_ci_u32_e32 v1, vcc_lo, 0, v1, vcc_lo
	v_add_co_u32 v9, vcc_lo, v9, -4
	v_add_co_ci_u32_e32 v10, vcc_lo, -1, v10, vcc_lo
	v_add_co_u32 v11, vcc_lo, 0x80, v11
	v_add_co_ci_u32_e32 v12, vcc_lo, 0, v12, vcc_lo
	s_delay_alu instid0(VALU_DEP_3) | instskip(SKIP_3) | instid1(VALU_DEP_1)
	v_cmp_eq_u64_e32 vcc_lo, 0, v[9:10]
	s_or_b32 s6, vcc_lo, s6
	s_waitcnt vmcnt(3)
	v_fmac_f32_e32 v26, v32, v36
	v_dual_fmac_f32 v27, 0, v36 :: v_dual_fmac_f32 v26, 0x80000000, v37
	s_delay_alu instid0(VALU_DEP_1) | instskip(NEXT) | instid1(VALU_DEP_2)
	v_dual_fmac_f32 v24, 0, v36 :: v_dual_fmac_f32 v27, v33, v37
	v_dual_fmac_f32 v29, 0, v36 :: v_dual_fmac_f32 v26, v13, v38
	s_delay_alu instid0(VALU_DEP_2) | instskip(NEXT) | instid1(VALU_DEP_2)
	v_fmac_f32_e32 v24, v32, v37
	v_dual_fmac_f32 v28, v33, v36 :: v_dual_fmac_f32 v29, v34, v37
	v_fmac_f32_e32 v25, v35, v36
	s_delay_alu instid0(VALU_DEP_4) | instskip(NEXT) | instid1(VALU_DEP_3)
	v_dual_fmac_f32 v27, 0, v38 :: v_dual_fmac_f32 v26, 0x80000000, v39
	v_fmac_f32_e32 v28, 0x80000000, v37
	s_delay_alu instid0(VALU_DEP_3) | instskip(SKIP_1) | instid1(VALU_DEP_2)
	v_dual_fmac_f32 v30, v34, v36 :: v_dual_fmac_f32 v25, 0x80000000, v37
	v_dual_fmac_f32 v31, 0, v36 :: v_dual_fmac_f32 v24, 0, v38
	;; [unrolled: 1-line block ×3, first 2 shown]
	v_fmac_f32_e32 v29, 0, v38
	s_delay_alu instid0(VALU_DEP_3) | instskip(SKIP_1) | instid1(VALU_DEP_3)
	v_dual_fmac_f32 v31, v35, v37 :: v_dual_fmac_f32 v24, v13, v39
	s_waitcnt vmcnt(2)
	v_dual_fmac_f32 v28, v14, v38 :: v_dual_fmac_f32 v27, 0, v40
	s_delay_alu instid0(VALU_DEP_3) | instskip(SKIP_4) | instid1(VALU_DEP_3)
	v_fmac_f32_e32 v29, v15, v39
	v_fmac_f32_e32 v25, v16, v38
	s_waitcnt vmcnt(1)
	v_fmac_f32_e32 v26, v44, v40
	v_dual_fmac_f32 v28, 0x80000000, v39 :: v_dual_fmac_f32 v27, v45, v41
	v_dual_fmac_f32 v30, v15, v38 :: v_dual_fmac_f32 v25, 0x80000000, v39
	s_delay_alu instid0(VALU_DEP_3) | instskip(SKIP_1) | instid1(VALU_DEP_3)
	v_dual_fmac_f32 v31, 0, v38 :: v_dual_fmac_f32 v26, 0x80000000, v41
	v_fmac_f32_e32 v24, 0, v40
	v_dual_fmac_f32 v30, 0x80000000, v39 :: v_dual_fmac_f32 v29, 0, v40
	s_delay_alu instid0(VALU_DEP_3)
	v_fmac_f32_e32 v31, v16, v39
	s_waitcnt vmcnt(0)
	v_fmac_f32_e32 v26, v48, v42
	v_fmac_f32_e32 v24, v44, v41
	v_dual_fmac_f32 v28, v45, v40 :: v_dual_fmac_f32 v29, v46, v41
	v_fmac_f32_e32 v25, v47, v40
	s_delay_alu instid0(VALU_DEP_4) | instskip(NEXT) | instid1(VALU_DEP_3)
	v_dual_fmac_f32 v27, 0, v42 :: v_dual_fmac_f32 v26, 0x80000000, v43
	v_fmac_f32_e32 v28, 0x80000000, v41
	s_delay_alu instid0(VALU_DEP_3) | instskip(SKIP_1) | instid1(VALU_DEP_2)
	v_dual_fmac_f32 v30, v46, v40 :: v_dual_fmac_f32 v25, 0x80000000, v41
	v_dual_fmac_f32 v31, 0, v40 :: v_dual_fmac_f32 v24, 0, v42
	;; [unrolled: 1-line block ×3, first 2 shown]
	v_fmac_f32_e32 v29, 0, v42
	s_delay_alu instid0(VALU_DEP_3) | instskip(NEXT) | instid1(VALU_DEP_2)
	v_dual_fmac_f32 v31, v47, v41 :: v_dual_fmac_f32 v24, v48, v43
	v_dual_fmac_f32 v28, v49, v42 :: v_dual_fmac_f32 v29, v50, v43
	s_delay_alu instid0(VALU_DEP_1) | instskip(NEXT) | instid1(VALU_DEP_1)
	v_dual_fmac_f32 v25, v51, v42 :: v_dual_fmac_f32 v28, 0x80000000, v43
	v_dual_fmac_f32 v30, v50, v42 :: v_dual_fmac_f32 v25, 0x80000000, v43
	s_delay_alu instid0(VALU_DEP_1) | instskip(NEXT) | instid1(VALU_DEP_1)
	v_dual_fmac_f32 v31, 0, v42 :: v_dual_fmac_f32 v30, 0x80000000, v43
	v_fmac_f32_e32 v31, v51, v43
	s_and_not1_b32 exec_lo, exec_lo, s6
	s_cbranch_execnz .LBB128_35
; %bb.36:
	s_or_b32 exec_lo, exec_lo, s6
.LBB128_37:
	s_delay_alu instid0(SALU_CYCLE_1) | instskip(NEXT) | instid1(SALU_CYCLE_1)
	s_or_b32 exec_lo, exec_lo, s2
	s_mov_b32 s2, exec_lo
	v_cmpx_lt_u64_e32 0x5f, v[6:7]
	s_cbranch_execz .LBB128_41
; %bb.38:
	v_lshlrev_b64 v[6:7], 2, v[0:1]
	s_mov_b32 s6, 0
	s_delay_alu instid0(VALU_DEP_1) | instskip(NEXT) | instid1(VALU_DEP_2)
	v_add_co_u32 v6, vcc_lo, v6, s8
	v_add_co_ci_u32_e32 v7, vcc_lo, s9, v7, vcc_lo
	s_delay_alu instid0(VALU_DEP_2) | instskip(NEXT) | instid1(VALU_DEP_2)
	v_add_co_u32 v6, vcc_lo, 0x100, v6
	v_add_co_ci_u32_e32 v7, vcc_lo, 0, v7, vcc_lo
.LBB128_39:                             ; =>This Inner Loop Header: Depth=1
	s_clause 0x3
	global_load_b32 v9, v[6:7], off offset:-256
	global_load_b32 v18, v[6:7], off offset:-128
	global_load_b32 v80, v[6:7], off
	global_load_b32 v81, v[6:7], off offset:128
	s_clause 0x3
	global_load_b128 v[10:13], v[4:5], off offset:48
	global_load_b128 v[14:17], v[4:5], off offset:32
	;; [unrolled: 1-line block ×3, first 2 shown]
	global_load_b128 v[36:39], v[4:5], off
	v_add_co_u32 v116, vcc_lo, 0x1000, v4
	v_add_co_ci_u32_e32 v117, vcc_lo, 0, v5, vcc_lo
	s_clause 0x9
	global_load_b128 v[40:43], v[4:5], off offset:2096
	global_load_b128 v[44:47], v[4:5], off offset:2080
	;; [unrolled: 1-line block ×6, first 2 shown]
	global_load_b128 v[64:67], v[116:117], off
	global_load_b128 v[68:71], v[116:117], off offset:16
	global_load_b128 v[72:75], v[116:117], off offset:2064
	;; [unrolled: 1-line block ×3, first 2 shown]
	s_waitcnt vmcnt(17)
	v_subrev_nc_u32_e32 v9, s12, v9
	s_waitcnt vmcnt(16)
	v_subrev_nc_u32_e32 v18, s12, v18
	;; [unrolled: 2-line block ×4, first 2 shown]
	v_lshlrev_b32_e32 v80, 2, v9
	v_lshlrev_b32_e32 v82, 2, v18
	;; [unrolled: 1-line block ×3, first 2 shown]
	s_delay_alu instid0(VALU_DEP_4) | instskip(NEXT) | instid1(VALU_DEP_4)
	v_lshlrev_b32_e32 v86, 2, v81
	v_ashrrev_i32_e32 v81, 31, v80
	s_delay_alu instid0(VALU_DEP_4) | instskip(NEXT) | instid1(VALU_DEP_4)
	v_ashrrev_i32_e32 v83, 31, v82
	v_ashrrev_i32_e32 v85, 31, v84
	s_delay_alu instid0(VALU_DEP_4) | instskip(NEXT) | instid1(VALU_DEP_4)
	v_ashrrev_i32_e32 v87, 31, v86
	v_lshlrev_b64 v[80:81], 3, v[80:81]
	s_delay_alu instid0(VALU_DEP_4) | instskip(NEXT) | instid1(VALU_DEP_4)
	v_lshlrev_b64 v[82:83], 3, v[82:83]
	v_lshlrev_b64 v[84:85], 3, v[84:85]
	s_delay_alu instid0(VALU_DEP_4) | instskip(SKIP_1) | instid1(VALU_DEP_4)
	v_lshlrev_b64 v[86:87], 3, v[86:87]
	s_waitcnt lgkmcnt(0)
	v_add_co_u32 v88, vcc_lo, s4, v80
	v_add_co_ci_u32_e32 v89, vcc_lo, s5, v81, vcc_lo
	v_add_co_u32 v92, vcc_lo, s4, v82
	v_add_co_ci_u32_e32 v93, vcc_lo, s5, v83, vcc_lo
	;; [unrolled: 2-line block ×4, first 2 shown]
	s_clause 0x6
	global_load_b128 v[80:83], v[88:89], off
	global_load_b128 v[84:87], v[88:89], off offset:16
	global_load_b128 v[88:91], v[92:93], off
	global_load_b128 v[92:95], v[92:93], off offset:16
	global_load_b128 v[96:99], v[100:101], off
	global_load_b128 v[100:103], v[100:101], off offset:16
	global_load_b128 v[104:107], v[112:113], off
	global_load_b128 v[108:111], v[116:117], off offset:2080
	global_load_b128 v[112:115], v[112:113], off offset:16
	global_load_b128 v[116:119], v[116:117], off offset:2096
	v_add_co_u32 v0, vcc_lo, 0x80, v0
	v_add_co_ci_u32_e32 v1, vcc_lo, 0, v1, vcc_lo
	v_add_co_u32 v6, vcc_lo, 0x200, v6
	v_add_co_ci_u32_e32 v7, vcc_lo, 0, v7, vcc_lo
	;; [unrolled: 2-line block ×3, first 2 shown]
	v_cmp_ge_i64_e32 vcc_lo, v[0:1], v[2:3]
	s_or_b32 s6, vcc_lo, s6
	s_waitcnt vmcnt(9)
	v_fmac_f32_e32 v31, 0, v80
	v_fmac_f32_e32 v29, 0, v80
	;; [unrolled: 1-line block ×5, first 2 shown]
	v_dual_fmac_f32 v31, v39, v81 :: v_dual_fmac_f32 v26, v36, v80
	v_fmac_f32_e32 v29, v38, v81
	v_dual_fmac_f32 v25, v39, v80 :: v_dual_fmac_f32 v24, v36, v81
	s_delay_alu instid0(VALU_DEP_4) | instskip(NEXT) | instid1(VALU_DEP_3)
	v_dual_fmac_f32 v30, v38, v80 :: v_dual_fmac_f32 v27, v37, v81
	v_dual_fmac_f32 v26, 0x80000000, v81 :: v_dual_fmac_f32 v29, 0, v82
	;; [unrolled: 1-line block ×3, first 2 shown]
	s_delay_alu instid0(VALU_DEP_4) | instskip(NEXT) | instid1(VALU_DEP_4)
	v_fmac_f32_e32 v25, 0x80000000, v81
	v_fmac_f32_e32 v30, 0x80000000, v81
	s_delay_alu instid0(VALU_DEP_4) | instskip(NEXT) | instid1(VALU_DEP_4)
	v_dual_fmac_f32 v24, 0, v82 :: v_dual_fmac_f32 v29, v34, v83
	v_dual_fmac_f32 v28, v33, v82 :: v_dual_fmac_f32 v31, v35, v83
	v_fmac_f32_e32 v27, 0, v82
	v_fmac_f32_e32 v26, v32, v82
	;; [unrolled: 1-line block ×4, first 2 shown]
	s_waitcnt vmcnt(8)
	v_dual_fmac_f32 v28, 0x80000000, v83 :: v_dual_fmac_f32 v31, 0, v84
	v_fmac_f32_e32 v27, v33, v83
	v_fmac_f32_e32 v24, v32, v83
	v_dual_fmac_f32 v26, 0x80000000, v83 :: v_dual_fmac_f32 v29, 0, v84
	v_fmac_f32_e32 v25, 0x80000000, v83
	v_fmac_f32_e32 v30, 0x80000000, v83
	;; [unrolled: 3-line block ×3, first 2 shown]
	v_dual_fmac_f32 v24, 0, v84 :: v_dual_fmac_f32 v29, v16, v85
	v_fmac_f32_e32 v25, v17, v84
	s_delay_alu instid0(VALU_DEP_4) | instskip(NEXT) | instid1(VALU_DEP_3)
	v_dual_fmac_f32 v30, v16, v84 :: v_dual_fmac_f32 v27, v15, v85
	v_fmac_f32_e32 v24, v14, v85
	s_delay_alu instid0(VALU_DEP_4) | instskip(SKIP_3) | instid1(VALU_DEP_4)
	v_dual_fmac_f32 v26, 0x80000000, v85 :: v_dual_fmac_f32 v29, 0, v86
	v_dual_fmac_f32 v28, 0x80000000, v85 :: v_dual_fmac_f32 v31, 0, v86
	v_fmac_f32_e32 v25, 0x80000000, v85
	v_dual_fmac_f32 v30, 0x80000000, v85 :: v_dual_fmac_f32 v27, 0, v86
	v_fmac_f32_e32 v26, v10, v86
	v_dual_fmac_f32 v24, 0, v86 :: v_dual_fmac_f32 v29, v12, v87
	v_dual_fmac_f32 v28, v11, v86 :: v_dual_fmac_f32 v31, v13, v87
	v_fmac_f32_e32 v25, v13, v86
	v_dual_fmac_f32 v30, v12, v86 :: v_dual_fmac_f32 v27, v11, v87
	s_delay_alu instid0(VALU_DEP_4)
	v_fmac_f32_e32 v24, v10, v87
	s_waitcnt vmcnt(7)
	v_dual_fmac_f32 v26, 0x80000000, v87 :: v_dual_fmac_f32 v29, 0, v88
	v_fmac_f32_e32 v25, 0x80000000, v87
	v_fmac_f32_e32 v28, 0x80000000, v87
	v_dual_fmac_f32 v30, 0x80000000, v87 :: v_dual_fmac_f32 v31, 0, v88
	v_fmac_f32_e32 v27, 0, v88
	v_fmac_f32_e32 v26, v52, v88
	v_dual_fmac_f32 v24, 0, v88 :: v_dual_fmac_f32 v29, v54, v89
	s_delay_alu instid0(VALU_DEP_4) | instskip(SKIP_2) | instid1(VALU_DEP_4)
	v_dual_fmac_f32 v30, v54, v88 :: v_dual_fmac_f32 v31, v55, v89
	v_fmac_f32_e32 v25, v55, v88
	v_fmac_f32_e32 v28, v53, v88
	v_dual_fmac_f32 v24, v52, v89 :: v_dual_fmac_f32 v29, 0, v90
	v_fmac_f32_e32 v27, v53, v89
	v_fmac_f32_e32 v26, 0x80000000, v89
	v_dual_fmac_f32 v30, 0x80000000, v89 :: v_dual_fmac_f32 v31, 0, v90
	v_fmac_f32_e32 v25, 0x80000000, v89
	v_fmac_f32_e32 v28, 0x80000000, v89
	v_dual_fmac_f32 v24, 0, v90 :: v_dual_fmac_f32 v29, v50, v91
	v_fmac_f32_e32 v27, 0, v90
	v_fmac_f32_e32 v26, v48, v90
	v_dual_fmac_f32 v30, v50, v90 :: v_dual_fmac_f32 v31, v51, v91
	v_fmac_f32_e32 v25, v51, v90
	v_fmac_f32_e32 v28, v49, v90
	s_waitcnt vmcnt(6)
	v_dual_fmac_f32 v24, v48, v91 :: v_dual_fmac_f32 v29, 0, v92
	v_fmac_f32_e32 v27, v49, v91
	v_fmac_f32_e32 v26, 0x80000000, v91
	v_dual_fmac_f32 v30, 0x80000000, v91 :: v_dual_fmac_f32 v31, 0, v92
	v_fmac_f32_e32 v25, 0x80000000, v91
	v_fmac_f32_e32 v28, 0x80000000, v91
	v_dual_fmac_f32 v24, 0, v92 :: v_dual_fmac_f32 v29, v46, v93
	v_fmac_f32_e32 v27, 0, v92
	v_fmac_f32_e32 v26, v44, v92
	v_dual_fmac_f32 v30, v46, v92 :: v_dual_fmac_f32 v31, v47, v93
	v_fmac_f32_e32 v25, v47, v92
	v_fmac_f32_e32 v28, v45, v92
	v_dual_fmac_f32 v24, v44, v93 :: v_dual_fmac_f32 v29, 0, v94
	v_fmac_f32_e32 v27, v45, v93
	v_fmac_f32_e32 v26, 0x80000000, v93
	v_dual_fmac_f32 v30, 0x80000000, v93 :: v_dual_fmac_f32 v31, 0, v94
	v_fmac_f32_e32 v25, 0x80000000, v93
	v_fmac_f32_e32 v28, 0x80000000, v93
	v_dual_fmac_f32 v24, 0, v94 :: v_dual_fmac_f32 v29, v42, v95
	v_fmac_f32_e32 v27, 0, v94
	v_fmac_f32_e32 v26, v40, v94
	v_dual_fmac_f32 v30, v42, v94 :: v_dual_fmac_f32 v31, v43, v95
	v_fmac_f32_e32 v25, v43, v94
	v_fmac_f32_e32 v28, v41, v94
	s_waitcnt vmcnt(5)
	v_dual_fmac_f32 v24, v40, v95 :: v_dual_fmac_f32 v29, 0, v96
	v_fmac_f32_e32 v27, v41, v95
	v_fmac_f32_e32 v26, 0x80000000, v95
	v_dual_fmac_f32 v30, 0x80000000, v95 :: v_dual_fmac_f32 v31, 0, v96
	v_fmac_f32_e32 v25, 0x80000000, v95
	v_fmac_f32_e32 v28, 0x80000000, v95
	v_dual_fmac_f32 v24, 0, v96 :: v_dual_fmac_f32 v29, v66, v97
	v_fmac_f32_e32 v27, 0, v96
	v_fmac_f32_e32 v26, v64, v96
	;; [unrolled: 25-line block ×5, first 2 shown]
	v_dual_fmac_f32 v30, v110, v112 :: v_dual_fmac_f32 v31, v111, v113
	v_fmac_f32_e32 v25, v111, v112
	v_fmac_f32_e32 v28, v109, v112
	v_dual_fmac_f32 v24, v108, v113 :: v_dual_fmac_f32 v29, 0, v114
	v_fmac_f32_e32 v27, v109, v113
	v_fmac_f32_e32 v26, 0x80000000, v113
	;; [unrolled: 3-line block ×3, first 2 shown]
	s_waitcnt vmcnt(0)
	v_dual_fmac_f32 v24, 0, v114 :: v_dual_fmac_f32 v29, v118, v115
	v_fmac_f32_e32 v27, 0, v114
	v_fmac_f32_e32 v26, v116, v114
	v_dual_fmac_f32 v30, v118, v114 :: v_dual_fmac_f32 v31, v119, v115
	v_fmac_f32_e32 v25, v119, v114
	v_fmac_f32_e32 v28, v117, v114
	;; [unrolled: 1-line block ×8, first 2 shown]
	s_and_not1_b32 exec_lo, exec_lo, s6
	s_cbranch_execnz .LBB128_39
; %bb.40:
	s_or_b32 exec_lo, exec_lo, s6
.LBB128_41:
	s_delay_alu instid0(SALU_CYCLE_1)
	s_or_b32 exec_lo, exec_lo, s2
.LBB128_42:
	s_delay_alu instid0(SALU_CYCLE_1)
	s_or_b32 exec_lo, exec_lo, s3
.LBB128_43:
	v_mbcnt_lo_u32_b32 v0, -1, 0
	s_delay_alu instid0(VALU_DEP_1) | instskip(SKIP_2) | instid1(VALU_DEP_3)
	v_xor_b32_e32 v1, 16, v0
	v_xor_b32_e32 v10, 8, v0
	;; [unrolled: 1-line block ×3, first 2 shown]
	v_cmp_gt_i32_e32 vcc_lo, 32, v1
	v_cndmask_b32_e32 v1, v0, v1, vcc_lo
	s_delay_alu instid0(VALU_DEP_4) | instskip(SKIP_2) | instid1(VALU_DEP_2)
	v_cmp_gt_i32_e32 vcc_lo, 32, v10
	v_cndmask_b32_e32 v10, v0, v10, vcc_lo
	v_cmp_gt_i32_e32 vcc_lo, 32, v18
	v_lshlrev_b32_e32 v10, 2, v10
	v_dual_cndmask_b32 v18, v0, v18 :: v_dual_lshlrev_b32 v1, 2, v1
	ds_bpermute_b32 v2, v1, v26
	v_lshlrev_b32_e32 v18, 2, v18
	s_waitcnt lgkmcnt(0)
	v_add_f32_e32 v2, v26, v2
	ds_bpermute_b32 v4, v1, v28
	ds_bpermute_b32 v3, v1, v24
	;; [unrolled: 1-line block ×8, first 2 shown]
	s_waitcnt lgkmcnt(7)
	v_add_f32_e32 v4, v28, v4
	s_waitcnt lgkmcnt(6)
	v_add_f32_e32 v3, v24, v3
	;; [unrolled: 2-line block ×3, first 2 shown]
	s_waitcnt lgkmcnt(3)
	v_dual_add_f32 v7, v29, v7 :: v_dual_add_f32 v6, v30, v6
	ds_bpermute_b32 v13, v10, v4
	ds_bpermute_b32 v12, v10, v3
	ds_bpermute_b32 v14, v10, v5
	s_waitcnt lgkmcnt(5)
	v_add_f32_e32 v9, v25, v9
	s_waitcnt lgkmcnt(4)
	v_add_f32_e32 v1, v31, v1
	ds_bpermute_b32 v15, v10, v6
	ds_bpermute_b32 v16, v10, v7
	s_waitcnt lgkmcnt(5)
	v_add_f32_e32 v2, v2, v11
	ds_bpermute_b32 v17, v10, v9
	ds_bpermute_b32 v10, v10, v1
	s_waitcnt lgkmcnt(5)
	v_dual_add_f32 v4, v4, v13 :: v_dual_add_f32 v3, v3, v12
	s_waitcnt lgkmcnt(4)
	v_add_f32_e32 v5, v5, v14
	ds_bpermute_b32 v12, v18, v4
	s_waitcnt lgkmcnt(3)
	v_dual_add_f32 v6, v6, v15 :: v_dual_add_f32 v7, v7, v16
	s_waitcnt lgkmcnt(2)
	v_add_f32_e32 v9, v9, v17
	s_waitcnt lgkmcnt(1)
	v_add_f32_e32 v1, v1, v10
	ds_bpermute_b32 v11, v18, v3
	ds_bpermute_b32 v10, v18, v2
	;; [unrolled: 1-line block ×6, first 2 shown]
	s_waitcnt lgkmcnt(6)
	v_add_f32_e32 v4, v4, v12
	ds_bpermute_b32 v17, v18, v1
	v_xor_b32_e32 v18, 2, v0
	s_waitcnt lgkmcnt(5)
	v_dual_add_f32 v3, v3, v11 :: v_dual_add_f32 v2, v2, v10
	s_waitcnt lgkmcnt(4)
	v_add_f32_e32 v5, v5, v13
	v_cmp_gt_i32_e32 vcc_lo, 32, v18
	s_waitcnt lgkmcnt(2)
	v_dual_add_f32 v6, v6, v14 :: v_dual_add_f32 v7, v7, v15
	s_waitcnt lgkmcnt(1)
	v_dual_cndmask_b32 v18, v0, v18 :: v_dual_add_f32 v9, v9, v16
	s_delay_alu instid0(VALU_DEP_1)
	v_lshlrev_b32_e32 v18, 2, v18
	ds_bpermute_b32 v11, v18, v3
	s_waitcnt lgkmcnt(1)
	v_add_f32_e32 v10, v1, v17
	ds_bpermute_b32 v1, v18, v2
	ds_bpermute_b32 v12, v18, v4
	;; [unrolled: 1-line block ×7, first 2 shown]
	v_xor_b32_e32 v18, 1, v0
	s_delay_alu instid0(VALU_DEP_1) | instskip(SKIP_2) | instid1(VALU_DEP_2)
	v_cmp_gt_i32_e32 vcc_lo, 32, v18
	v_cndmask_b32_e32 v0, v0, v18, vcc_lo
	v_cmp_eq_u32_e32 vcc_lo, 31, v23
	v_lshlrev_b32_e32 v18, 2, v0
	s_waitcnt lgkmcnt(6)
	v_dual_add_f32 v0, v2, v1 :: v_dual_add_f32 v1, v3, v11
	s_waitcnt lgkmcnt(4)
	v_dual_add_f32 v2, v4, v12 :: v_dual_add_f32 v3, v5, v13
	;; [unrolled: 2-line block ×4, first 2 shown]
	ds_bpermute_b32 v9, v18, v0
	ds_bpermute_b32 v10, v18, v1
	ds_bpermute_b32 v11, v18, v2
	ds_bpermute_b32 v12, v18, v3
	ds_bpermute_b32 v13, v18, v4
	ds_bpermute_b32 v14, v18, v5
	ds_bpermute_b32 v15, v18, v6
	ds_bpermute_b32 v16, v18, v7
	s_and_b32 exec_lo, exec_lo, vcc_lo
	s_cbranch_execz .LBB128_13
; %bb.44:
	s_load_b64 s[2:3], s[0:1], 0x50
	s_waitcnt lgkmcnt(0)
	v_dual_add_f32 v9, v0, v9 :: v_dual_add_f32 v0, v1, v10
	v_dual_add_f32 v10, v2, v11 :: v_dual_add_f32 v1, v3, v12
	;; [unrolled: 1-line block ×4, first 2 shown]
	s_delay_alu instid0(VALU_DEP_4)
	v_mul_f32_e64 v4, v0, -v22
	v_dual_mul_f32 v5, v0, v21 :: v_dual_lshlrev_b32 v8, 2, v8
	v_mul_f32_e64 v6, v1, -v22
	v_mul_f32_e32 v7, v1, v21
	v_mul_f32_e64 v0, v2, -v22
	v_mul_f32_e32 v1, v2, v21
	v_mul_f32_e64 v2, v3, -v22
	v_dual_fmac_f32 v6, v21, v10 :: v_dual_mul_f32 v3, v3, v21
	s_delay_alu instid0(VALU_DEP_4)
	v_fmac_f32_e32 v0, v21, v11
	v_cmp_eq_f32_e32 vcc_lo, 0, v19
	v_cmp_eq_f32_e64 s0, 0, v20
	v_dual_fmac_f32 v4, v21, v9 :: v_dual_fmac_f32 v7, v22, v10
	v_dual_fmac_f32 v5, v22, v9 :: v_dual_fmac_f32 v2, v21, v12
	v_fmac_f32_e32 v1, v22, v11
	v_fmac_f32_e32 v3, v22, v12
	s_and_b32 s0, vcc_lo, s0
	s_delay_alu instid0(SALU_CYCLE_1) | instskip(NEXT) | instid1(SALU_CYCLE_1)
	s_and_saveexec_b32 s1, s0
	s_xor_b32 s0, exec_lo, s1
; %bb.45:
	v_ashrrev_i32_e32 v9, 31, v8
                                        ; implicit-def: $vgpr19
                                        ; implicit-def: $vgpr20
	s_delay_alu instid0(VALU_DEP_1) | instskip(NEXT) | instid1(VALU_DEP_1)
	v_lshlrev_b64 v[8:9], 3, v[8:9]
	v_add_co_u32 v8, vcc_lo, s2, v8
	s_delay_alu instid0(VALU_DEP_2)
	v_add_co_ci_u32_e32 v9, vcc_lo, s3, v9, vcc_lo
	s_clause 0x1
	global_store_b128 v[8:9], v[4:7], off
	global_store_b128 v[8:9], v[0:3], off offset:16
                                        ; implicit-def: $vgpr4
                                        ; implicit-def: $vgpr8
                                        ; implicit-def: $vgpr0
; %bb.46:
	s_and_not1_saveexec_b32 s0, s0
	s_cbranch_execz .LBB128_13
; %bb.47:
	v_ashrrev_i32_e32 v9, 31, v8
	s_delay_alu instid0(VALU_DEP_1) | instskip(NEXT) | instid1(VALU_DEP_1)
	v_lshlrev_b64 v[8:9], 3, v[8:9]
	v_add_co_u32 v16, vcc_lo, s2, v8
	s_delay_alu instid0(VALU_DEP_2)
	v_add_co_ci_u32_e32 v17, vcc_lo, s3, v9, vcc_lo
	s_clause 0x1
	global_load_b128 v[8:11], v[16:17], off
	global_load_b128 v[12:15], v[16:17], off offset:16
	s_waitcnt vmcnt(1)
	v_dual_fmac_f32 v4, v19, v8 :: v_dual_fmac_f32 v7, v20, v10
	v_dual_fmac_f32 v5, v20, v8 :: v_dual_fmac_f32 v6, v19, v10
	s_waitcnt vmcnt(0)
	v_dual_fmac_f32 v0, v19, v12 :: v_dual_fmac_f32 v3, v20, v14
	v_dual_fmac_f32 v1, v20, v12 :: v_dual_fmac_f32 v2, v19, v14
	v_fma_f32 v4, -v20, v9, v4
	v_fmac_f32_e32 v5, v19, v9
	v_fma_f32 v6, -v20, v11, v6
	v_fmac_f32_e32 v7, v19, v11
	;; [unrolled: 2-line block ×4, first 2 shown]
	s_clause 0x1
	global_store_b128 v[16:17], v[4:7], off
	global_store_b128 v[16:17], v[0:3], off offset:16
	s_nop 0
	s_sendmsg sendmsg(MSG_DEALLOC_VGPRS)
	s_endpgm
	.section	.rodata,"a",@progbits
	.p2align	6, 0x0
	.amdhsa_kernel _ZN9rocsparseL18bsrxmvn_4x4_kernelILj128ELj32E21rocsparse_complex_numIfElifS2_S2_EEvT3_20rocsparse_direction_NS_24const_host_device_scalarIT1_EES3_PKS3_PKT2_SC_S9_PKT4_PKT5_S7_PT6_21rocsparse_index_base_b
		.amdhsa_group_segment_fixed_size 0
		.amdhsa_private_segment_fixed_size 0
		.amdhsa_kernarg_size 96
		.amdhsa_user_sgpr_count 15
		.amdhsa_user_sgpr_dispatch_ptr 0
		.amdhsa_user_sgpr_queue_ptr 0
		.amdhsa_user_sgpr_kernarg_segment_ptr 1
		.amdhsa_user_sgpr_dispatch_id 0
		.amdhsa_user_sgpr_private_segment_size 0
		.amdhsa_wavefront_size32 1
		.amdhsa_uses_dynamic_stack 0
		.amdhsa_enable_private_segment 0
		.amdhsa_system_sgpr_workgroup_id_x 1
		.amdhsa_system_sgpr_workgroup_id_y 0
		.amdhsa_system_sgpr_workgroup_id_z 0
		.amdhsa_system_sgpr_workgroup_info 0
		.amdhsa_system_vgpr_workitem_id 0
		.amdhsa_next_free_vgpr 124
		.amdhsa_next_free_sgpr 16
		.amdhsa_reserve_vcc 1
		.amdhsa_float_round_mode_32 0
		.amdhsa_float_round_mode_16_64 0
		.amdhsa_float_denorm_mode_32 3
		.amdhsa_float_denorm_mode_16_64 3
		.amdhsa_dx10_clamp 1
		.amdhsa_ieee_mode 1
		.amdhsa_fp16_overflow 0
		.amdhsa_workgroup_processor_mode 1
		.amdhsa_memory_ordered 1
		.amdhsa_forward_progress 0
		.amdhsa_shared_vgpr_count 0
		.amdhsa_exception_fp_ieee_invalid_op 0
		.amdhsa_exception_fp_denorm_src 0
		.amdhsa_exception_fp_ieee_div_zero 0
		.amdhsa_exception_fp_ieee_overflow 0
		.amdhsa_exception_fp_ieee_underflow 0
		.amdhsa_exception_fp_ieee_inexact 0
		.amdhsa_exception_int_div_zero 0
	.end_amdhsa_kernel
	.section	.text._ZN9rocsparseL18bsrxmvn_4x4_kernelILj128ELj32E21rocsparse_complex_numIfElifS2_S2_EEvT3_20rocsparse_direction_NS_24const_host_device_scalarIT1_EES3_PKS3_PKT2_SC_S9_PKT4_PKT5_S7_PT6_21rocsparse_index_base_b,"axG",@progbits,_ZN9rocsparseL18bsrxmvn_4x4_kernelILj128ELj32E21rocsparse_complex_numIfElifS2_S2_EEvT3_20rocsparse_direction_NS_24const_host_device_scalarIT1_EES3_PKS3_PKT2_SC_S9_PKT4_PKT5_S7_PT6_21rocsparse_index_base_b,comdat
.Lfunc_end128:
	.size	_ZN9rocsparseL18bsrxmvn_4x4_kernelILj128ELj32E21rocsparse_complex_numIfElifS2_S2_EEvT3_20rocsparse_direction_NS_24const_host_device_scalarIT1_EES3_PKS3_PKT2_SC_S9_PKT4_PKT5_S7_PT6_21rocsparse_index_base_b, .Lfunc_end128-_ZN9rocsparseL18bsrxmvn_4x4_kernelILj128ELj32E21rocsparse_complex_numIfElifS2_S2_EEvT3_20rocsparse_direction_NS_24const_host_device_scalarIT1_EES3_PKS3_PKT2_SC_S9_PKT4_PKT5_S7_PT6_21rocsparse_index_base_b
                                        ; -- End function
	.section	.AMDGPU.csdata,"",@progbits
; Kernel info:
; codeLenInByte = 7532
; NumSgprs: 18
; NumVgprs: 124
; ScratchSize: 0
; MemoryBound: 0
; FloatMode: 240
; IeeeMode: 1
; LDSByteSize: 0 bytes/workgroup (compile time only)
; SGPRBlocks: 2
; VGPRBlocks: 15
; NumSGPRsForWavesPerEU: 18
; NumVGPRsForWavesPerEU: 124
; Occupancy: 10
; WaveLimiterHint : 1
; COMPUTE_PGM_RSRC2:SCRATCH_EN: 0
; COMPUTE_PGM_RSRC2:USER_SGPR: 15
; COMPUTE_PGM_RSRC2:TRAP_HANDLER: 0
; COMPUTE_PGM_RSRC2:TGID_X_EN: 1
; COMPUTE_PGM_RSRC2:TGID_Y_EN: 0
; COMPUTE_PGM_RSRC2:TGID_Z_EN: 0
; COMPUTE_PGM_RSRC2:TIDIG_COMP_CNT: 0
	.section	.text._ZN9rocsparseL18bsrxmvn_4x4_kernelILj128ELj64E21rocsparse_complex_numIfElifS2_S2_EEvT3_20rocsparse_direction_NS_24const_host_device_scalarIT1_EES3_PKS3_PKT2_SC_S9_PKT4_PKT5_S7_PT6_21rocsparse_index_base_b,"axG",@progbits,_ZN9rocsparseL18bsrxmvn_4x4_kernelILj128ELj64E21rocsparse_complex_numIfElifS2_S2_EEvT3_20rocsparse_direction_NS_24const_host_device_scalarIT1_EES3_PKS3_PKT2_SC_S9_PKT4_PKT5_S7_PT6_21rocsparse_index_base_b,comdat
	.globl	_ZN9rocsparseL18bsrxmvn_4x4_kernelILj128ELj64E21rocsparse_complex_numIfElifS2_S2_EEvT3_20rocsparse_direction_NS_24const_host_device_scalarIT1_EES3_PKS3_PKT2_SC_S9_PKT4_PKT5_S7_PT6_21rocsparse_index_base_b ; -- Begin function _ZN9rocsparseL18bsrxmvn_4x4_kernelILj128ELj64E21rocsparse_complex_numIfElifS2_S2_EEvT3_20rocsparse_direction_NS_24const_host_device_scalarIT1_EES3_PKS3_PKT2_SC_S9_PKT4_PKT5_S7_PT6_21rocsparse_index_base_b
	.p2align	8
	.type	_ZN9rocsparseL18bsrxmvn_4x4_kernelILj128ELj64E21rocsparse_complex_numIfElifS2_S2_EEvT3_20rocsparse_direction_NS_24const_host_device_scalarIT1_EES3_PKS3_PKT2_SC_S9_PKT4_PKT5_S7_PT6_21rocsparse_index_base_b,@function
_ZN9rocsparseL18bsrxmvn_4x4_kernelILj128ELj64E21rocsparse_complex_numIfElifS2_S2_EEvT3_20rocsparse_direction_NS_24const_host_device_scalarIT1_EES3_PKS3_PKT2_SC_S9_PKT4_PKT5_S7_PT6_21rocsparse_index_base_b: ; @_ZN9rocsparseL18bsrxmvn_4x4_kernelILj128ELj64E21rocsparse_complex_numIfElifS2_S2_EEvT3_20rocsparse_direction_NS_24const_host_device_scalarIT1_EES3_PKS3_PKT2_SC_S9_PKT4_PKT5_S7_PT6_21rocsparse_index_base_b
; %bb.0:
	s_clause 0x2
	s_load_b64 s[12:13], s[0:1], 0x58
	s_load_b64 s[4:5], s[0:1], 0x8
	;; [unrolled: 1-line block ×3, first 2 shown]
	s_waitcnt lgkmcnt(0)
	s_bitcmp1_b32 s13, 0
	v_mov_b32_e32 v21, s4
	s_cselect_b32 s6, -1, 0
	s_delay_alu instid0(SALU_CYCLE_1)
	s_and_b32 vcc_lo, exec_lo, s6
	s_xor_b32 s6, s6, -1
	s_cbranch_vccz .LBB129_14
; %bb.1:
	v_cndmask_b32_e64 v1, 0, 1, s6
	v_mov_b32_e32 v22, s5
	s_and_not1_b32 vcc_lo, exec_lo, s6
	s_cbranch_vccz .LBB129_15
.LBB129_2:
	s_delay_alu instid0(VALU_DEP_2)
	v_cmp_ne_u32_e32 vcc_lo, 1, v1
	v_mov_b32_e32 v19, s2
	s_cbranch_vccz .LBB129_16
.LBB129_3:
	v_cmp_ne_u32_e32 vcc_lo, 1, v1
	v_mov_b32_e32 v20, s3
	s_cbranch_vccnz .LBB129_5
.LBB129_4:
	v_dual_mov_b32 v1, s2 :: v_dual_mov_b32 v2, s3
	flat_load_b32 v20, v[1:2] offset:4
.LBB129_5:
	s_waitcnt vmcnt(0) lgkmcnt(0)
	v_cmp_eq_f32_e32 vcc_lo, 0, v21
	v_cmp_eq_f32_e64 s2, 0, v22
	s_delay_alu instid0(VALU_DEP_1)
	s_and_b32 s4, vcc_lo, s2
	s_mov_b32 s2, -1
	s_and_saveexec_b32 s3, s4
; %bb.6:
	v_cmp_neq_f32_e32 vcc_lo, 1.0, v19
	v_cmp_neq_f32_e64 s2, 0, v20
	s_delay_alu instid0(VALU_DEP_1) | instskip(NEXT) | instid1(SALU_CYCLE_1)
	s_or_b32 s2, vcc_lo, s2
	s_or_not1_b32 s2, s2, exec_lo
; %bb.7:
	s_or_b32 exec_lo, exec_lo, s3
	s_and_saveexec_b32 s3, s2
	s_cbranch_execz .LBB129_13
; %bb.8:
	s_clause 0x1
	s_load_b64 s[4:5], s[0:1], 0x18
	s_load_b64 s[2:3], s[0:1], 0x0
	v_lshrrev_b32_e32 v1, 6, v0
	s_delay_alu instid0(VALU_DEP_1)
	v_lshl_or_b32 v8, s15, 1, v1
	s_waitcnt lgkmcnt(0)
	s_cmp_lg_u64 s[4:5], 0
	s_cbranch_scc0 .LBB129_17
; %bb.9:
	s_load_b32 s6, s[0:1], 0x10
	s_mov_b32 s7, 0
                                        ; implicit-def: $vgpr1
	s_waitcnt lgkmcnt(0)
	v_cmp_gt_i32_e32 vcc_lo, s6, v8
	s_mov_b32 s6, 0
	s_and_saveexec_b32 s8, vcc_lo
	s_delay_alu instid0(SALU_CYCLE_1)
	s_xor_b32 s8, exec_lo, s8
	s_cbranch_execz .LBB129_11
; %bb.10:
	v_ashrrev_i32_e32 v9, 31, v8
	s_mov_b32 s6, exec_lo
	s_delay_alu instid0(VALU_DEP_1) | instskip(NEXT) | instid1(VALU_DEP_1)
	v_lshlrev_b64 v[1:2], 2, v[8:9]
	v_add_co_u32 v1, vcc_lo, s4, v1
	s_delay_alu instid0(VALU_DEP_2)
	v_add_co_ci_u32_e32 v2, vcc_lo, s5, v2, vcc_lo
	global_load_b32 v1, v[1:2], off
	s_waitcnt vmcnt(0)
	v_subrev_nc_u32_e32 v1, s12, v1
.LBB129_11:
	s_or_b32 exec_lo, exec_lo, s8
	s_delay_alu instid0(SALU_CYCLE_1)
	s_and_b32 vcc_lo, exec_lo, s7
	s_cbranch_vccz .LBB129_18
.LBB129_12:
	v_cmp_gt_i32_e32 vcc_lo, s2, v8
	s_and_not1_b32 s2, s6, exec_lo
	s_and_b32 s4, vcc_lo, exec_lo
	s_delay_alu instid0(SALU_CYCLE_1) | instskip(NEXT) | instid1(SALU_CYCLE_1)
	s_or_b32 s6, s2, s4
	s_and_b32 exec_lo, exec_lo, s6
	s_cbranch_execnz .LBB129_19
.LBB129_13:
	s_nop 0
	s_sendmsg sendmsg(MSG_DEALLOC_VGPRS)
	s_endpgm
.LBB129_14:
	v_dual_mov_b32 v1, s4 :: v_dual_mov_b32 v2, s5
	flat_load_b32 v21, v[1:2]
	v_cndmask_b32_e64 v1, 0, 1, s6
	v_mov_b32_e32 v22, s5
	s_and_not1_b32 vcc_lo, exec_lo, s6
	s_cbranch_vccnz .LBB129_2
.LBB129_15:
	v_dual_mov_b32 v2, s4 :: v_dual_mov_b32 v3, s5
	flat_load_b32 v22, v[2:3] offset:4
	v_cmp_ne_u32_e32 vcc_lo, 1, v1
	v_mov_b32_e32 v19, s2
	s_cbranch_vccnz .LBB129_3
.LBB129_16:
	v_dual_mov_b32 v2, s2 :: v_dual_mov_b32 v3, s3
	flat_load_b32 v19, v[2:3]
	v_cmp_ne_u32_e32 vcc_lo, 1, v1
	v_mov_b32_e32 v20, s3
	s_cbranch_vccz .LBB129_4
	s_branch .LBB129_5
.LBB129_17:
	s_mov_b32 s6, 0
                                        ; implicit-def: $vgpr1
	s_cbranch_execnz .LBB129_12
.LBB129_18:
	s_delay_alu instid0(VALU_DEP_1)
	v_mov_b32_e32 v8, v1
	s_and_b32 exec_lo, exec_lo, s6
	s_cbranch_execz .LBB129_13
.LBB129_19:
	s_load_b256 s[4:11], s[0:1], 0x20
	s_delay_alu instid0(VALU_DEP_1) | instskip(SKIP_1) | instid1(VALU_DEP_2)
	v_ashrrev_i32_e32 v9, 31, v8
	v_dual_mov_b32 v24, 0 :: v_dual_and_b32 v23, 63, v0
	v_lshlrev_b64 v[1:2], 3, v[8:9]
	s_waitcnt lgkmcnt(0)
	s_delay_alu instid0(VALU_DEP_1) | instskip(NEXT) | instid1(VALU_DEP_2)
	v_add_co_u32 v3, vcc_lo, s4, v1
	v_add_co_ci_u32_e32 v4, vcc_lo, s5, v2, vcc_lo
	v_add_co_u32 v1, vcc_lo, s6, v1
	v_add_co_ci_u32_e32 v2, vcc_lo, s7, v2, vcc_lo
	s_delay_alu instid0(VALU_DEP_4)
	v_add_co_u32 v5, vcc_lo, v3, 8
	global_load_b64 v[6:7], v[3:4], off
	v_add_co_ci_u32_e32 v9, vcc_lo, 0, v4, vcc_lo
	s_cmp_eq_u64 s[6:7], 0
	s_load_b64 s[4:5], s[0:1], 0x40
	s_cselect_b32 vcc_lo, -1, 0
	s_cmp_eq_u32 s3, 1
	v_cndmask_b32_e32 v2, v2, v9, vcc_lo
	v_cndmask_b32_e32 v1, v1, v5, vcc_lo
	s_mov_b32 s3, 0
	global_load_b64 v[2:3], v[1:2], off
	s_waitcnt vmcnt(1)
	v_sub_co_u32 v0, vcc_lo, v6, s12
	v_subrev_co_ci_u32_e32 v1, vcc_lo, 0, v7, vcc_lo
	s_delay_alu instid0(VALU_DEP_2) | instskip(NEXT) | instid1(VALU_DEP_2)
	v_add_co_u32 v0, vcc_lo, v0, v23
	v_add_co_ci_u32_e32 v1, vcc_lo, 0, v1, vcc_lo
	s_delay_alu instid0(VALU_DEP_1) | instskip(SKIP_3) | instid1(VALU_DEP_3)
	v_lshlrev_b64 v[4:5], 6, v[0:1]
	s_waitcnt vmcnt(0)
	v_sub_co_u32 v2, vcc_lo, v2, s12
	v_subrev_co_ci_u32_e32 v3, vcc_lo, 0, v3, vcc_lo
	v_add_co_u32 v4, vcc_lo, s10, v4
	s_delay_alu instid0(VALU_DEP_2)
	v_cmp_lt_i64_e64 s2, v[0:1], v[2:3]
	v_add_co_ci_u32_e32 v5, vcc_lo, s11, v5, vcc_lo
	s_cbranch_scc1 .LBB129_31
; %bb.20:
	v_dual_mov_b32 v26, 0 :: v_dual_mov_b32 v27, 0
	v_dual_mov_b32 v28, 0 :: v_dual_mov_b32 v29, 0
	v_dual_mov_b32 v30, 0 :: v_dual_mov_b32 v31, 0
	v_mov_b32_e32 v25, 0
	s_and_saveexec_b32 s6, s2
	s_cbranch_execz .LBB129_30
; %bb.21:
	v_or_b32_e32 v9, 64, v23
	v_not_b32_e32 v12, v6
	v_not_b32_e32 v11, v7
	v_mov_b32_e32 v27, 0
	v_dual_mov_b32 v25, 0 :: v_dual_mov_b32 v30, 0
	v_sub_co_u32 v9, s7, v9, s12
	s_delay_alu instid0(VALU_DEP_1) | instskip(SKIP_1) | instid1(VALU_DEP_3)
	v_sub_co_ci_u32_e64 v10, null, 0, 0, s7
	v_sub_co_u32 v13, s7, s12, v23
	v_add_co_u32 v9, vcc_lo, v9, v6
	s_delay_alu instid0(VALU_DEP_3) | instskip(SKIP_2) | instid1(VALU_DEP_3)
	v_add_co_ci_u32_e32 v10, vcc_lo, v10, v7, vcc_lo
	v_sub_co_ci_u32_e64 v14, null, 0, 0, s7
	v_dual_mov_b32 v31, 0 :: v_dual_mov_b32 v26, 0
	v_cmp_gt_i64_e32 vcc_lo, v[9:10], v[2:3]
	v_dual_mov_b32 v29, 0 :: v_dual_mov_b32 v24, 0
	s_mov_b32 s10, 0
	s_mov_b32 s7, exec_lo
	v_mov_b32_e32 v28, 0
	v_dual_cndmask_b32 v10, v3, v10 :: v_dual_cndmask_b32 v9, v2, v9
	v_add_co_u32 v12, vcc_lo, v13, v12
	v_add_co_ci_u32_e32 v11, vcc_lo, v14, v11, vcc_lo
	s_delay_alu instid0(VALU_DEP_2) | instskip(NEXT) | instid1(VALU_DEP_2)
	v_add_co_u32 v13, vcc_lo, v12, v9
	v_add_co_ci_u32_e32 v14, vcc_lo, v11, v10, vcc_lo
	v_mov_b32_e32 v12, v1
	s_delay_alu instid0(VALU_DEP_3) | instskip(SKIP_1) | instid1(VALU_DEP_2)
	v_lshrrev_b32_e32 v9, 6, v13
	v_mov_b32_e32 v11, v0
	v_add_nc_u32_e32 v9, 1, v9
	s_delay_alu instid0(VALU_DEP_1) | instskip(SKIP_1) | instid1(VALU_DEP_2)
	v_dual_mov_b32 v10, v5 :: v_dual_and_b32 v15, 3, v9
	v_mov_b32_e32 v9, v4
	v_cmpx_ne_u32_e32 0, v15
	s_cbranch_execz .LBB129_25
; %bb.22:
	v_lshlrev_b64 v[9:10], 2, v[0:1]
	v_dual_mov_b32 v16, 0 :: v_dual_lshlrev_b32 v15, 2, v15
	v_dual_mov_b32 v12, v1 :: v_dual_mov_b32 v11, v0
	s_delay_alu instid0(VALU_DEP_2) | instskip(NEXT) | instid1(VALU_DEP_4)
	v_mov_b32_e32 v24, v16
	v_add_co_u32 v17, vcc_lo, s8, v9
	v_add_co_ci_u32_e32 v18, vcc_lo, s9, v10, vcc_lo
	v_dual_mov_b32 v10, v5 :: v_dual_mov_b32 v9, v4
	v_mov_b32_e32 v26, v16
	v_mov_b32_e32 v27, v16
	;; [unrolled: 1-line block ×7, first 2 shown]
.LBB129_23:                             ; =>This Inner Loop Header: Depth=1
	global_load_b32 v48, v[17:18], off
	s_clause 0x3
	global_load_b128 v[32:35], v[9:10], off offset:48
	global_load_b128 v[36:39], v[9:10], off offset:32
	;; [unrolled: 1-line block ×3, first 2 shown]
	global_load_b128 v[44:47], v[9:10], off
	s_waitcnt vmcnt(4)
	v_subrev_nc_u32_e32 v48, s12, v48
	s_delay_alu instid0(VALU_DEP_1) | instskip(NEXT) | instid1(VALU_DEP_1)
	v_lshlrev_b32_e32 v48, 2, v48
	v_ashrrev_i32_e32 v49, 31, v48
	s_delay_alu instid0(VALU_DEP_1) | instskip(SKIP_1) | instid1(VALU_DEP_1)
	v_lshlrev_b64 v[48:49], 3, v[48:49]
	s_waitcnt lgkmcnt(0)
	v_add_co_u32 v52, vcc_lo, s4, v48
	s_delay_alu instid0(VALU_DEP_2)
	v_add_co_ci_u32_e32 v53, vcc_lo, s5, v49, vcc_lo
	v_add_co_u32 v9, vcc_lo, 0x1000, v9
	v_add_co_ci_u32_e32 v10, vcc_lo, 0, v10, vcc_lo
	s_clause 0x1
	global_load_b128 v[48:51], v[52:53], off
	global_load_b128 v[52:55], v[52:53], off offset:16
	v_add_co_u32 v11, vcc_lo, v11, 64
	v_add_co_ci_u32_e32 v12, vcc_lo, 0, v12, vcc_lo
	v_add_co_u32 v15, vcc_lo, v15, -4
	v_add_co_ci_u32_e32 v16, vcc_lo, -1, v16, vcc_lo
	v_add_co_u32 v17, vcc_lo, 0x100, v17
	v_add_co_ci_u32_e32 v18, vcc_lo, 0, v18, vcc_lo
	s_delay_alu instid0(VALU_DEP_3)
	v_cmp_eq_u64_e32 vcc_lo, 0, v[15:16]
	s_or_b32 s10, vcc_lo, s10
	s_waitcnt vmcnt(1)
	v_fmac_f32_e32 v29, 0, v48
	v_fmac_f32_e32 v25, v32, v48
	;; [unrolled: 1-line block ×3, first 2 shown]
	s_delay_alu instid0(VALU_DEP_3) | instskip(NEXT) | instid1(VALU_DEP_3)
	v_dual_fmac_f32 v24, 0, v48 :: v_dual_fmac_f32 v29, v36, v49
	v_fmac_f32_e32 v25, 0x80000000, v49
	s_delay_alu instid0(VALU_DEP_3) | instskip(NEXT) | instid1(VALU_DEP_3)
	v_dual_fmac_f32 v27, 0, v48 :: v_dual_fmac_f32 v26, 0x80000000, v49
	v_dual_fmac_f32 v30, v36, v48 :: v_dual_fmac_f32 v29, 0, v50
	v_fmac_f32_e32 v31, 0, v48
	s_delay_alu instid0(VALU_DEP_3) | instskip(SKIP_4) | instid1(VALU_DEP_4)
	v_fmac_f32_e32 v27, v40, v49
	v_fmac_f32_e32 v28, v40, v48
	;; [unrolled: 1-line block ×4, first 2 shown]
	v_dual_fmac_f32 v31, v32, v49 :: v_dual_fmac_f32 v26, v45, v50
	v_dual_fmac_f32 v27, 0, v50 :: v_dual_fmac_f32 v28, 0x80000000, v49
	s_delay_alu instid0(VALU_DEP_4) | instskip(NEXT) | instid1(VALU_DEP_3)
	v_fmac_f32_e32 v24, 0, v50
	v_dual_fmac_f32 v25, v33, v50 :: v_dual_fmac_f32 v26, 0x80000000, v51
	s_delay_alu instid0(VALU_DEP_3) | instskip(NEXT) | instid1(VALU_DEP_4)
	v_fmac_f32_e32 v27, v41, v51
	v_fmac_f32_e32 v28, v41, v50
	s_delay_alu instid0(VALU_DEP_4) | instskip(SKIP_1) | instid1(VALU_DEP_3)
	v_dual_fmac_f32 v31, 0, v50 :: v_dual_fmac_f32 v24, v45, v51
	s_waitcnt vmcnt(0)
	v_dual_fmac_f32 v30, v37, v50 :: v_dual_fmac_f32 v27, 0, v52
	v_dual_fmac_f32 v29, v37, v51 :: v_dual_fmac_f32 v26, v46, v52
	v_fmac_f32_e32 v25, 0x80000000, v51
	v_fmac_f32_e32 v28, 0x80000000, v51
	v_dual_fmac_f32 v31, v33, v51 :: v_dual_fmac_f32 v24, 0, v52
	s_delay_alu instid0(VALU_DEP_3) | instskip(SKIP_1) | instid1(VALU_DEP_4)
	v_dual_fmac_f32 v30, 0x80000000, v51 :: v_dual_fmac_f32 v25, v34, v52
	v_fmac_f32_e32 v29, 0, v52
	v_fmac_f32_e32 v28, v42, v52
	s_delay_alu instid0(VALU_DEP_4) | instskip(SKIP_2) | instid1(VALU_DEP_4)
	v_dual_fmac_f32 v31, 0, v52 :: v_dual_fmac_f32 v26, 0x80000000, v53
	v_fmac_f32_e32 v27, v42, v53
	v_fmac_f32_e32 v25, 0x80000000, v53
	;; [unrolled: 1-line block ×3, first 2 shown]
	s_delay_alu instid0(VALU_DEP_4) | instskip(NEXT) | instid1(VALU_DEP_4)
	v_dual_fmac_f32 v29, v38, v53 :: v_dual_fmac_f32 v26, v47, v54
	v_dual_fmac_f32 v30, v38, v52 :: v_dual_fmac_f32 v27, 0, v54
	s_delay_alu instid0(VALU_DEP_2) | instskip(SKIP_2) | instid1(VALU_DEP_4)
	v_dual_fmac_f32 v24, v46, v53 :: v_dual_fmac_f32 v29, 0, v54
	v_fmac_f32_e32 v25, v35, v54
	v_dual_fmac_f32 v31, v34, v53 :: v_dual_fmac_f32 v28, v43, v54
	v_fmac_f32_e32 v30, 0x80000000, v53
	s_delay_alu instid0(VALU_DEP_4) | instskip(NEXT) | instid1(VALU_DEP_3)
	v_fmac_f32_e32 v24, 0, v54
	v_dual_fmac_f32 v26, 0x80000000, v55 :: v_dual_fmac_f32 v31, 0, v54
	s_delay_alu instid0(VALU_DEP_4) | instskip(NEXT) | instid1(VALU_DEP_4)
	v_fmac_f32_e32 v28, 0x80000000, v55
	v_dual_fmac_f32 v30, v39, v54 :: v_dual_fmac_f32 v25, 0x80000000, v55
	s_delay_alu instid0(VALU_DEP_4) | instskip(SKIP_2) | instid1(VALU_DEP_4)
	v_fmac_f32_e32 v24, v47, v55
	v_fmac_f32_e32 v27, v43, v55
	;; [unrolled: 1-line block ×5, first 2 shown]
	s_and_not1_b32 exec_lo, exec_lo, s10
	s_cbranch_execnz .LBB129_23
; %bb.24:
	s_or_b32 exec_lo, exec_lo, s10
.LBB129_25:
	s_delay_alu instid0(SALU_CYCLE_1) | instskip(NEXT) | instid1(SALU_CYCLE_1)
	s_or_b32 exec_lo, exec_lo, s7
	s_mov_b32 s7, exec_lo
	v_cmpx_lt_u64_e32 0xbf, v[13:14]
	s_cbranch_execz .LBB129_29
; %bb.26:
	v_lshlrev_b64 v[13:14], 2, v[11:12]
	s_mov_b32 s10, 0
	s_delay_alu instid0(VALU_DEP_1) | instskip(NEXT) | instid1(VALU_DEP_2)
	v_add_co_u32 v13, vcc_lo, v13, s8
	v_add_co_ci_u32_e32 v14, vcc_lo, s9, v14, vcc_lo
	s_delay_alu instid0(VALU_DEP_2) | instskip(NEXT) | instid1(VALU_DEP_2)
	v_add_co_u32 v13, vcc_lo, 0x200, v13
	v_add_co_ci_u32_e32 v14, vcc_lo, 0, v14, vcc_lo
.LBB129_27:                             ; =>This Inner Loop Header: Depth=1
	s_clause 0x3
	global_load_b32 v92, v[13:14], off offset:-512
	global_load_b32 v93, v[13:14], off offset:-256
	global_load_b32 v94, v[13:14], off
	global_load_b32 v95, v[13:14], off offset:256
	s_clause 0x3
	global_load_b128 v[15:18], v[9:10], off offset:48
	global_load_b128 v[32:35], v[9:10], off offset:32
	;; [unrolled: 1-line block ×3, first 2 shown]
	global_load_b128 v[40:43], v[9:10], off
	v_add_co_u32 v52, vcc_lo, 0x1000, v9
	v_add_co_ci_u32_e32 v53, vcc_lo, 0, v10, vcc_lo
	v_add_co_u32 v60, vcc_lo, v9, 0x2000
	v_add_co_ci_u32_e32 v61, vcc_lo, 0, v10, vcc_lo
	;; [unrolled: 2-line block ×4, first 2 shown]
	s_clause 0xb
	global_load_b128 v[44:47], v[52:53], off offset:48
	global_load_b128 v[48:51], v[52:53], off offset:32
	;; [unrolled: 1-line block ×3, first 2 shown]
	global_load_b128 v[56:59], v[60:61], off offset:-4096
	global_load_b128 v[60:63], v[60:61], off
	global_load_b128 v[64:67], v[72:73], off offset:48
	global_load_b128 v[68:71], v[72:73], off offset:32
	global_load_b128 v[72:75], v[72:73], off offset:16
	global_load_b128 v[76:79], v[88:89], off offset:48
	global_load_b128 v[80:83], v[88:89], off offset:32
	global_load_b128 v[84:87], v[88:89], off
	global_load_b128 v[88:91], v[88:89], off offset:16
	s_waitcnt vmcnt(19)
	v_subrev_nc_u32_e32 v92, s12, v92
	s_waitcnt vmcnt(18)
	v_subrev_nc_u32_e32 v93, s12, v93
	;; [unrolled: 2-line block ×4, first 2 shown]
	v_lshlrev_b32_e32 v92, 2, v92
	v_lshlrev_b32_e32 v94, 2, v93
	;; [unrolled: 1-line block ×3, first 2 shown]
	s_delay_alu instid0(VALU_DEP_4) | instskip(NEXT) | instid1(VALU_DEP_4)
	v_lshlrev_b32_e32 v98, 2, v95
	v_ashrrev_i32_e32 v93, 31, v92
	s_delay_alu instid0(VALU_DEP_4) | instskip(NEXT) | instid1(VALU_DEP_4)
	v_ashrrev_i32_e32 v95, 31, v94
	v_ashrrev_i32_e32 v97, 31, v96
	s_delay_alu instid0(VALU_DEP_4) | instskip(NEXT) | instid1(VALU_DEP_4)
	v_ashrrev_i32_e32 v99, 31, v98
	v_lshlrev_b64 v[92:93], 3, v[92:93]
	s_delay_alu instid0(VALU_DEP_4) | instskip(NEXT) | instid1(VALU_DEP_4)
	v_lshlrev_b64 v[94:95], 3, v[94:95]
	v_lshlrev_b64 v[96:97], 3, v[96:97]
	s_delay_alu instid0(VALU_DEP_4) | instskip(SKIP_1) | instid1(VALU_DEP_4)
	v_lshlrev_b64 v[98:99], 3, v[98:99]
	s_waitcnt lgkmcnt(0)
	v_add_co_u32 v100, vcc_lo, s4, v92
	v_add_co_ci_u32_e32 v101, vcc_lo, s5, v93, vcc_lo
	v_add_co_u32 v104, vcc_lo, s4, v94
	v_add_co_ci_u32_e32 v105, vcc_lo, s5, v95, vcc_lo
	;; [unrolled: 2-line block ×4, first 2 shown]
	s_clause 0x7
	global_load_b128 v[92:95], v[100:101], off
	global_load_b128 v[96:99], v[100:101], off offset:16
	global_load_b128 v[100:103], v[104:105], off
	global_load_b128 v[104:107], v[104:105], off offset:16
	;; [unrolled: 2-line block ×4, first 2 shown]
	v_add_co_u32 v11, vcc_lo, 0x100, v11
	v_add_co_ci_u32_e32 v12, vcc_lo, 0, v12, vcc_lo
	v_add_co_u32 v13, vcc_lo, 0x400, v13
	v_add_co_ci_u32_e32 v14, vcc_lo, 0, v14, vcc_lo
	v_add_co_u32 v9, vcc_lo, 0x4000, v9
	v_add_co_ci_u32_e32 v10, vcc_lo, 0, v10, vcc_lo
	v_cmp_ge_i64_e32 vcc_lo, v[11:12], v[2:3]
	s_or_b32 s10, vcc_lo, s10
	s_waitcnt vmcnt(7)
	v_fmac_f32_e32 v29, 0, v92
	v_fmac_f32_e32 v27, 0, v92
	;; [unrolled: 1-line block ×5, first 2 shown]
	s_delay_alu instid0(VALU_DEP_4)
	v_dual_fmac_f32 v24, 0, v92 :: v_dual_fmac_f32 v27, v36, v93
	v_fmac_f32_e32 v28, v36, v92
	v_fmac_f32_e32 v29, v32, v93
	v_dual_fmac_f32 v30, v32, v92 :: v_dual_fmac_f32 v25, 0x80000000, v93
	v_fmac_f32_e32 v26, 0x80000000, v93
	v_fmac_f32_e32 v31, v15, v93
	s_delay_alu instid0(VALU_DEP_4) | instskip(NEXT) | instid1(VALU_DEP_4)
	v_dual_fmac_f32 v29, 0, v94 :: v_dual_fmac_f32 v24, v40, v93
	v_dual_fmac_f32 v30, 0x80000000, v93 :: v_dual_fmac_f32 v27, 0, v94
	s_delay_alu instid0(VALU_DEP_3) | instskip(SKIP_2) | instid1(VALU_DEP_4)
	v_dual_fmac_f32 v31, 0, v94 :: v_dual_fmac_f32 v28, 0x80000000, v93
	v_fmac_f32_e32 v25, v16, v94
	v_fmac_f32_e32 v26, v41, v94
	v_dual_fmac_f32 v24, 0, v94 :: v_dual_fmac_f32 v27, v37, v95
	s_delay_alu instid0(VALU_DEP_4)
	v_dual_fmac_f32 v28, v37, v94 :: v_dual_fmac_f32 v31, v16, v95
	v_fmac_f32_e32 v30, v33, v94
	v_fmac_f32_e32 v29, v33, v95
	;; [unrolled: 1-line block ×4, first 2 shown]
	s_waitcnt vmcnt(6)
	v_dual_fmac_f32 v24, v41, v95 :: v_dual_fmac_f32 v31, 0, v96
	s_delay_alu instid0(VALU_DEP_3)
	v_dual_fmac_f32 v28, 0x80000000, v95 :: v_dual_fmac_f32 v25, v17, v96
	v_dual_fmac_f32 v27, 0, v96 :: v_dual_fmac_f32 v30, 0x80000000, v95
	v_fmac_f32_e32 v29, 0, v96
	v_fmac_f32_e32 v26, v42, v96
	;; [unrolled: 1-line block ×3, first 2 shown]
	v_dual_fmac_f32 v28, v38, v96 :: v_dual_fmac_f32 v25, 0x80000000, v97
	v_fmac_f32_e32 v27, v38, v97
	v_dual_fmac_f32 v30, v34, v96 :: v_dual_fmac_f32 v31, v17, v97
	v_fmac_f32_e32 v26, 0x80000000, v97
	v_fmac_f32_e32 v29, v34, v97
	s_delay_alu instid0(VALU_DEP_4) | instskip(SKIP_4) | instid1(VALU_DEP_4)
	v_dual_fmac_f32 v27, 0, v98 :: v_dual_fmac_f32 v24, v42, v97
	v_dual_fmac_f32 v28, 0x80000000, v97 :: v_dual_fmac_f32 v25, v18, v98
	;; [unrolled: 1-line block ×3, first 2 shown]
	v_fmac_f32_e32 v26, v43, v98
	v_fmac_f32_e32 v29, 0, v98
	v_dual_fmac_f32 v25, 0x80000000, v99 :: v_dual_fmac_f32 v24, 0, v98
	v_fmac_f32_e32 v27, v39, v99
	v_dual_fmac_f32 v28, v39, v98 :: v_dual_fmac_f32 v31, v18, v99
	v_fmac_f32_e32 v30, v35, v98
	v_fmac_f32_e32 v29, v35, v99
	;; [unrolled: 1-line block ×3, first 2 shown]
	s_waitcnt vmcnt(5)
	v_dual_fmac_f32 v24, v43, v99 :: v_dual_fmac_f32 v25, v44, v100
	v_dual_fmac_f32 v28, 0x80000000, v99 :: v_dual_fmac_f32 v31, 0, v100
	;; [unrolled: 1-line block ×3, first 2 shown]
	v_fmac_f32_e32 v29, 0, v100
	v_fmac_f32_e32 v26, v56, v100
	;; [unrolled: 1-line block ×3, first 2 shown]
	v_dual_fmac_f32 v28, v52, v100 :: v_dual_fmac_f32 v25, 0x80000000, v101
	v_fmac_f32_e32 v27, v52, v101
	v_fmac_f32_e32 v30, v48, v100
	;; [unrolled: 1-line block ×4, first 2 shown]
	v_dual_fmac_f32 v24, v56, v101 :: v_dual_fmac_f32 v25, v45, v102
	s_delay_alu instid0(VALU_DEP_4) | instskip(NEXT) | instid1(VALU_DEP_4)
	v_dual_fmac_f32 v27, 0, v102 :: v_dual_fmac_f32 v30, 0x80000000, v101
	v_fmac_f32_e32 v29, 0, v102
	s_delay_alu instid0(VALU_DEP_4) | instskip(SKIP_1) | instid1(VALU_DEP_3)
	v_dual_fmac_f32 v31, v44, v101 :: v_dual_fmac_f32 v26, v57, v102
	v_fmac_f32_e32 v28, 0x80000000, v101
	v_dual_fmac_f32 v24, 0, v102 :: v_dual_fmac_f32 v29, v49, v103
	s_delay_alu instid0(VALU_DEP_3) | instskip(NEXT) | instid1(VALU_DEP_3)
	v_dual_fmac_f32 v31, 0, v102 :: v_dual_fmac_f32 v26, 0x80000000, v103
	v_dual_fmac_f32 v28, v53, v102 :: v_dual_fmac_f32 v25, 0x80000000, v103
	v_fmac_f32_e32 v27, v53, v103
	v_fmac_f32_e32 v30, v49, v102
	s_waitcnt vmcnt(4)
	v_dual_fmac_f32 v24, v57, v103 :: v_dual_fmac_f32 v29, 0, v104
	v_fmac_f32_e32 v25, v46, v104
	v_dual_fmac_f32 v31, v45, v103 :: v_dual_fmac_f32 v26, v58, v104
	v_dual_fmac_f32 v28, 0x80000000, v103 :: v_dual_fmac_f32 v27, 0, v104
	v_fmac_f32_e32 v30, 0x80000000, v103
	v_dual_fmac_f32 v24, 0, v104 :: v_dual_fmac_f32 v29, v50, v105
	s_delay_alu instid0(VALU_DEP_4) | instskip(NEXT) | instid1(VALU_DEP_4)
	v_fmac_f32_e32 v31, 0, v104
	v_dual_fmac_f32 v28, v54, v104 :: v_dual_fmac_f32 v25, 0x80000000, v105
	s_delay_alu instid0(VALU_DEP_3) | instskip(SKIP_2) | instid1(VALU_DEP_4)
	v_dual_fmac_f32 v26, 0x80000000, v105 :: v_dual_fmac_f32 v29, 0, v106
	v_fmac_f32_e32 v27, v54, v105
	v_fmac_f32_e32 v30, v50, v104
	v_dual_fmac_f32 v24, v58, v105 :: v_dual_fmac_f32 v25, v47, v106
	s_delay_alu instid0(VALU_DEP_4) | instskip(NEXT) | instid1(VALU_DEP_4)
	v_dual_fmac_f32 v31, v46, v105 :: v_dual_fmac_f32 v26, v59, v106
	v_dual_fmac_f32 v28, 0x80000000, v105 :: v_dual_fmac_f32 v27, 0, v106
	s_delay_alu instid0(VALU_DEP_4) | instskip(NEXT) | instid1(VALU_DEP_4)
	v_fmac_f32_e32 v30, 0x80000000, v105
	v_dual_fmac_f32 v24, 0, v106 :: v_dual_fmac_f32 v29, v51, v107
	s_delay_alu instid0(VALU_DEP_4) | instskip(NEXT) | instid1(VALU_DEP_4)
	v_fmac_f32_e32 v31, 0, v106
	v_dual_fmac_f32 v28, v55, v106 :: v_dual_fmac_f32 v25, 0x80000000, v107
	s_waitcnt vmcnt(3)
	s_delay_alu instid0(VALU_DEP_3) | instskip(SKIP_3) | instid1(VALU_DEP_4)
	v_dual_fmac_f32 v26, 0x80000000, v107 :: v_dual_fmac_f32 v29, 0, v108
	v_fmac_f32_e32 v27, v55, v107
	v_fmac_f32_e32 v30, v51, v106
	v_dual_fmac_f32 v24, v59, v107 :: v_dual_fmac_f32 v25, v64, v108
	v_dual_fmac_f32 v31, v47, v107 :: v_dual_fmac_f32 v26, v60, v108
	s_delay_alu instid0(VALU_DEP_4) | instskip(NEXT) | instid1(VALU_DEP_4)
	v_dual_fmac_f32 v28, 0x80000000, v107 :: v_dual_fmac_f32 v27, 0, v108
	v_fmac_f32_e32 v30, 0x80000000, v107
	s_delay_alu instid0(VALU_DEP_4) | instskip(NEXT) | instid1(VALU_DEP_4)
	v_dual_fmac_f32 v24, 0, v108 :: v_dual_fmac_f32 v29, v68, v109
	v_fmac_f32_e32 v31, 0, v108
	s_delay_alu instid0(VALU_DEP_4) | instskip(NEXT) | instid1(VALU_DEP_3)
	v_dual_fmac_f32 v28, v72, v108 :: v_dual_fmac_f32 v25, 0x80000000, v109
	v_dual_fmac_f32 v26, 0x80000000, v109 :: v_dual_fmac_f32 v29, 0, v110
	v_fmac_f32_e32 v27, v72, v109
	v_fmac_f32_e32 v30, v68, v108
	s_delay_alu instid0(VALU_DEP_4) | instskip(NEXT) | instid1(VALU_DEP_4)
	v_dual_fmac_f32 v24, v60, v109 :: v_dual_fmac_f32 v25, v65, v110
	v_dual_fmac_f32 v31, v64, v109 :: v_dual_fmac_f32 v26, v61, v110
	s_delay_alu instid0(VALU_DEP_4) | instskip(NEXT) | instid1(VALU_DEP_4)
	v_dual_fmac_f32 v28, 0x80000000, v109 :: v_dual_fmac_f32 v27, 0, v110
	v_fmac_f32_e32 v30, 0x80000000, v109
	s_delay_alu instid0(VALU_DEP_4) | instskip(NEXT) | instid1(VALU_DEP_4)
	v_dual_fmac_f32 v24, 0, v110 :: v_dual_fmac_f32 v29, v69, v111
	v_fmac_f32_e32 v31, 0, v110
	s_delay_alu instid0(VALU_DEP_4) | instskip(SKIP_1) | instid1(VALU_DEP_3)
	v_dual_fmac_f32 v28, v73, v110 :: v_dual_fmac_f32 v25, 0x80000000, v111
	s_waitcnt vmcnt(2)
	v_dual_fmac_f32 v26, 0x80000000, v111 :: v_dual_fmac_f32 v29, 0, v112
	v_fmac_f32_e32 v27, v73, v111
	v_fmac_f32_e32 v30, v69, v110
	v_dual_fmac_f32 v24, v61, v111 :: v_dual_fmac_f32 v25, v66, v112
	s_delay_alu instid0(VALU_DEP_4) | instskip(NEXT) | instid1(VALU_DEP_4)
	v_dual_fmac_f32 v31, v65, v111 :: v_dual_fmac_f32 v26, v62, v112
	v_dual_fmac_f32 v28, 0x80000000, v111 :: v_dual_fmac_f32 v27, 0, v112
	s_delay_alu instid0(VALU_DEP_4) | instskip(NEXT) | instid1(VALU_DEP_4)
	v_fmac_f32_e32 v30, 0x80000000, v111
	v_dual_fmac_f32 v24, 0, v112 :: v_dual_fmac_f32 v29, v70, v113
	s_delay_alu instid0(VALU_DEP_4) | instskip(NEXT) | instid1(VALU_DEP_4)
	v_fmac_f32_e32 v31, 0, v112
	v_dual_fmac_f32 v28, v74, v112 :: v_dual_fmac_f32 v25, 0x80000000, v113
	s_delay_alu instid0(VALU_DEP_3) | instskip(SKIP_2) | instid1(VALU_DEP_4)
	v_dual_fmac_f32 v26, 0x80000000, v113 :: v_dual_fmac_f32 v29, 0, v114
	v_fmac_f32_e32 v27, v74, v113
	v_fmac_f32_e32 v30, v70, v112
	v_dual_fmac_f32 v24, v62, v113 :: v_dual_fmac_f32 v25, v67, v114
	s_delay_alu instid0(VALU_DEP_4) | instskip(NEXT) | instid1(VALU_DEP_4)
	v_dual_fmac_f32 v31, v66, v113 :: v_dual_fmac_f32 v26, v63, v114
	v_dual_fmac_f32 v28, 0x80000000, v113 :: v_dual_fmac_f32 v27, 0, v114
	s_delay_alu instid0(VALU_DEP_4) | instskip(NEXT) | instid1(VALU_DEP_4)
	v_fmac_f32_e32 v30, 0x80000000, v113
	v_dual_fmac_f32 v24, 0, v114 :: v_dual_fmac_f32 v29, v71, v115
	s_delay_alu instid0(VALU_DEP_4) | instskip(NEXT) | instid1(VALU_DEP_4)
	v_fmac_f32_e32 v31, 0, v114
	v_dual_fmac_f32 v28, v75, v114 :: v_dual_fmac_f32 v25, 0x80000000, v115
	s_waitcnt vmcnt(1)
	s_delay_alu instid0(VALU_DEP_3) | instskip(SKIP_3) | instid1(VALU_DEP_4)
	v_dual_fmac_f32 v26, 0x80000000, v115 :: v_dual_fmac_f32 v29, 0, v116
	v_fmac_f32_e32 v27, v75, v115
	v_fmac_f32_e32 v30, v71, v114
	v_dual_fmac_f32 v24, v63, v115 :: v_dual_fmac_f32 v25, v76, v116
	v_dual_fmac_f32 v31, v67, v115 :: v_dual_fmac_f32 v26, v84, v116
	s_delay_alu instid0(VALU_DEP_4) | instskip(NEXT) | instid1(VALU_DEP_4)
	v_dual_fmac_f32 v28, 0x80000000, v115 :: v_dual_fmac_f32 v27, 0, v116
	v_fmac_f32_e32 v30, 0x80000000, v115
	s_delay_alu instid0(VALU_DEP_4) | instskip(NEXT) | instid1(VALU_DEP_4)
	v_dual_fmac_f32 v24, 0, v116 :: v_dual_fmac_f32 v29, v80, v117
	v_fmac_f32_e32 v31, 0, v116
	s_delay_alu instid0(VALU_DEP_4) | instskip(NEXT) | instid1(VALU_DEP_3)
	v_dual_fmac_f32 v28, v88, v116 :: v_dual_fmac_f32 v25, 0x80000000, v117
	v_dual_fmac_f32 v26, 0x80000000, v117 :: v_dual_fmac_f32 v29, 0, v118
	v_fmac_f32_e32 v27, v88, v117
	v_fmac_f32_e32 v30, v80, v116
	s_delay_alu instid0(VALU_DEP_4) | instskip(NEXT) | instid1(VALU_DEP_4)
	v_dual_fmac_f32 v24, v84, v117 :: v_dual_fmac_f32 v25, v77, v118
	v_dual_fmac_f32 v31, v76, v117 :: v_dual_fmac_f32 v26, v85, v118
	s_delay_alu instid0(VALU_DEP_4) | instskip(NEXT) | instid1(VALU_DEP_4)
	v_dual_fmac_f32 v28, 0x80000000, v117 :: v_dual_fmac_f32 v27, 0, v118
	v_fmac_f32_e32 v30, 0x80000000, v117
	s_delay_alu instid0(VALU_DEP_4) | instskip(NEXT) | instid1(VALU_DEP_4)
	v_dual_fmac_f32 v24, 0, v118 :: v_dual_fmac_f32 v29, v81, v119
	v_fmac_f32_e32 v31, 0, v118
	s_delay_alu instid0(VALU_DEP_4) | instskip(SKIP_1) | instid1(VALU_DEP_3)
	v_dual_fmac_f32 v28, v89, v118 :: v_dual_fmac_f32 v25, 0x80000000, v119
	s_waitcnt vmcnt(0)
	v_dual_fmac_f32 v26, 0x80000000, v119 :: v_dual_fmac_f32 v29, 0, v120
	v_fmac_f32_e32 v27, v89, v119
	v_fmac_f32_e32 v30, v81, v118
	v_dual_fmac_f32 v24, v85, v119 :: v_dual_fmac_f32 v25, v78, v120
	s_delay_alu instid0(VALU_DEP_4) | instskip(NEXT) | instid1(VALU_DEP_4)
	v_dual_fmac_f32 v31, v77, v119 :: v_dual_fmac_f32 v26, v86, v120
	v_dual_fmac_f32 v28, 0x80000000, v119 :: v_dual_fmac_f32 v27, 0, v120
	s_delay_alu instid0(VALU_DEP_4) | instskip(NEXT) | instid1(VALU_DEP_4)
	v_fmac_f32_e32 v30, 0x80000000, v119
	v_dual_fmac_f32 v24, 0, v120 :: v_dual_fmac_f32 v29, v82, v121
	s_delay_alu instid0(VALU_DEP_4) | instskip(NEXT) | instid1(VALU_DEP_4)
	v_fmac_f32_e32 v31, 0, v120
	v_dual_fmac_f32 v28, v90, v120 :: v_dual_fmac_f32 v25, 0x80000000, v121
	s_delay_alu instid0(VALU_DEP_3) | instskip(SKIP_2) | instid1(VALU_DEP_4)
	v_dual_fmac_f32 v26, 0x80000000, v121 :: v_dual_fmac_f32 v29, 0, v122
	v_fmac_f32_e32 v27, v90, v121
	v_fmac_f32_e32 v30, v82, v120
	v_dual_fmac_f32 v24, v86, v121 :: v_dual_fmac_f32 v25, v79, v122
	s_delay_alu instid0(VALU_DEP_4) | instskip(NEXT) | instid1(VALU_DEP_4)
	v_dual_fmac_f32 v31, v78, v121 :: v_dual_fmac_f32 v26, v87, v122
	v_dual_fmac_f32 v28, 0x80000000, v121 :: v_dual_fmac_f32 v27, 0, v122
	s_delay_alu instid0(VALU_DEP_4) | instskip(NEXT) | instid1(VALU_DEP_4)
	v_fmac_f32_e32 v30, 0x80000000, v121
	v_dual_fmac_f32 v24, 0, v122 :: v_dual_fmac_f32 v29, v83, v123
	s_delay_alu instid0(VALU_DEP_4) | instskip(NEXT) | instid1(VALU_DEP_4)
	v_fmac_f32_e32 v31, 0, v122
	v_dual_fmac_f32 v28, v91, v122 :: v_dual_fmac_f32 v25, 0x80000000, v123
	v_fmac_f32_e32 v27, v91, v123
	v_fmac_f32_e32 v30, v83, v122
	;; [unrolled: 1-line block ×7, first 2 shown]
	s_and_not1_b32 exec_lo, exec_lo, s10
	s_cbranch_execnz .LBB129_27
; %bb.28:
	s_or_b32 exec_lo, exec_lo, s10
.LBB129_29:
	s_delay_alu instid0(SALU_CYCLE_1)
	s_or_b32 exec_lo, exec_lo, s7
.LBB129_30:
	s_delay_alu instid0(SALU_CYCLE_1) | instskip(NEXT) | instid1(SALU_CYCLE_1)
	s_or_b32 exec_lo, exec_lo, s6
	s_and_not1_b32 vcc_lo, exec_lo, s3
	s_cbranch_vccz .LBB129_32
	s_branch .LBB129_43
.LBB129_31:
                                        ; implicit-def: $vgpr24
                                        ; implicit-def: $vgpr26
                                        ; implicit-def: $vgpr27
                                        ; implicit-def: $vgpr28
                                        ; implicit-def: $vgpr29
                                        ; implicit-def: $vgpr30
                                        ; implicit-def: $vgpr31
                                        ; implicit-def: $vgpr25
.LBB129_32:
	v_dual_mov_b32 v24, 0 :: v_dual_mov_b32 v27, 0
	v_dual_mov_b32 v26, 0 :: v_dual_mov_b32 v29, 0
	;; [unrolled: 1-line block ×4, first 2 shown]
	s_and_saveexec_b32 s3, s2
	s_cbranch_execz .LBB129_42
; %bb.33:
	v_or_b32_e32 v9, 64, v23
	v_dual_mov_b32 v25, 0 :: v_dual_mov_b32 v28, 0
	v_dual_mov_b32 v31, 0 :: v_dual_mov_b32 v26, 0
	s_delay_alu instid0(VALU_DEP_3) | instskip(NEXT) | instid1(VALU_DEP_1)
	v_sub_co_u32 v9, s2, v9, s12
	v_sub_co_ci_u32_e64 v10, null, 0, 0, s2
	v_sub_co_u32 v11, s2, s12, v23
	s_delay_alu instid0(VALU_DEP_3) | instskip(NEXT) | instid1(VALU_DEP_3)
	v_add_co_u32 v9, vcc_lo, v9, v6
	v_add_co_ci_u32_e32 v10, vcc_lo, v10, v7, vcc_lo
	v_not_b32_e32 v6, v6
	v_not_b32_e32 v7, v7
	v_sub_co_ci_u32_e64 v12, null, 0, 0, s2
	s_delay_alu instid0(VALU_DEP_4)
	v_cmp_gt_i64_e32 vcc_lo, v[9:10], v[2:3]
	v_mov_b32_e32 v29, 0
	v_mov_b32_e32 v27, 0
	s_mov_b32 s6, 0
	s_mov_b32 s2, exec_lo
	v_mov_b32_e32 v30, 0
	v_dual_cndmask_b32 v10, v3, v10 :: v_dual_cndmask_b32 v9, v2, v9
	v_add_co_u32 v6, vcc_lo, v11, v6
	v_add_co_ci_u32_e32 v7, vcc_lo, v12, v7, vcc_lo
	v_mov_b32_e32 v24, 0
	s_delay_alu instid0(VALU_DEP_3) | instskip(NEXT) | instid1(VALU_DEP_3)
	v_add_co_u32 v6, vcc_lo, v6, v9
	v_add_co_ci_u32_e32 v7, vcc_lo, v7, v10, vcc_lo
	s_delay_alu instid0(VALU_DEP_2) | instskip(NEXT) | instid1(VALU_DEP_1)
	v_lshrrev_b32_e32 v9, 6, v6
	v_add_nc_u32_e32 v9, 1, v9
	s_delay_alu instid0(VALU_DEP_1) | instskip(NEXT) | instid1(VALU_DEP_1)
	v_and_b32_e32 v9, 3, v9
	v_cmpx_ne_u32_e32 0, v9
	s_cbranch_execz .LBB129_37
; %bb.34:
	v_lshlrev_b64 v[11:12], 2, v[0:1]
	v_dual_mov_b32 v10, 0 :: v_dual_lshlrev_b32 v9, 2, v9
	s_delay_alu instid0(VALU_DEP_1) | instskip(NEXT) | instid1(VALU_DEP_3)
	v_mov_b32_e32 v24, v10
	v_add_co_u32 v11, vcc_lo, s8, v11
	s_delay_alu instid0(VALU_DEP_4)
	v_add_co_ci_u32_e32 v12, vcc_lo, s9, v12, vcc_lo
	v_mov_b32_e32 v26, v10
	v_mov_b32_e32 v27, v10
	;; [unrolled: 1-line block ×7, first 2 shown]
.LBB129_35:                             ; =>This Inner Loop Header: Depth=1
	global_load_b32 v17, v[11:12], off
	s_clause 0x1
	global_load_b128 v[13:16], v[4:5], off offset:16
	global_load_b128 v[32:35], v[4:5], off
	s_waitcnt vmcnt(2)
	v_subrev_nc_u32_e32 v17, s12, v17
	s_delay_alu instid0(VALU_DEP_1) | instskip(NEXT) | instid1(VALU_DEP_1)
	v_lshlrev_b32_e32 v17, 2, v17
	v_ashrrev_i32_e32 v18, 31, v17
	s_delay_alu instid0(VALU_DEP_1) | instskip(SKIP_1) | instid1(VALU_DEP_1)
	v_lshlrev_b64 v[17:18], 3, v[17:18]
	s_waitcnt lgkmcnt(0)
	v_add_co_u32 v17, vcc_lo, s4, v17
	s_delay_alu instid0(VALU_DEP_2)
	v_add_co_ci_u32_e32 v18, vcc_lo, s5, v18, vcc_lo
	s_clause 0x1
	global_load_b128 v[36:39], v[17:18], off
	global_load_b128 v[40:43], v[17:18], off offset:16
	s_clause 0x1
	global_load_b128 v[44:47], v[4:5], off offset:32
	global_load_b128 v[48:51], v[4:5], off offset:48
	v_add_co_u32 v4, vcc_lo, 0x1000, v4
	v_add_co_ci_u32_e32 v5, vcc_lo, 0, v5, vcc_lo
	v_add_co_u32 v0, vcc_lo, v0, 64
	v_add_co_ci_u32_e32 v1, vcc_lo, 0, v1, vcc_lo
	v_add_co_u32 v9, vcc_lo, v9, -4
	v_add_co_ci_u32_e32 v10, vcc_lo, -1, v10, vcc_lo
	v_add_co_u32 v11, vcc_lo, 0x100, v11
	v_add_co_ci_u32_e32 v12, vcc_lo, 0, v12, vcc_lo
	s_delay_alu instid0(VALU_DEP_3) | instskip(SKIP_3) | instid1(VALU_DEP_1)
	v_cmp_eq_u64_e32 vcc_lo, 0, v[9:10]
	s_or_b32 s6, vcc_lo, s6
	s_waitcnt vmcnt(3)
	v_fmac_f32_e32 v26, v32, v36
	v_dual_fmac_f32 v27, 0, v36 :: v_dual_fmac_f32 v26, 0x80000000, v37
	s_delay_alu instid0(VALU_DEP_1) | instskip(NEXT) | instid1(VALU_DEP_2)
	v_dual_fmac_f32 v24, 0, v36 :: v_dual_fmac_f32 v27, v33, v37
	v_dual_fmac_f32 v29, 0, v36 :: v_dual_fmac_f32 v26, v13, v38
	s_delay_alu instid0(VALU_DEP_2) | instskip(NEXT) | instid1(VALU_DEP_2)
	v_fmac_f32_e32 v24, v32, v37
	v_dual_fmac_f32 v28, v33, v36 :: v_dual_fmac_f32 v29, v34, v37
	v_fmac_f32_e32 v25, v35, v36
	s_delay_alu instid0(VALU_DEP_4) | instskip(NEXT) | instid1(VALU_DEP_3)
	v_dual_fmac_f32 v27, 0, v38 :: v_dual_fmac_f32 v26, 0x80000000, v39
	v_fmac_f32_e32 v28, 0x80000000, v37
	s_delay_alu instid0(VALU_DEP_3) | instskip(SKIP_1) | instid1(VALU_DEP_2)
	v_dual_fmac_f32 v30, v34, v36 :: v_dual_fmac_f32 v25, 0x80000000, v37
	v_dual_fmac_f32 v31, 0, v36 :: v_dual_fmac_f32 v24, 0, v38
	;; [unrolled: 1-line block ×3, first 2 shown]
	v_fmac_f32_e32 v29, 0, v38
	s_delay_alu instid0(VALU_DEP_3) | instskip(SKIP_1) | instid1(VALU_DEP_3)
	v_dual_fmac_f32 v31, v35, v37 :: v_dual_fmac_f32 v24, v13, v39
	s_waitcnt vmcnt(2)
	v_dual_fmac_f32 v28, v14, v38 :: v_dual_fmac_f32 v27, 0, v40
	s_delay_alu instid0(VALU_DEP_3) | instskip(SKIP_4) | instid1(VALU_DEP_3)
	v_fmac_f32_e32 v29, v15, v39
	v_fmac_f32_e32 v25, v16, v38
	s_waitcnt vmcnt(1)
	v_fmac_f32_e32 v26, v44, v40
	v_dual_fmac_f32 v28, 0x80000000, v39 :: v_dual_fmac_f32 v27, v45, v41
	v_dual_fmac_f32 v30, v15, v38 :: v_dual_fmac_f32 v25, 0x80000000, v39
	s_delay_alu instid0(VALU_DEP_3) | instskip(SKIP_1) | instid1(VALU_DEP_3)
	v_dual_fmac_f32 v31, 0, v38 :: v_dual_fmac_f32 v26, 0x80000000, v41
	v_fmac_f32_e32 v24, 0, v40
	v_dual_fmac_f32 v30, 0x80000000, v39 :: v_dual_fmac_f32 v29, 0, v40
	s_delay_alu instid0(VALU_DEP_3)
	v_fmac_f32_e32 v31, v16, v39
	s_waitcnt vmcnt(0)
	v_fmac_f32_e32 v26, v48, v42
	v_fmac_f32_e32 v24, v44, v41
	v_dual_fmac_f32 v28, v45, v40 :: v_dual_fmac_f32 v29, v46, v41
	v_fmac_f32_e32 v25, v47, v40
	s_delay_alu instid0(VALU_DEP_4) | instskip(NEXT) | instid1(VALU_DEP_3)
	v_dual_fmac_f32 v27, 0, v42 :: v_dual_fmac_f32 v26, 0x80000000, v43
	v_fmac_f32_e32 v28, 0x80000000, v41
	s_delay_alu instid0(VALU_DEP_3) | instskip(SKIP_1) | instid1(VALU_DEP_2)
	v_dual_fmac_f32 v30, v46, v40 :: v_dual_fmac_f32 v25, 0x80000000, v41
	v_dual_fmac_f32 v31, 0, v40 :: v_dual_fmac_f32 v24, 0, v42
	v_dual_fmac_f32 v27, v49, v43 :: v_dual_fmac_f32 v30, 0x80000000, v41
	v_fmac_f32_e32 v29, 0, v42
	s_delay_alu instid0(VALU_DEP_3) | instskip(NEXT) | instid1(VALU_DEP_2)
	v_dual_fmac_f32 v31, v47, v41 :: v_dual_fmac_f32 v24, v48, v43
	v_dual_fmac_f32 v28, v49, v42 :: v_dual_fmac_f32 v29, v50, v43
	s_delay_alu instid0(VALU_DEP_1) | instskip(NEXT) | instid1(VALU_DEP_1)
	v_dual_fmac_f32 v25, v51, v42 :: v_dual_fmac_f32 v28, 0x80000000, v43
	v_dual_fmac_f32 v30, v50, v42 :: v_dual_fmac_f32 v25, 0x80000000, v43
	s_delay_alu instid0(VALU_DEP_1) | instskip(NEXT) | instid1(VALU_DEP_1)
	v_dual_fmac_f32 v31, 0, v42 :: v_dual_fmac_f32 v30, 0x80000000, v43
	v_fmac_f32_e32 v31, v51, v43
	s_and_not1_b32 exec_lo, exec_lo, s6
	s_cbranch_execnz .LBB129_35
; %bb.36:
	s_or_b32 exec_lo, exec_lo, s6
.LBB129_37:
	s_delay_alu instid0(SALU_CYCLE_1) | instskip(NEXT) | instid1(SALU_CYCLE_1)
	s_or_b32 exec_lo, exec_lo, s2
	s_mov_b32 s2, exec_lo
	v_cmpx_lt_u64_e32 0xbf, v[6:7]
	s_cbranch_execz .LBB129_41
; %bb.38:
	v_lshlrev_b64 v[6:7], 2, v[0:1]
	s_mov_b32 s6, 0
	s_delay_alu instid0(VALU_DEP_1) | instskip(NEXT) | instid1(VALU_DEP_2)
	v_add_co_u32 v6, vcc_lo, v6, s8
	v_add_co_ci_u32_e32 v7, vcc_lo, s9, v7, vcc_lo
	s_delay_alu instid0(VALU_DEP_2) | instskip(NEXT) | instid1(VALU_DEP_2)
	v_add_co_u32 v6, vcc_lo, 0x200, v6
	v_add_co_ci_u32_e32 v7, vcc_lo, 0, v7, vcc_lo
.LBB129_39:                             ; =>This Inner Loop Header: Depth=1
	s_clause 0x3
	global_load_b32 v76, v[6:7], off offset:-512
	global_load_b32 v77, v[6:7], off offset:-256
	global_load_b32 v78, v[6:7], off
	global_load_b32 v79, v[6:7], off offset:256
	s_clause 0x3
	global_load_b128 v[9:12], v[4:5], off offset:48
	global_load_b128 v[13:16], v[4:5], off offset:32
	;; [unrolled: 1-line block ×3, first 2 shown]
	global_load_b128 v[36:39], v[4:5], off
	v_add_co_u32 v17, vcc_lo, 0x1000, v4
	v_add_co_ci_u32_e32 v18, vcc_lo, 0, v5, vcc_lo
	v_add_co_u32 v56, vcc_lo, v4, 0x2000
	v_add_co_ci_u32_e32 v57, vcc_lo, 0, v5, vcc_lo
	;; [unrolled: 2-line block ×4, first 2 shown]
	s_clause 0x8
	global_load_b128 v[40:43], v[17:18], off offset:48
	global_load_b128 v[44:47], v[17:18], off offset:32
	;; [unrolled: 1-line block ×3, first 2 shown]
	global_load_b128 v[52:55], v[56:57], off offset:-4096
	global_load_b128 v[56:59], v[56:57], off
	global_load_b128 v[60:63], v[68:69], off offset:48
	global_load_b128 v[64:67], v[68:69], off offset:32
	;; [unrolled: 1-line block ×3, first 2 shown]
	global_load_b128 v[72:75], v[116:117], off
	s_waitcnt vmcnt(16)
	v_subrev_nc_u32_e32 v17, s12, v76
	s_waitcnt vmcnt(15)
	v_subrev_nc_u32_e32 v18, s12, v77
	;; [unrolled: 2-line block ×4, first 2 shown]
	v_lshlrev_b32_e32 v17, 2, v17
	v_lshlrev_b32_e32 v76, 2, v18
	;; [unrolled: 1-line block ×3, first 2 shown]
	s_delay_alu instid0(VALU_DEP_4) | instskip(NEXT) | instid1(VALU_DEP_4)
	v_lshlrev_b32_e32 v80, 2, v79
	v_ashrrev_i32_e32 v18, 31, v17
	s_delay_alu instid0(VALU_DEP_4) | instskip(NEXT) | instid1(VALU_DEP_4)
	v_ashrrev_i32_e32 v77, 31, v76
	v_ashrrev_i32_e32 v79, 31, v78
	s_delay_alu instid0(VALU_DEP_4) | instskip(NEXT) | instid1(VALU_DEP_4)
	v_ashrrev_i32_e32 v81, 31, v80
	v_lshlrev_b64 v[17:18], 3, v[17:18]
	s_delay_alu instid0(VALU_DEP_4) | instskip(NEXT) | instid1(VALU_DEP_4)
	v_lshlrev_b64 v[76:77], 3, v[76:77]
	v_lshlrev_b64 v[78:79], 3, v[78:79]
	s_delay_alu instid0(VALU_DEP_4) | instskip(SKIP_1) | instid1(VALU_DEP_4)
	v_lshlrev_b64 v[80:81], 3, v[80:81]
	s_waitcnt lgkmcnt(0)
	v_add_co_u32 v17, vcc_lo, s4, v17
	v_add_co_ci_u32_e32 v18, vcc_lo, s5, v18, vcc_lo
	v_add_co_u32 v88, vcc_lo, s4, v76
	v_add_co_ci_u32_e32 v89, vcc_lo, s5, v77, vcc_lo
	;; [unrolled: 2-line block ×4, first 2 shown]
	s_clause 0x6
	global_load_b128 v[76:79], v[17:18], off
	global_load_b128 v[80:83], v[17:18], off offset:16
	global_load_b128 v[84:87], v[88:89], off
	global_load_b128 v[88:91], v[88:89], off offset:16
	;; [unrolled: 2-line block ×3, first 2 shown]
	global_load_b128 v[100:103], v[112:113], off
	s_clause 0x1
	global_load_b128 v[104:107], v[116:117], off offset:16
	global_load_b128 v[108:111], v[116:117], off offset:32
	global_load_b128 v[112:115], v[112:113], off offset:16
	global_load_b128 v[116:119], v[116:117], off offset:48
	v_add_co_u32 v0, vcc_lo, 0x100, v0
	v_add_co_ci_u32_e32 v1, vcc_lo, 0, v1, vcc_lo
	v_add_co_u32 v6, vcc_lo, 0x400, v6
	v_add_co_ci_u32_e32 v7, vcc_lo, 0, v7, vcc_lo
	;; [unrolled: 2-line block ×3, first 2 shown]
	v_cmp_ge_i64_e32 vcc_lo, v[0:1], v[2:3]
	s_or_b32 s6, vcc_lo, s6
	s_waitcnt vmcnt(10)
	v_fmac_f32_e32 v29, 0, v76
	v_fmac_f32_e32 v26, v36, v76
	;; [unrolled: 1-line block ×8, first 2 shown]
	v_dual_fmac_f32 v31, 0, v76 :: v_dual_fmac_f32 v24, v36, v77
	v_fmac_f32_e32 v28, v37, v76
	v_fmac_f32_e32 v27, v37, v77
	;; [unrolled: 1-line block ×3, first 2 shown]
	s_delay_alu instid0(VALU_DEP_4) | instskip(SKIP_1) | instid1(VALU_DEP_4)
	v_fmac_f32_e32 v31, v39, v77
	v_dual_fmac_f32 v30, 0x80000000, v77 :: v_dual_fmac_f32 v29, 0, v78
	v_dual_fmac_f32 v28, 0x80000000, v77 :: v_dual_fmac_f32 v27, 0, v78
	v_fmac_f32_e32 v26, v32, v78
	s_delay_alu instid0(VALU_DEP_3) | instskip(SKIP_1) | instid1(VALU_DEP_4)
	v_dual_fmac_f32 v24, 0, v78 :: v_dual_fmac_f32 v29, v34, v79
	v_fmac_f32_e32 v31, 0, v78
	v_fmac_f32_e32 v27, v33, v79
	s_delay_alu instid0(VALU_DEP_4) | instskip(SKIP_3) | instid1(VALU_DEP_4)
	v_dual_fmac_f32 v25, v35, v78 :: v_dual_fmac_f32 v26, 0x80000000, v79
	v_fmac_f32_e32 v30, v34, v78
	v_fmac_f32_e32 v24, v32, v79
	v_dual_fmac_f32 v28, v33, v78 :: v_dual_fmac_f32 v31, v35, v79
	v_fmac_f32_e32 v25, 0x80000000, v79
	s_waitcnt vmcnt(9)
	v_dual_fmac_f32 v30, 0x80000000, v79 :: v_dual_fmac_f32 v29, 0, v80
	s_delay_alu instid0(VALU_DEP_3) | instskip(SKIP_1) | instid1(VALU_DEP_3)
	v_dual_fmac_f32 v28, 0x80000000, v79 :: v_dual_fmac_f32 v27, 0, v80
	v_fmac_f32_e32 v26, v13, v80
	v_dual_fmac_f32 v24, 0, v80 :: v_dual_fmac_f32 v29, v15, v81
	v_fmac_f32_e32 v31, 0, v80
	s_delay_alu instid0(VALU_DEP_4) | instskip(NEXT) | instid1(VALU_DEP_4)
	v_fmac_f32_e32 v27, v14, v81
	v_dual_fmac_f32 v25, v16, v80 :: v_dual_fmac_f32 v26, 0x80000000, v81
	v_fmac_f32_e32 v30, v15, v80
	v_fmac_f32_e32 v24, v13, v81
	v_dual_fmac_f32 v28, v14, v80 :: v_dual_fmac_f32 v31, v16, v81
	s_delay_alu instid0(VALU_DEP_4) | instskip(NEXT) | instid1(VALU_DEP_4)
	v_fmac_f32_e32 v25, 0x80000000, v81
	v_dual_fmac_f32 v30, 0x80000000, v81 :: v_dual_fmac_f32 v29, 0, v82
	s_delay_alu instid0(VALU_DEP_3) | instskip(SKIP_1) | instid1(VALU_DEP_3)
	v_dual_fmac_f32 v28, 0x80000000, v81 :: v_dual_fmac_f32 v27, 0, v82
	v_fmac_f32_e32 v26, v9, v82
	v_dual_fmac_f32 v24, 0, v82 :: v_dual_fmac_f32 v29, v11, v83
	v_fmac_f32_e32 v31, 0, v82
	s_delay_alu instid0(VALU_DEP_4) | instskip(NEXT) | instid1(VALU_DEP_4)
	v_fmac_f32_e32 v27, v10, v83
	v_dual_fmac_f32 v25, v12, v82 :: v_dual_fmac_f32 v26, 0x80000000, v83
	v_fmac_f32_e32 v30, v11, v82
	v_fmac_f32_e32 v24, v9, v83
	v_dual_fmac_f32 v28, v10, v82 :: v_dual_fmac_f32 v31, v12, v83
	s_delay_alu instid0(VALU_DEP_4) | instskip(SKIP_2) | instid1(VALU_DEP_3)
	v_fmac_f32_e32 v25, 0x80000000, v83
	s_waitcnt vmcnt(8)
	v_dual_fmac_f32 v30, 0x80000000, v83 :: v_dual_fmac_f32 v29, 0, v84
	v_dual_fmac_f32 v28, 0x80000000, v83 :: v_dual_fmac_f32 v27, 0, v84
	v_fmac_f32_e32 v26, v52, v84
	s_delay_alu instid0(VALU_DEP_3) | instskip(SKIP_1) | instid1(VALU_DEP_4)
	v_dual_fmac_f32 v24, 0, v84 :: v_dual_fmac_f32 v29, v54, v85
	v_fmac_f32_e32 v31, 0, v84
	v_fmac_f32_e32 v27, v53, v85
	s_delay_alu instid0(VALU_DEP_4) | instskip(SKIP_3) | instid1(VALU_DEP_4)
	v_dual_fmac_f32 v25, v55, v84 :: v_dual_fmac_f32 v26, 0x80000000, v85
	v_fmac_f32_e32 v28, v53, v84
	v_fmac_f32_e32 v24, v52, v85
	v_dual_fmac_f32 v30, v54, v84 :: v_dual_fmac_f32 v31, v55, v85
	v_fmac_f32_e32 v25, 0x80000000, v85
	s_delay_alu instid0(VALU_DEP_4) | instskip(NEXT) | instid1(VALU_DEP_3)
	v_dual_fmac_f32 v28, 0x80000000, v85 :: v_dual_fmac_f32 v27, 0, v86
	v_dual_fmac_f32 v30, 0x80000000, v85 :: v_dual_fmac_f32 v29, 0, v86
	v_fmac_f32_e32 v26, v48, v86
	s_delay_alu instid0(VALU_DEP_3) | instskip(SKIP_1) | instid1(VALU_DEP_4)
	v_dual_fmac_f32 v24, 0, v86 :: v_dual_fmac_f32 v27, v49, v87
	v_fmac_f32_e32 v25, v51, v86
	v_fmac_f32_e32 v29, v50, v87
	s_delay_alu instid0(VALU_DEP_4) | instskip(SKIP_4) | instid1(VALU_DEP_3)
	v_fmac_f32_e32 v26, 0x80000000, v87
	v_fmac_f32_e32 v28, v49, v86
	v_dual_fmac_f32 v31, 0, v86 :: v_dual_fmac_f32 v24, v48, v87
	v_dual_fmac_f32 v30, v50, v86 :: v_dual_fmac_f32 v25, 0x80000000, v87
	s_waitcnt vmcnt(7)
	v_dual_fmac_f32 v28, 0x80000000, v87 :: v_dual_fmac_f32 v27, 0, v88
	s_delay_alu instid0(VALU_DEP_3) | instskip(NEXT) | instid1(VALU_DEP_3)
	v_fmac_f32_e32 v31, v51, v87
	v_dual_fmac_f32 v30, 0x80000000, v87 :: v_dual_fmac_f32 v29, 0, v88
	s_delay_alu instid0(VALU_DEP_3) | instskip(SKIP_2) | instid1(VALU_DEP_4)
	v_dual_fmac_f32 v26, v44, v88 :: v_dual_fmac_f32 v27, v45, v89
	v_fmac_f32_e32 v24, 0, v88
	v_fmac_f32_e32 v25, v47, v88
	v_fmac_f32_e32 v29, v46, v89
	s_delay_alu instid0(VALU_DEP_4) | instskip(SKIP_3) | instid1(VALU_DEP_3)
	v_fmac_f32_e32 v26, 0x80000000, v89
	v_fmac_f32_e32 v28, v45, v88
	v_dual_fmac_f32 v31, 0, v88 :: v_dual_fmac_f32 v24, v44, v89
	v_dual_fmac_f32 v30, v46, v88 :: v_dual_fmac_f32 v25, 0x80000000, v89
	v_dual_fmac_f32 v28, 0x80000000, v89 :: v_dual_fmac_f32 v27, 0, v90
	s_delay_alu instid0(VALU_DEP_3) | instskip(NEXT) | instid1(VALU_DEP_3)
	v_fmac_f32_e32 v31, v47, v89
	v_dual_fmac_f32 v30, 0x80000000, v89 :: v_dual_fmac_f32 v29, 0, v90
	s_delay_alu instid0(VALU_DEP_3) | instskip(SKIP_2) | instid1(VALU_DEP_4)
	v_dual_fmac_f32 v26, v40, v90 :: v_dual_fmac_f32 v27, v41, v91
	v_fmac_f32_e32 v24, 0, v90
	v_fmac_f32_e32 v25, v43, v90
	v_fmac_f32_e32 v29, v42, v91
	s_delay_alu instid0(VALU_DEP_4) | instskip(SKIP_4) | instid1(VALU_DEP_3)
	v_fmac_f32_e32 v26, 0x80000000, v91
	v_fmac_f32_e32 v28, v41, v90
	v_dual_fmac_f32 v31, 0, v90 :: v_dual_fmac_f32 v24, v40, v91
	v_dual_fmac_f32 v30, v42, v90 :: v_dual_fmac_f32 v25, 0x80000000, v91
	s_waitcnt vmcnt(6)
	v_dual_fmac_f32 v28, 0x80000000, v91 :: v_dual_fmac_f32 v27, 0, v92
	s_delay_alu instid0(VALU_DEP_3) | instskip(NEXT) | instid1(VALU_DEP_3)
	v_fmac_f32_e32 v31, v43, v91
	v_dual_fmac_f32 v30, 0x80000000, v91 :: v_dual_fmac_f32 v29, 0, v92
	s_delay_alu instid0(VALU_DEP_3) | instskip(SKIP_2) | instid1(VALU_DEP_4)
	v_dual_fmac_f32 v26, v56, v92 :: v_dual_fmac_f32 v27, v57, v93
	v_fmac_f32_e32 v24, 0, v92
	v_fmac_f32_e32 v25, v59, v92
	v_fmac_f32_e32 v29, v58, v93
	s_delay_alu instid0(VALU_DEP_4) | instskip(SKIP_3) | instid1(VALU_DEP_3)
	v_fmac_f32_e32 v26, 0x80000000, v93
	v_fmac_f32_e32 v28, v57, v92
	v_dual_fmac_f32 v31, 0, v92 :: v_dual_fmac_f32 v24, v56, v93
	v_dual_fmac_f32 v30, v58, v92 :: v_dual_fmac_f32 v25, 0x80000000, v93
	v_dual_fmac_f32 v28, 0x80000000, v93 :: v_dual_fmac_f32 v27, 0, v94
	s_delay_alu instid0(VALU_DEP_3) | instskip(NEXT) | instid1(VALU_DEP_3)
	v_fmac_f32_e32 v31, v59, v93
	v_dual_fmac_f32 v30, 0x80000000, v93 :: v_dual_fmac_f32 v29, 0, v94
	s_delay_alu instid0(VALU_DEP_3) | instskip(SKIP_2) | instid1(VALU_DEP_4)
	v_dual_fmac_f32 v26, v68, v94 :: v_dual_fmac_f32 v27, v69, v95
	v_fmac_f32_e32 v24, 0, v94
	;; [unrolled: 29-line block ×3, first 2 shown]
	v_fmac_f32_e32 v25, v63, v98
	v_fmac_f32_e32 v29, v62, v99
	s_delay_alu instid0(VALU_DEP_4) | instskip(SKIP_4) | instid1(VALU_DEP_3)
	v_fmac_f32_e32 v26, 0x80000000, v99
	v_fmac_f32_e32 v28, v61, v98
	v_dual_fmac_f32 v31, 0, v98 :: v_dual_fmac_f32 v24, v60, v99
	v_dual_fmac_f32 v30, v62, v98 :: v_dual_fmac_f32 v25, 0x80000000, v99
	s_waitcnt vmcnt(4)
	v_dual_fmac_f32 v28, 0x80000000, v99 :: v_dual_fmac_f32 v27, 0, v100
	s_delay_alu instid0(VALU_DEP_3) | instskip(NEXT) | instid1(VALU_DEP_3)
	v_fmac_f32_e32 v31, v63, v99
	v_dual_fmac_f32 v30, 0x80000000, v99 :: v_dual_fmac_f32 v29, 0, v100
	s_delay_alu instid0(VALU_DEP_3) | instskip(SKIP_2) | instid1(VALU_DEP_4)
	v_dual_fmac_f32 v26, v72, v100 :: v_dual_fmac_f32 v27, v73, v101
	v_fmac_f32_e32 v24, 0, v100
	v_fmac_f32_e32 v25, v75, v100
	;; [unrolled: 1-line block ×3, first 2 shown]
	s_delay_alu instid0(VALU_DEP_4) | instskip(SKIP_3) | instid1(VALU_DEP_3)
	v_fmac_f32_e32 v26, 0x80000000, v101
	v_fmac_f32_e32 v28, v73, v100
	v_dual_fmac_f32 v31, 0, v100 :: v_dual_fmac_f32 v24, v72, v101
	v_dual_fmac_f32 v30, v74, v100 :: v_dual_fmac_f32 v25, 0x80000000, v101
	;; [unrolled: 1-line block ×3, first 2 shown]
	s_delay_alu instid0(VALU_DEP_3) | instskip(NEXT) | instid1(VALU_DEP_3)
	v_fmac_f32_e32 v31, v75, v101
	v_dual_fmac_f32 v30, 0x80000000, v101 :: v_dual_fmac_f32 v29, 0, v102
	s_waitcnt vmcnt(3)
	s_delay_alu instid0(VALU_DEP_3) | instskip(SKIP_3) | instid1(VALU_DEP_4)
	v_dual_fmac_f32 v26, v104, v102 :: v_dual_fmac_f32 v27, v105, v103
	v_fmac_f32_e32 v24, 0, v102
	v_fmac_f32_e32 v25, v107, v102
	;; [unrolled: 1-line block ×5, first 2 shown]
	v_dual_fmac_f32 v31, 0, v102 :: v_dual_fmac_f32 v24, v104, v103
	v_dual_fmac_f32 v30, v106, v102 :: v_dual_fmac_f32 v25, 0x80000000, v103
	s_waitcnt vmcnt(1)
	s_delay_alu instid0(VALU_DEP_3) | instskip(NEXT) | instid1(VALU_DEP_3)
	v_dual_fmac_f32 v28, 0x80000000, v103 :: v_dual_fmac_f32 v27, 0, v112
	v_fmac_f32_e32 v31, v107, v103
	s_delay_alu instid0(VALU_DEP_3) | instskip(NEXT) | instid1(VALU_DEP_3)
	v_dual_fmac_f32 v30, 0x80000000, v103 :: v_dual_fmac_f32 v29, 0, v112
	v_dual_fmac_f32 v26, v108, v112 :: v_dual_fmac_f32 v27, v109, v113
	v_fmac_f32_e32 v24, 0, v112
	v_fmac_f32_e32 v25, v111, v112
	s_delay_alu instid0(VALU_DEP_4) | instskip(NEXT) | instid1(VALU_DEP_4)
	v_fmac_f32_e32 v29, v110, v113
	v_fmac_f32_e32 v26, 0x80000000, v113
	;; [unrolled: 1-line block ×3, first 2 shown]
	v_dual_fmac_f32 v31, 0, v112 :: v_dual_fmac_f32 v24, v108, v113
	v_dual_fmac_f32 v30, v110, v112 :: v_dual_fmac_f32 v25, 0x80000000, v113
	s_delay_alu instid0(VALU_DEP_3) | instskip(NEXT) | instid1(VALU_DEP_3)
	v_dual_fmac_f32 v28, 0x80000000, v113 :: v_dual_fmac_f32 v27, 0, v114
	v_fmac_f32_e32 v31, v111, v113
	s_delay_alu instid0(VALU_DEP_3) | instskip(SKIP_1) | instid1(VALU_DEP_3)
	v_dual_fmac_f32 v30, 0x80000000, v113 :: v_dual_fmac_f32 v29, 0, v114
	s_waitcnt vmcnt(0)
	v_dual_fmac_f32 v26, v116, v114 :: v_dual_fmac_f32 v27, v117, v115
	v_fmac_f32_e32 v24, 0, v114
	v_fmac_f32_e32 v25, v119, v114
	;; [unrolled: 1-line block ×3, first 2 shown]
	s_delay_alu instid0(VALU_DEP_4) | instskip(SKIP_3) | instid1(VALU_DEP_3)
	v_fmac_f32_e32 v26, 0x80000000, v115
	v_fmac_f32_e32 v28, v117, v114
	v_dual_fmac_f32 v31, 0, v114 :: v_dual_fmac_f32 v24, v116, v115
	v_dual_fmac_f32 v30, v118, v114 :: v_dual_fmac_f32 v25, 0x80000000, v115
	v_fmac_f32_e32 v28, 0x80000000, v115
	s_delay_alu instid0(VALU_DEP_3) | instskip(NEXT) | instid1(VALU_DEP_3)
	v_fmac_f32_e32 v31, v119, v115
	v_fmac_f32_e32 v30, 0x80000000, v115
	s_and_not1_b32 exec_lo, exec_lo, s6
	s_cbranch_execnz .LBB129_39
; %bb.40:
	s_or_b32 exec_lo, exec_lo, s6
.LBB129_41:
	s_delay_alu instid0(SALU_CYCLE_1)
	s_or_b32 exec_lo, exec_lo, s2
.LBB129_42:
	s_delay_alu instid0(SALU_CYCLE_1)
	s_or_b32 exec_lo, exec_lo, s3
.LBB129_43:
	v_mbcnt_lo_u32_b32 v0, -1, 0
	s_delay_alu instid0(VALU_DEP_1) | instskip(SKIP_2) | instid1(VALU_DEP_3)
	v_or_b32_e32 v1, 32, v0
	v_xor_b32_e32 v10, 16, v0
	v_xor_b32_e32 v18, 8, v0
	v_cmp_gt_i32_e32 vcc_lo, 32, v1
	v_cndmask_b32_e32 v1, v0, v1, vcc_lo
	s_delay_alu instid0(VALU_DEP_4) | instskip(SKIP_2) | instid1(VALU_DEP_2)
	v_cmp_gt_i32_e32 vcc_lo, 32, v10
	v_cndmask_b32_e32 v10, v0, v10, vcc_lo
	v_cmp_gt_i32_e32 vcc_lo, 32, v18
	v_lshlrev_b32_e32 v10, 2, v10
	v_dual_cndmask_b32 v18, v0, v18 :: v_dual_lshlrev_b32 v1, 2, v1
	ds_bpermute_b32 v2, v1, v26
	v_lshlrev_b32_e32 v18, 2, v18
	s_waitcnt lgkmcnt(0)
	v_add_f32_e32 v2, v26, v2
	ds_bpermute_b32 v4, v1, v28
	ds_bpermute_b32 v3, v1, v24
	ds_bpermute_b32 v5, v1, v27
	ds_bpermute_b32 v7, v1, v29
	ds_bpermute_b32 v6, v1, v30
	ds_bpermute_b32 v9, v1, v25
	ds_bpermute_b32 v1, v1, v31
	ds_bpermute_b32 v11, v10, v2
	s_waitcnt lgkmcnt(7)
	v_add_f32_e32 v4, v28, v4
	s_waitcnt lgkmcnt(6)
	v_add_f32_e32 v3, v24, v3
	;; [unrolled: 2-line block ×3, first 2 shown]
	s_waitcnt lgkmcnt(3)
	v_dual_add_f32 v7, v29, v7 :: v_dual_add_f32 v6, v30, v6
	ds_bpermute_b32 v13, v10, v4
	ds_bpermute_b32 v12, v10, v3
	;; [unrolled: 1-line block ×3, first 2 shown]
	s_waitcnt lgkmcnt(5)
	v_add_f32_e32 v9, v25, v9
	s_waitcnt lgkmcnt(4)
	v_add_f32_e32 v1, v31, v1
	ds_bpermute_b32 v15, v10, v6
	ds_bpermute_b32 v16, v10, v7
	s_waitcnt lgkmcnt(5)
	v_add_f32_e32 v2, v2, v11
	ds_bpermute_b32 v17, v10, v9
	ds_bpermute_b32 v10, v10, v1
	s_waitcnt lgkmcnt(5)
	v_dual_add_f32 v4, v4, v13 :: v_dual_add_f32 v3, v3, v12
	s_waitcnt lgkmcnt(4)
	v_add_f32_e32 v5, v5, v14
	ds_bpermute_b32 v12, v18, v4
	s_waitcnt lgkmcnt(3)
	v_dual_add_f32 v6, v6, v15 :: v_dual_add_f32 v7, v7, v16
	s_waitcnt lgkmcnt(2)
	v_add_f32_e32 v9, v9, v17
	s_waitcnt lgkmcnt(1)
	v_add_f32_e32 v1, v1, v10
	ds_bpermute_b32 v10, v18, v2
	ds_bpermute_b32 v11, v18, v3
	ds_bpermute_b32 v13, v18, v5
	ds_bpermute_b32 v14, v18, v6
	ds_bpermute_b32 v15, v18, v7
	ds_bpermute_b32 v16, v18, v9
	s_waitcnt lgkmcnt(6)
	v_add_f32_e32 v4, v4, v12
	ds_bpermute_b32 v17, v18, v1
	v_xor_b32_e32 v18, 4, v0
	s_waitcnt lgkmcnt(5)
	v_dual_add_f32 v2, v2, v10 :: v_dual_add_f32 v3, v3, v11
	s_waitcnt lgkmcnt(4)
	v_add_f32_e32 v5, v5, v13
	v_cmp_gt_i32_e32 vcc_lo, 32, v18
	s_waitcnt lgkmcnt(2)
	v_dual_add_f32 v6, v6, v14 :: v_dual_add_f32 v7, v7, v15
	s_waitcnt lgkmcnt(1)
	v_dual_cndmask_b32 v18, v0, v18 :: v_dual_add_f32 v9, v9, v16
	s_waitcnt lgkmcnt(0)
	s_delay_alu instid0(VALU_DEP_1)
	v_dual_add_f32 v1, v1, v17 :: v_dual_lshlrev_b32 v18, 2, v18
	ds_bpermute_b32 v10, v18, v2
	ds_bpermute_b32 v11, v18, v3
	;; [unrolled: 1-line block ×8, first 2 shown]
	v_xor_b32_e32 v18, 2, v0
	s_delay_alu instid0(VALU_DEP_1)
	v_cmp_gt_i32_e32 vcc_lo, 32, v18
	v_cndmask_b32_e32 v18, v0, v18, vcc_lo
	s_waitcnt lgkmcnt(6)
	v_dual_add_f32 v2, v2, v10 :: v_dual_add_f32 v3, v3, v11
	s_waitcnt lgkmcnt(4)
	v_dual_add_f32 v4, v4, v12 :: v_dual_add_f32 v5, v5, v13
	v_lshlrev_b32_e32 v18, 2, v18
	s_waitcnt lgkmcnt(2)
	v_dual_add_f32 v6, v6, v14 :: v_dual_add_f32 v7, v7, v15
	s_waitcnt lgkmcnt(1)
	v_add_f32_e32 v9, v9, v16
	ds_bpermute_b32 v11, v18, v3
	s_waitcnt lgkmcnt(1)
	v_add_f32_e32 v10, v1, v17
	ds_bpermute_b32 v1, v18, v2
	ds_bpermute_b32 v12, v18, v4
	;; [unrolled: 1-line block ×7, first 2 shown]
	v_xor_b32_e32 v18, 1, v0
	s_delay_alu instid0(VALU_DEP_1) | instskip(SKIP_2) | instid1(VALU_DEP_2)
	v_cmp_gt_i32_e32 vcc_lo, 32, v18
	v_cndmask_b32_e32 v0, v0, v18, vcc_lo
	v_cmp_eq_u32_e32 vcc_lo, 63, v23
	v_lshlrev_b32_e32 v18, 2, v0
	s_waitcnt lgkmcnt(6)
	v_dual_add_f32 v0, v2, v1 :: v_dual_add_f32 v1, v3, v11
	s_waitcnt lgkmcnt(4)
	v_dual_add_f32 v2, v4, v12 :: v_dual_add_f32 v3, v5, v13
	s_waitcnt lgkmcnt(2)
	v_dual_add_f32 v4, v6, v14 :: v_dual_add_f32 v5, v7, v15
	s_waitcnt lgkmcnt(0)
	v_dual_add_f32 v7, v10, v17 :: v_dual_add_f32 v6, v9, v16
	ds_bpermute_b32 v9, v18, v0
	ds_bpermute_b32 v10, v18, v1
	;; [unrolled: 1-line block ×8, first 2 shown]
	s_and_b32 exec_lo, exec_lo, vcc_lo
	s_cbranch_execz .LBB129_13
; %bb.44:
	s_load_b64 s[2:3], s[0:1], 0x50
	s_waitcnt lgkmcnt(0)
	v_dual_add_f32 v9, v0, v9 :: v_dual_add_f32 v0, v1, v10
	v_dual_add_f32 v10, v2, v11 :: v_dual_add_f32 v1, v3, v12
	;; [unrolled: 1-line block ×4, first 2 shown]
	s_delay_alu instid0(VALU_DEP_4)
	v_mul_f32_e64 v4, v0, -v22
	v_dual_mul_f32 v5, v0, v21 :: v_dual_lshlrev_b32 v8, 2, v8
	v_mul_f32_e64 v6, v1, -v22
	v_mul_f32_e32 v7, v1, v21
	v_mul_f32_e64 v0, v2, -v22
	v_mul_f32_e32 v1, v2, v21
	v_mul_f32_e64 v2, v3, -v22
	v_dual_fmac_f32 v6, v21, v10 :: v_dual_mul_f32 v3, v3, v21
	s_delay_alu instid0(VALU_DEP_4)
	v_fmac_f32_e32 v0, v21, v11
	v_cmp_eq_f32_e32 vcc_lo, 0, v19
	v_cmp_eq_f32_e64 s0, 0, v20
	v_dual_fmac_f32 v4, v21, v9 :: v_dual_fmac_f32 v7, v22, v10
	v_dual_fmac_f32 v5, v22, v9 :: v_dual_fmac_f32 v2, v21, v12
	v_fmac_f32_e32 v1, v22, v11
	v_fmac_f32_e32 v3, v22, v12
	s_and_b32 s0, vcc_lo, s0
	s_delay_alu instid0(SALU_CYCLE_1) | instskip(NEXT) | instid1(SALU_CYCLE_1)
	s_and_saveexec_b32 s1, s0
	s_xor_b32 s0, exec_lo, s1
; %bb.45:
	v_ashrrev_i32_e32 v9, 31, v8
                                        ; implicit-def: $vgpr19
                                        ; implicit-def: $vgpr20
	s_delay_alu instid0(VALU_DEP_1) | instskip(NEXT) | instid1(VALU_DEP_1)
	v_lshlrev_b64 v[8:9], 3, v[8:9]
	v_add_co_u32 v8, vcc_lo, s2, v8
	s_delay_alu instid0(VALU_DEP_2)
	v_add_co_ci_u32_e32 v9, vcc_lo, s3, v9, vcc_lo
	s_clause 0x1
	global_store_b128 v[8:9], v[4:7], off
	global_store_b128 v[8:9], v[0:3], off offset:16
                                        ; implicit-def: $vgpr4
                                        ; implicit-def: $vgpr8
                                        ; implicit-def: $vgpr0
; %bb.46:
	s_and_not1_saveexec_b32 s0, s0
	s_cbranch_execz .LBB129_13
; %bb.47:
	v_ashrrev_i32_e32 v9, 31, v8
	s_delay_alu instid0(VALU_DEP_1) | instskip(NEXT) | instid1(VALU_DEP_1)
	v_lshlrev_b64 v[8:9], 3, v[8:9]
	v_add_co_u32 v16, vcc_lo, s2, v8
	s_delay_alu instid0(VALU_DEP_2)
	v_add_co_ci_u32_e32 v17, vcc_lo, s3, v9, vcc_lo
	s_clause 0x1
	global_load_b128 v[8:11], v[16:17], off
	global_load_b128 v[12:15], v[16:17], off offset:16
	s_waitcnt vmcnt(1)
	v_dual_fmac_f32 v4, v19, v8 :: v_dual_fmac_f32 v7, v20, v10
	v_dual_fmac_f32 v5, v20, v8 :: v_dual_fmac_f32 v6, v19, v10
	s_waitcnt vmcnt(0)
	v_dual_fmac_f32 v0, v19, v12 :: v_dual_fmac_f32 v3, v20, v14
	v_dual_fmac_f32 v1, v20, v12 :: v_dual_fmac_f32 v2, v19, v14
	v_fma_f32 v4, -v20, v9, v4
	v_fmac_f32_e32 v5, v19, v9
	v_fma_f32 v6, -v20, v11, v6
	v_fmac_f32_e32 v7, v19, v11
	;; [unrolled: 2-line block ×4, first 2 shown]
	s_clause 0x1
	global_store_b128 v[16:17], v[4:7], off
	global_store_b128 v[16:17], v[0:3], off offset:16
	s_nop 0
	s_sendmsg sendmsg(MSG_DEALLOC_VGPRS)
	s_endpgm
	.section	.rodata,"a",@progbits
	.p2align	6, 0x0
	.amdhsa_kernel _ZN9rocsparseL18bsrxmvn_4x4_kernelILj128ELj64E21rocsparse_complex_numIfElifS2_S2_EEvT3_20rocsparse_direction_NS_24const_host_device_scalarIT1_EES3_PKS3_PKT2_SC_S9_PKT4_PKT5_S7_PT6_21rocsparse_index_base_b
		.amdhsa_group_segment_fixed_size 0
		.amdhsa_private_segment_fixed_size 0
		.amdhsa_kernarg_size 96
		.amdhsa_user_sgpr_count 15
		.amdhsa_user_sgpr_dispatch_ptr 0
		.amdhsa_user_sgpr_queue_ptr 0
		.amdhsa_user_sgpr_kernarg_segment_ptr 1
		.amdhsa_user_sgpr_dispatch_id 0
		.amdhsa_user_sgpr_private_segment_size 0
		.amdhsa_wavefront_size32 1
		.amdhsa_uses_dynamic_stack 0
		.amdhsa_enable_private_segment 0
		.amdhsa_system_sgpr_workgroup_id_x 1
		.amdhsa_system_sgpr_workgroup_id_y 0
		.amdhsa_system_sgpr_workgroup_id_z 0
		.amdhsa_system_sgpr_workgroup_info 0
		.amdhsa_system_vgpr_workitem_id 0
		.amdhsa_next_free_vgpr 124
		.amdhsa_next_free_sgpr 16
		.amdhsa_reserve_vcc 1
		.amdhsa_float_round_mode_32 0
		.amdhsa_float_round_mode_16_64 0
		.amdhsa_float_denorm_mode_32 3
		.amdhsa_float_denorm_mode_16_64 3
		.amdhsa_dx10_clamp 1
		.amdhsa_ieee_mode 1
		.amdhsa_fp16_overflow 0
		.amdhsa_workgroup_processor_mode 1
		.amdhsa_memory_ordered 1
		.amdhsa_forward_progress 0
		.amdhsa_shared_vgpr_count 0
		.amdhsa_exception_fp_ieee_invalid_op 0
		.amdhsa_exception_fp_denorm_src 0
		.amdhsa_exception_fp_ieee_div_zero 0
		.amdhsa_exception_fp_ieee_overflow 0
		.amdhsa_exception_fp_ieee_underflow 0
		.amdhsa_exception_fp_ieee_inexact 0
		.amdhsa_exception_int_div_zero 0
	.end_amdhsa_kernel
	.section	.text._ZN9rocsparseL18bsrxmvn_4x4_kernelILj128ELj64E21rocsparse_complex_numIfElifS2_S2_EEvT3_20rocsparse_direction_NS_24const_host_device_scalarIT1_EES3_PKS3_PKT2_SC_S9_PKT4_PKT5_S7_PT6_21rocsparse_index_base_b,"axG",@progbits,_ZN9rocsparseL18bsrxmvn_4x4_kernelILj128ELj64E21rocsparse_complex_numIfElifS2_S2_EEvT3_20rocsparse_direction_NS_24const_host_device_scalarIT1_EES3_PKS3_PKT2_SC_S9_PKT4_PKT5_S7_PT6_21rocsparse_index_base_b,comdat
.Lfunc_end129:
	.size	_ZN9rocsparseL18bsrxmvn_4x4_kernelILj128ELj64E21rocsparse_complex_numIfElifS2_S2_EEvT3_20rocsparse_direction_NS_24const_host_device_scalarIT1_EES3_PKS3_PKT2_SC_S9_PKT4_PKT5_S7_PT6_21rocsparse_index_base_b, .Lfunc_end129-_ZN9rocsparseL18bsrxmvn_4x4_kernelILj128ELj64E21rocsparse_complex_numIfElifS2_S2_EEvT3_20rocsparse_direction_NS_24const_host_device_scalarIT1_EES3_PKS3_PKT2_SC_S9_PKT4_PKT5_S7_PT6_21rocsparse_index_base_b
                                        ; -- End function
	.section	.AMDGPU.csdata,"",@progbits
; Kernel info:
; codeLenInByte = 7920
; NumSgprs: 18
; NumVgprs: 124
; ScratchSize: 0
; MemoryBound: 0
; FloatMode: 240
; IeeeMode: 1
; LDSByteSize: 0 bytes/workgroup (compile time only)
; SGPRBlocks: 2
; VGPRBlocks: 15
; NumSGPRsForWavesPerEU: 18
; NumVGPRsForWavesPerEU: 124
; Occupancy: 10
; WaveLimiterHint : 1
; COMPUTE_PGM_RSRC2:SCRATCH_EN: 0
; COMPUTE_PGM_RSRC2:USER_SGPR: 15
; COMPUTE_PGM_RSRC2:TRAP_HANDLER: 0
; COMPUTE_PGM_RSRC2:TGID_X_EN: 1
; COMPUTE_PGM_RSRC2:TGID_Y_EN: 0
; COMPUTE_PGM_RSRC2:TGID_Z_EN: 0
; COMPUTE_PGM_RSRC2:TIDIG_COMP_CNT: 0
	.section	.text._ZN9rocsparseL18bsrxmvn_4x4_kernelILj128ELj4E21rocsparse_complex_numIfEllfS2_S2_EEvT3_20rocsparse_direction_NS_24const_host_device_scalarIT1_EES3_PKS3_PKT2_SC_S9_PKT4_PKT5_S7_PT6_21rocsparse_index_base_b,"axG",@progbits,_ZN9rocsparseL18bsrxmvn_4x4_kernelILj128ELj4E21rocsparse_complex_numIfEllfS2_S2_EEvT3_20rocsparse_direction_NS_24const_host_device_scalarIT1_EES3_PKS3_PKT2_SC_S9_PKT4_PKT5_S7_PT6_21rocsparse_index_base_b,comdat
	.globl	_ZN9rocsparseL18bsrxmvn_4x4_kernelILj128ELj4E21rocsparse_complex_numIfEllfS2_S2_EEvT3_20rocsparse_direction_NS_24const_host_device_scalarIT1_EES3_PKS3_PKT2_SC_S9_PKT4_PKT5_S7_PT6_21rocsparse_index_base_b ; -- Begin function _ZN9rocsparseL18bsrxmvn_4x4_kernelILj128ELj4E21rocsparse_complex_numIfEllfS2_S2_EEvT3_20rocsparse_direction_NS_24const_host_device_scalarIT1_EES3_PKS3_PKT2_SC_S9_PKT4_PKT5_S7_PT6_21rocsparse_index_base_b
	.p2align	8
	.type	_ZN9rocsparseL18bsrxmvn_4x4_kernelILj128ELj4E21rocsparse_complex_numIfEllfS2_S2_EEvT3_20rocsparse_direction_NS_24const_host_device_scalarIT1_EES3_PKS3_PKT2_SC_S9_PKT4_PKT5_S7_PT6_21rocsparse_index_base_b,@function
_ZN9rocsparseL18bsrxmvn_4x4_kernelILj128ELj4E21rocsparse_complex_numIfEllfS2_S2_EEvT3_20rocsparse_direction_NS_24const_host_device_scalarIT1_EES3_PKS3_PKT2_SC_S9_PKT4_PKT5_S7_PT6_21rocsparse_index_base_b: ; @_ZN9rocsparseL18bsrxmvn_4x4_kernelILj128ELj4E21rocsparse_complex_numIfEllfS2_S2_EEvT3_20rocsparse_direction_NS_24const_host_device_scalarIT1_EES3_PKS3_PKT2_SC_S9_PKT4_PKT5_S7_PT6_21rocsparse_index_base_b
; %bb.0:
	s_clause 0x2
	s_load_b64 s[12:13], s[0:1], 0x60
	s_load_b128 s[4:7], s[0:1], 0x10
	s_load_b64 s[2:3], s[0:1], 0x50
	s_waitcnt lgkmcnt(0)
	s_bitcmp1_b32 s13, 0
	v_mov_b32_e32 v22, s4
	s_cselect_b32 s8, -1, 0
	s_delay_alu instid0(SALU_CYCLE_1)
	s_and_b32 vcc_lo, exec_lo, s8
	s_xor_b32 s8, s8, -1
	s_cbranch_vccz .LBB130_14
; %bb.1:
	v_cndmask_b32_e64 v1, 0, 1, s8
	v_mov_b32_e32 v23, s5
	s_and_not1_b32 vcc_lo, exec_lo, s8
	s_cbranch_vccz .LBB130_15
.LBB130_2:
	s_delay_alu instid0(VALU_DEP_2)
	v_cmp_ne_u32_e32 vcc_lo, 1, v1
	v_mov_b32_e32 v20, s2
	s_cbranch_vccz .LBB130_16
.LBB130_3:
	v_cmp_ne_u32_e32 vcc_lo, 1, v1
	v_mov_b32_e32 v21, s3
	s_cbranch_vccnz .LBB130_5
.LBB130_4:
	v_dual_mov_b32 v1, s2 :: v_dual_mov_b32 v2, s3
	flat_load_b32 v21, v[1:2] offset:4
.LBB130_5:
	s_waitcnt vmcnt(0) lgkmcnt(0)
	v_cmp_eq_f32_e32 vcc_lo, 0, v22
	v_cmp_eq_f32_e64 s2, 0, v23
	s_delay_alu instid0(VALU_DEP_1)
	s_and_b32 s4, vcc_lo, s2
	s_mov_b32 s2, -1
	s_and_saveexec_b32 s3, s4
; %bb.6:
	v_cmp_neq_f32_e32 vcc_lo, 1.0, v20
	v_cmp_neq_f32_e64 s2, 0, v21
	s_delay_alu instid0(VALU_DEP_1) | instskip(NEXT) | instid1(SALU_CYCLE_1)
	s_or_b32 s2, vcc_lo, s2
	s_or_not1_b32 s2, s2, exec_lo
; %bb.7:
	s_or_b32 exec_lo, exec_lo, s3
	s_and_saveexec_b32 s3, s2
	s_cbranch_execz .LBB130_13
; %bb.8:
	s_load_b64 s[4:5], s[0:1], 0x20
	v_lshrrev_b32_e32 v1, 2, v0
	v_mov_b32_e32 v2, 0
	s_mov_b32 s8, 0
	s_delay_alu instid0(VALU_DEP_2)
	v_lshl_or_b32 v1, s15, 5, v1
	s_waitcnt lgkmcnt(0)
	s_cmp_lg_u64 s[4:5], 0
	s_cbranch_scc0 .LBB130_17
; %bb.9:
	s_delay_alu instid0(VALU_DEP_1) | instskip(SKIP_2) | instid1(SALU_CYCLE_1)
	v_cmp_gt_i64_e32 vcc_lo, s[6:7], v[1:2]
	s_mov_b32 s6, 0
                                        ; implicit-def: $vgpr8_vgpr9
	s_and_saveexec_b32 s2, vcc_lo
	s_xor_b32 s7, exec_lo, s2
                                        ; implicit-def: $sgpr2_sgpr3
	s_cbranch_execz .LBB130_11
; %bb.10:
	v_lshlrev_b64 v[3:4], 3, v[1:2]
	s_mov_b32 s8, exec_lo
	s_mov_b32 s3, 0
	s_delay_alu instid0(VALU_DEP_1) | instskip(NEXT) | instid1(VALU_DEP_2)
	v_add_co_u32 v3, vcc_lo, s4, v3
	v_add_co_ci_u32_e32 v4, vcc_lo, s5, v4, vcc_lo
	global_load_b64 v[3:4], v[3:4], off
	s_waitcnt vmcnt(0)
	v_sub_co_u32 v8, vcc_lo, v3, s12
	v_subrev_co_ci_u32_e32 v9, vcc_lo, 0, v4, vcc_lo
.LBB130_11:
	s_or_b32 exec_lo, exec_lo, s7
	s_delay_alu instid0(SALU_CYCLE_1)
	s_and_b32 vcc_lo, exec_lo, s6
	s_cbranch_vccnz .LBB130_18
.LBB130_12:
	s_and_b32 exec_lo, exec_lo, s8
	s_cbranch_execnz .LBB130_21
.LBB130_13:
	s_nop 0
	s_sendmsg sendmsg(MSG_DEALLOC_VGPRS)
	s_endpgm
.LBB130_14:
	v_dual_mov_b32 v1, s4 :: v_dual_mov_b32 v2, s5
	flat_load_b32 v22, v[1:2]
	v_cndmask_b32_e64 v1, 0, 1, s8
	v_mov_b32_e32 v23, s5
	s_and_not1_b32 vcc_lo, exec_lo, s8
	s_cbranch_vccnz .LBB130_2
.LBB130_15:
	v_dual_mov_b32 v2, s4 :: v_dual_mov_b32 v3, s5
	flat_load_b32 v23, v[2:3] offset:4
	v_cmp_ne_u32_e32 vcc_lo, 1, v1
	v_mov_b32_e32 v20, s2
	s_cbranch_vccnz .LBB130_3
.LBB130_16:
	v_dual_mov_b32 v2, s2 :: v_dual_mov_b32 v3, s3
	flat_load_b32 v20, v[2:3]
	v_cmp_ne_u32_e32 vcc_lo, 1, v1
	v_mov_b32_e32 v21, s3
	s_cbranch_vccz .LBB130_4
	s_branch .LBB130_5
.LBB130_17:
                                        ; implicit-def: $vgpr8_vgpr9
                                        ; implicit-def: $sgpr2_sgpr3
	s_cbranch_execz .LBB130_12
.LBB130_18:
	s_load_b64 s[2:3], s[0:1], 0x0
	s_mov_b32 s4, exec_lo
                                        ; implicit-def: $vgpr8_vgpr9
	s_waitcnt lgkmcnt(0)
	v_cmpx_gt_i64_e64 s[2:3], v[1:2]
                                        ; implicit-def: $sgpr2_sgpr3
; %bb.19:
	v_dual_mov_b32 v9, v2 :: v_dual_mov_b32 v8, v1
	s_mov_b32 s3, 0
	s_or_b32 s8, s8, exec_lo
; %bb.20:
	s_or_b32 exec_lo, exec_lo, s4
	s_delay_alu instid0(SALU_CYCLE_1)
	s_and_b32 exec_lo, exec_lo, s8
	s_cbranch_execz .LBB130_13
.LBB130_21:
	s_load_b256 s[4:11], s[0:1], 0x28
	v_lshlrev_b64 v[1:2], 3, v[8:9]
	v_dual_mov_b32 v25, 0 :: v_dual_and_b32 v24, 3, v0
	s_waitcnt lgkmcnt(0)
	s_delay_alu instid0(VALU_DEP_2) | instskip(NEXT) | instid1(VALU_DEP_3)
	v_add_co_u32 v3, vcc_lo, s4, v1
	v_add_co_ci_u32_e32 v4, vcc_lo, s5, v2, vcc_lo
	v_add_co_u32 v1, vcc_lo, s6, v1
	v_add_co_ci_u32_e32 v2, vcc_lo, s7, v2, vcc_lo
	s_delay_alu instid0(VALU_DEP_4)
	v_add_co_u32 v5, vcc_lo, v3, 8
	global_load_b64 v[6:7], v[3:4], off
	v_add_co_ci_u32_e32 v10, vcc_lo, 0, v4, vcc_lo
	s_cmp_eq_u64 s[6:7], 0
	s_clause 0x1
	s_load_b32 s6, s[0:1], 0x8
	s_load_b64 s[4:5], s[0:1], 0x48
	s_cselect_b32 vcc_lo, -1, 0
	v_dual_cndmask_b32 v2, v2, v10 :: v_dual_cndmask_b32 v1, v1, v5
	global_load_b64 v[2:3], v[1:2], off
	s_waitcnt lgkmcnt(0)
	s_cmp_eq_u32 s6, 1
	s_waitcnt vmcnt(1)
	v_sub_co_u32 v0, vcc_lo, v6, s12
	v_subrev_co_ci_u32_e32 v1, vcc_lo, s3, v7, vcc_lo
	s_delay_alu instid0(VALU_DEP_2) | instskip(NEXT) | instid1(VALU_DEP_2)
	v_add_co_u32 v0, vcc_lo, v0, v24
	v_add_co_ci_u32_e32 v1, vcc_lo, 0, v1, vcc_lo
	s_delay_alu instid0(VALU_DEP_1) | instskip(SKIP_3) | instid1(VALU_DEP_3)
	v_lshlrev_b64 v[4:5], 6, v[0:1]
	s_waitcnt vmcnt(0)
	v_sub_co_u32 v2, vcc_lo, v2, s12
	v_subrev_co_ci_u32_e32 v3, vcc_lo, s3, v3, vcc_lo
	v_add_co_u32 v4, vcc_lo, s10, v4
	s_delay_alu instid0(VALU_DEP_4) | instskip(NEXT) | instid1(VALU_DEP_3)
	v_add_co_ci_u32_e32 v5, vcc_lo, s11, v5, vcc_lo
	v_cmp_lt_i64_e64 s2, v[0:1], v[2:3]
	s_cbranch_scc1 .LBB130_33
; %bb.22:
	v_dual_mov_b32 v27, 0 :: v_dual_mov_b32 v28, 0
	v_dual_mov_b32 v29, 0 :: v_dual_mov_b32 v30, 0
	;; [unrolled: 1-line block ×3, first 2 shown]
	v_mov_b32_e32 v26, 0
	s_mov_b32 s6, 0
	s_and_saveexec_b32 s7, s2
	s_cbranch_execz .LBB130_32
; %bb.23:
	v_or_b32_e32 v10, 4, v24
	v_not_b32_e32 v13, v6
	v_not_b32_e32 v12, v7
	v_mov_b32_e32 v28, 0
	v_dual_mov_b32 v26, 0 :: v_dual_mov_b32 v31, 0
	v_sub_co_u32 v10, s10, v10, s12
	s_delay_alu instid0(VALU_DEP_1) | instskip(SKIP_1) | instid1(VALU_DEP_3)
	v_sub_co_ci_u32_e64 v11, null, 0, s3, s10
	v_sub_co_u32 v14, s10, s12, v24
	v_add_co_u32 v10, vcc_lo, v10, v6
	s_delay_alu instid0(VALU_DEP_3) | instskip(SKIP_2) | instid1(VALU_DEP_3)
	v_add_co_ci_u32_e32 v11, vcc_lo, v11, v7, vcc_lo
	v_sub_co_ci_u32_e64 v15, null, s3, 0, s10
	v_dual_mov_b32 v32, 0 :: v_dual_mov_b32 v27, 0
	v_cmp_gt_i64_e32 vcc_lo, v[10:11], v[2:3]
	v_dual_mov_b32 v30, 0 :: v_dual_mov_b32 v25, 0
	s_mov_b32 s11, 0
	s_mov_b32 s10, exec_lo
	v_mov_b32_e32 v29, 0
	v_dual_cndmask_b32 v11, v3, v11 :: v_dual_cndmask_b32 v10, v2, v10
	v_add_co_u32 v13, vcc_lo, v14, v13
	v_add_co_ci_u32_e32 v12, vcc_lo, v15, v12, vcc_lo
	s_delay_alu instid0(VALU_DEP_2) | instskip(NEXT) | instid1(VALU_DEP_2)
	v_add_co_u32 v14, vcc_lo, v13, v10
	v_add_co_ci_u32_e32 v15, vcc_lo, v12, v11, vcc_lo
	v_mov_b32_e32 v13, v1
	s_delay_alu instid0(VALU_DEP_3) | instskip(SKIP_1) | instid1(VALU_DEP_2)
	v_lshrrev_b32_e32 v10, 2, v14
	v_mov_b32_e32 v12, v0
	v_add_nc_u32_e32 v10, 1, v10
	s_delay_alu instid0(VALU_DEP_1) | instskip(SKIP_1) | instid1(VALU_DEP_2)
	v_dual_mov_b32 v11, v5 :: v_dual_and_b32 v16, 3, v10
	v_mov_b32_e32 v10, v4
	v_cmpx_ne_u32_e32 0, v16
	s_cbranch_execz .LBB130_27
; %bb.24:
	v_lshlrev_b64 v[10:11], 3, v[0:1]
	v_dual_mov_b32 v17, 0 :: v_dual_lshlrev_b32 v16, 3, v16
	v_dual_mov_b32 v13, v1 :: v_dual_mov_b32 v12, v0
	s_delay_alu instid0(VALU_DEP_2) | instskip(NEXT) | instid1(VALU_DEP_4)
	v_mov_b32_e32 v25, v17
	v_add_co_u32 v18, vcc_lo, s8, v10
	v_add_co_ci_u32_e32 v19, vcc_lo, s9, v11, vcc_lo
	v_dual_mov_b32 v11, v5 :: v_dual_mov_b32 v10, v4
	v_mov_b32_e32 v27, v17
	v_mov_b32_e32 v28, v17
	;; [unrolled: 1-line block ×7, first 2 shown]
.LBB130_25:                             ; =>This Inner Loop Header: Depth=1
	global_load_b64 v[49:50], v[18:19], off
	s_clause 0x3
	global_load_b128 v[33:36], v[10:11], off offset:48
	global_load_b128 v[37:40], v[10:11], off offset:32
	;; [unrolled: 1-line block ×3, first 2 shown]
	global_load_b128 v[45:48], v[10:11], off
	s_waitcnt vmcnt(4)
	v_sub_co_u32 v49, vcc_lo, v49, s12
	v_subrev_co_ci_u32_e32 v50, vcc_lo, s3, v50, vcc_lo
	s_delay_alu instid0(VALU_DEP_1) | instskip(NEXT) | instid1(VALU_DEP_1)
	v_lshlrev_b64 v[49:50], 5, v[49:50]
	v_add_co_u32 v53, vcc_lo, s4, v49
	s_delay_alu instid0(VALU_DEP_2)
	v_add_co_ci_u32_e32 v54, vcc_lo, s5, v50, vcc_lo
	v_add_co_u32 v10, vcc_lo, 0x100, v10
	v_add_co_ci_u32_e32 v11, vcc_lo, 0, v11, vcc_lo
	s_clause 0x1
	global_load_b128 v[49:52], v[53:54], off
	global_load_b128 v[53:56], v[53:54], off offset:16
	v_add_co_u32 v12, vcc_lo, v12, 4
	v_add_co_ci_u32_e32 v13, vcc_lo, 0, v13, vcc_lo
	v_add_co_u32 v16, vcc_lo, v16, -8
	v_add_co_ci_u32_e32 v17, vcc_lo, -1, v17, vcc_lo
	v_add_co_u32 v18, vcc_lo, v18, 32
	v_add_co_ci_u32_e32 v19, vcc_lo, 0, v19, vcc_lo
	s_delay_alu instid0(VALU_DEP_3) | instskip(SKIP_3) | instid1(VALU_DEP_1)
	v_cmp_eq_u64_e32 vcc_lo, 0, v[16:17]
	s_or_b32 s11, vcc_lo, s11
	s_waitcnt vmcnt(1)
	v_fmac_f32_e32 v26, v33, v49
	v_dual_fmac_f32 v27, v45, v49 :: v_dual_fmac_f32 v26, 0x80000000, v50
	s_delay_alu instid0(VALU_DEP_1) | instskip(NEXT) | instid1(VALU_DEP_1)
	v_dual_fmac_f32 v28, 0, v49 :: v_dual_fmac_f32 v27, 0x80000000, v50
	v_dual_fmac_f32 v25, 0, v49 :: v_dual_fmac_f32 v28, v41, v50
	s_delay_alu instid0(VALU_DEP_1) | instskip(SKIP_1) | instid1(VALU_DEP_4)
	v_dual_fmac_f32 v30, 0, v49 :: v_dual_fmac_f32 v25, v45, v50
	v_fmac_f32_e32 v29, v41, v49
	v_fmac_f32_e32 v27, v46, v51
	s_delay_alu instid0(VALU_DEP_4) | instskip(NEXT) | instid1(VALU_DEP_4)
	v_fmac_f32_e32 v28, 0, v51
	v_fmac_f32_e32 v30, v37, v50
	;; [unrolled: 1-line block ×3, first 2 shown]
	v_dual_fmac_f32 v29, 0x80000000, v50 :: v_dual_fmac_f32 v26, v34, v51
	s_delay_alu instid0(VALU_DEP_3) | instskip(NEXT) | instid1(VALU_DEP_3)
	v_dual_fmac_f32 v27, 0x80000000, v52 :: v_dual_fmac_f32 v30, 0, v51
	v_dual_fmac_f32 v32, 0, v49 :: v_dual_fmac_f32 v31, 0x80000000, v50
	v_fmac_f32_e32 v25, 0, v51
	s_delay_alu instid0(VALU_DEP_4) | instskip(NEXT) | instid1(VALU_DEP_3)
	v_dual_fmac_f32 v29, v42, v51 :: v_dual_fmac_f32 v26, 0x80000000, v52
	v_fmac_f32_e32 v32, v33, v50
	s_waitcnt vmcnt(0)
	v_dual_fmac_f32 v28, v42, v52 :: v_dual_fmac_f32 v27, v47, v53
	v_fmac_f32_e32 v25, v46, v52
	v_fmac_f32_e32 v30, v38, v52
	v_fmac_f32_e32 v32, 0, v51
	s_delay_alu instid0(VALU_DEP_4) | instskip(NEXT) | instid1(VALU_DEP_4)
	v_dual_fmac_f32 v31, v38, v51 :: v_dual_fmac_f32 v28, 0, v53
	v_fmac_f32_e32 v25, 0, v53
	s_delay_alu instid0(VALU_DEP_4) | instskip(NEXT) | instid1(VALU_DEP_4)
	v_dual_fmac_f32 v29, 0x80000000, v52 :: v_dual_fmac_f32 v30, 0, v53
	v_fmac_f32_e32 v32, v34, v52
	s_delay_alu instid0(VALU_DEP_4) | instskip(NEXT) | instid1(VALU_DEP_3)
	v_dual_fmac_f32 v31, 0x80000000, v52 :: v_dual_fmac_f32 v26, v35, v53
	v_fmac_f32_e32 v29, v43, v53
	s_delay_alu instid0(VALU_DEP_3) | instskip(SKIP_1) | instid1(VALU_DEP_4)
	v_dual_fmac_f32 v27, 0x80000000, v54 :: v_dual_fmac_f32 v32, 0, v53
	v_fmac_f32_e32 v28, v43, v54
	v_dual_fmac_f32 v31, v39, v53 :: v_dual_fmac_f32 v26, 0x80000000, v54
	s_delay_alu instid0(VALU_DEP_3) | instskip(NEXT) | instid1(VALU_DEP_3)
	v_fmac_f32_e32 v27, v48, v55
	v_dual_fmac_f32 v25, v47, v54 :: v_dual_fmac_f32 v28, 0, v55
	v_fmac_f32_e32 v30, v39, v54
	s_delay_alu instid0(VALU_DEP_4) | instskip(NEXT) | instid1(VALU_DEP_3)
	v_dual_fmac_f32 v31, 0x80000000, v54 :: v_dual_fmac_f32 v26, v36, v55
	v_fmac_f32_e32 v25, 0, v55
	s_delay_alu instid0(VALU_DEP_3) | instskip(NEXT) | instid1(VALU_DEP_3)
	v_dual_fmac_f32 v29, 0x80000000, v54 :: v_dual_fmac_f32 v30, 0, v55
	v_dual_fmac_f32 v32, v35, v54 :: v_dual_fmac_f32 v31, v40, v55
	s_delay_alu instid0(VALU_DEP_2) | instskip(NEXT) | instid1(VALU_DEP_2)
	v_dual_fmac_f32 v26, 0x80000000, v56 :: v_dual_fmac_f32 v29, v44, v55
	v_dual_fmac_f32 v27, 0x80000000, v56 :: v_dual_fmac_f32 v32, 0, v55
	v_fmac_f32_e32 v25, v48, v56
	v_fmac_f32_e32 v28, v44, v56
	s_delay_alu instid0(VALU_DEP_4)
	v_fmac_f32_e32 v29, 0x80000000, v56
	v_fmac_f32_e32 v31, 0x80000000, v56
	;; [unrolled: 1-line block ×4, first 2 shown]
	s_and_not1_b32 exec_lo, exec_lo, s11
	s_cbranch_execnz .LBB130_25
; %bb.26:
	s_or_b32 exec_lo, exec_lo, s11
.LBB130_27:
	s_delay_alu instid0(SALU_CYCLE_1) | instskip(NEXT) | instid1(SALU_CYCLE_1)
	s_or_b32 exec_lo, exec_lo, s10
	s_mov_b32 s10, exec_lo
	v_cmpx_lt_u64_e32 11, v[14:15]
	s_cbranch_execz .LBB130_31
; %bb.28:
	v_lshlrev_b64 v[14:15], 3, v[12:13]
	s_mov_b32 s11, 0
	s_delay_alu instid0(VALU_DEP_1) | instskip(NEXT) | instid1(VALU_DEP_2)
	v_add_co_u32 v14, vcc_lo, v14, s8
	v_add_co_ci_u32_e32 v15, vcc_lo, s9, v15, vcc_lo
	s_delay_alu instid0(VALU_DEP_2) | instskip(NEXT) | instid1(VALU_DEP_2)
	v_add_co_u32 v14, vcc_lo, v14, 64
	v_add_co_ci_u32_e32 v15, vcc_lo, 0, v15, vcc_lo
.LBB130_29:                             ; =>This Inner Loop Header: Depth=1
	s_clause 0x3
	global_load_b64 v[93:94], v[14:15], off offset:-64
	global_load_b64 v[95:96], v[14:15], off offset:-32
	global_load_b64 v[97:98], v[14:15], off
	global_load_b64 v[99:100], v[14:15], off offset:32
	s_clause 0xf
	global_load_b128 v[16:19], v[10:11], off offset:48
	global_load_b128 v[33:36], v[10:11], off offset:32
	;; [unrolled: 1-line block ×3, first 2 shown]
	global_load_b128 v[41:44], v[10:11], off
	global_load_b128 v[45:48], v[10:11], off offset:304
	global_load_b128 v[49:52], v[10:11], off offset:288
	;; [unrolled: 1-line block ×12, first 2 shown]
	s_waitcnt vmcnt(19)
	v_sub_co_u32 v93, vcc_lo, v93, s12
	v_subrev_co_ci_u32_e32 v94, vcc_lo, s3, v94, vcc_lo
	s_waitcnt vmcnt(18)
	v_sub_co_u32 v95, vcc_lo, v95, s12
	v_subrev_co_ci_u32_e32 v96, vcc_lo, s3, v96, vcc_lo
	s_waitcnt vmcnt(17)
	v_sub_co_u32 v97, vcc_lo, v97, s12
	v_lshlrev_b64 v[93:94], 5, v[93:94]
	v_subrev_co_ci_u32_e32 v98, vcc_lo, s3, v98, vcc_lo
	s_waitcnt vmcnt(16)
	v_sub_co_u32 v99, vcc_lo, v99, s12
	v_lshlrev_b64 v[95:96], 5, v[95:96]
	v_subrev_co_ci_u32_e32 v100, vcc_lo, s3, v100, vcc_lo
	v_lshlrev_b64 v[97:98], 5, v[97:98]
	v_add_co_u32 v101, vcc_lo, s4, v93
	v_add_co_ci_u32_e32 v102, vcc_lo, s5, v94, vcc_lo
	s_delay_alu instid0(VALU_DEP_4)
	v_lshlrev_b64 v[99:100], 5, v[99:100]
	v_add_co_u32 v105, vcc_lo, s4, v95
	v_add_co_ci_u32_e32 v106, vcc_lo, s5, v96, vcc_lo
	v_add_co_u32 v113, vcc_lo, s4, v97
	v_add_co_ci_u32_e32 v114, vcc_lo, s5, v98, vcc_lo
	;; [unrolled: 2-line block ×3, first 2 shown]
	s_clause 0x7
	global_load_b128 v[93:96], v[101:102], off
	global_load_b128 v[97:100], v[101:102], off offset:16
	global_load_b128 v[101:104], v[105:106], off
	global_load_b128 v[105:108], v[105:106], off offset:16
	;; [unrolled: 2-line block ×4, first 2 shown]
	v_add_co_u32 v12, vcc_lo, v12, 16
	v_add_co_ci_u32_e32 v13, vcc_lo, 0, v13, vcc_lo
	v_add_co_u32 v10, vcc_lo, 0x400, v10
	v_add_co_ci_u32_e32 v11, vcc_lo, 0, v11, vcc_lo
	;; [unrolled: 2-line block ×3, first 2 shown]
	v_cmp_ge_i64_e32 vcc_lo, v[12:13], v[2:3]
	s_or_b32 s11, vcc_lo, s11
	s_waitcnt vmcnt(7)
	v_fmac_f32_e32 v32, 0, v93
	s_delay_alu instid0(VALU_DEP_1) | instskip(NEXT) | instid1(VALU_DEP_1)
	v_dual_fmac_f32 v29, v37, v93 :: v_dual_fmac_f32 v32, v16, v94
	v_dual_fmac_f32 v26, v16, v93 :: v_dual_fmac_f32 v29, 0x80000000, v94
	s_delay_alu instid0(VALU_DEP_1) | instskip(NEXT) | instid1(VALU_DEP_1)
	v_dual_fmac_f32 v27, v41, v93 :: v_dual_fmac_f32 v26, 0x80000000, v94
	v_dual_fmac_f32 v28, 0, v93 :: v_dual_fmac_f32 v27, 0x80000000, v94
	;; [unrolled: 3-line block ×3, first 2 shown]
	v_fmac_f32_e32 v31, v33, v93
	s_delay_alu instid0(VALU_DEP_4) | instskip(NEXT) | instid1(VALU_DEP_4)
	v_fmac_f32_e32 v27, v42, v95
	v_fmac_f32_e32 v28, 0, v95
	s_delay_alu instid0(VALU_DEP_4) | instskip(NEXT) | instid1(VALU_DEP_4)
	v_dual_fmac_f32 v30, v33, v94 :: v_dual_fmac_f32 v25, 0, v95
	v_fmac_f32_e32 v31, 0x80000000, v94
	s_delay_alu instid0(VALU_DEP_4) | instskip(NEXT) | instid1(VALU_DEP_4)
	v_fmac_f32_e32 v27, 0x80000000, v96
	v_fmac_f32_e32 v28, v38, v96
	s_delay_alu instid0(VALU_DEP_4)
	v_dual_fmac_f32 v26, v17, v95 :: v_dual_fmac_f32 v25, v42, v96
	v_fmac_f32_e32 v29, v38, v95
	v_fmac_f32_e32 v30, 0, v95
	s_waitcnt vmcnt(6)
	v_fmac_f32_e32 v28, 0, v97
	v_fmac_f32_e32 v26, 0x80000000, v96
	v_dual_fmac_f32 v32, 0, v95 :: v_dual_fmac_f32 v29, 0x80000000, v96
	v_fmac_f32_e32 v31, v34, v95
	s_delay_alu instid0(VALU_DEP_4) | instskip(NEXT) | instid1(VALU_DEP_3)
	v_dual_fmac_f32 v25, 0, v97 :: v_dual_fmac_f32 v28, v39, v98
	v_fmac_f32_e32 v32, v17, v96
	v_dual_fmac_f32 v30, v34, v96 :: v_dual_fmac_f32 v27, v43, v97
	s_delay_alu instid0(VALU_DEP_4) | instskip(NEXT) | instid1(VALU_DEP_4)
	v_dual_fmac_f32 v31, 0x80000000, v96 :: v_dual_fmac_f32 v26, v18, v97
	v_fmac_f32_e32 v25, v43, v98
	v_fmac_f32_e32 v29, v39, v97
	s_delay_alu instid0(VALU_DEP_4) | instskip(NEXT) | instid1(VALU_DEP_4)
	v_dual_fmac_f32 v30, 0, v97 :: v_dual_fmac_f32 v27, 0x80000000, v98
	v_fmac_f32_e32 v26, 0x80000000, v98
	s_delay_alu instid0(VALU_DEP_3) | instskip(SKIP_1) | instid1(VALU_DEP_4)
	v_dual_fmac_f32 v32, 0, v97 :: v_dual_fmac_f32 v29, 0x80000000, v98
	v_fmac_f32_e32 v31, v35, v97
	v_dual_fmac_f32 v30, v35, v98 :: v_dual_fmac_f32 v27, v44, v99
	s_delay_alu instid0(VALU_DEP_3) | instskip(NEXT) | instid1(VALU_DEP_3)
	v_fmac_f32_e32 v32, v18, v98
	v_dual_fmac_f32 v28, 0, v99 :: v_dual_fmac_f32 v31, 0x80000000, v98
	v_fmac_f32_e32 v25, 0, v99
	s_delay_alu instid0(VALU_DEP_4) | instskip(NEXT) | instid1(VALU_DEP_3)
	v_dual_fmac_f32 v30, 0, v99 :: v_dual_fmac_f32 v27, 0x80000000, v100
	v_fmac_f32_e32 v28, v40, v100
	s_delay_alu instid0(VALU_DEP_3) | instskip(SKIP_3) | instid1(VALU_DEP_3)
	v_dual_fmac_f32 v26, v19, v99 :: v_dual_fmac_f32 v25, v44, v100
	v_fmac_f32_e32 v29, v40, v99
	s_waitcnt vmcnt(5)
	v_dual_fmac_f32 v30, v36, v100 :: v_dual_fmac_f32 v27, v57, v101
	v_fmac_f32_e32 v26, 0x80000000, v100
	s_delay_alu instid0(VALU_DEP_3) | instskip(SKIP_1) | instid1(VALU_DEP_2)
	v_dual_fmac_f32 v32, 0, v99 :: v_dual_fmac_f32 v29, 0x80000000, v100
	v_dual_fmac_f32 v31, v36, v99 :: v_dual_fmac_f32 v28, 0, v101
	;; [unrolled: 1-line block ×4, first 2 shown]
	s_delay_alu instid0(VALU_DEP_3) | instskip(SKIP_3) | instid1(VALU_DEP_4)
	v_dual_fmac_f32 v31, 0x80000000, v100 :: v_dual_fmac_f32 v26, v45, v101
	v_fmac_f32_e32 v29, v53, v101
	v_fmac_f32_e32 v28, v53, v102
	v_dual_fmac_f32 v32, 0, v101 :: v_dual_fmac_f32 v25, v57, v102
	v_fmac_f32_e32 v31, v49, v101
	v_dual_fmac_f32 v30, v49, v102 :: v_dual_fmac_f32 v27, v58, v103
	v_fmac_f32_e32 v26, 0x80000000, v102
	v_fmac_f32_e32 v29, 0x80000000, v102
	v_dual_fmac_f32 v32, v45, v102 :: v_dual_fmac_f32 v25, 0, v103
	v_dual_fmac_f32 v28, 0, v103 :: v_dual_fmac_f32 v31, 0x80000000, v102
	v_fmac_f32_e32 v30, 0, v103
	v_dual_fmac_f32 v26, v46, v103 :: v_dual_fmac_f32 v27, 0x80000000, v104
	v_fmac_f32_e32 v29, v54, v103
	v_dual_fmac_f32 v32, 0, v103 :: v_dual_fmac_f32 v25, v58, v104
	s_waitcnt vmcnt(4)
	s_delay_alu instid0(VALU_DEP_3) | instskip(SKIP_2) | instid1(VALU_DEP_3)
	v_dual_fmac_f32 v28, v54, v104 :: v_dual_fmac_f32 v27, v59, v105
	v_fmac_f32_e32 v30, v50, v104
	v_dual_fmac_f32 v31, v50, v103 :: v_dual_fmac_f32 v26, 0x80000000, v104
	v_fmac_f32_e32 v28, 0, v105
	v_fmac_f32_e32 v25, 0, v105
	s_delay_alu instid0(VALU_DEP_4) | instskip(SKIP_1) | instid1(VALU_DEP_4)
	v_dual_fmac_f32 v29, 0x80000000, v104 :: v_dual_fmac_f32 v30, 0, v105
	v_dual_fmac_f32 v32, v46, v104 :: v_dual_fmac_f32 v27, 0x80000000, v106
	v_fmac_f32_e32 v28, v55, v106
	s_delay_alu instid0(VALU_DEP_3) | instskip(SKIP_1) | instid1(VALU_DEP_4)
	v_fmac_f32_e32 v29, v55, v105
	v_dual_fmac_f32 v31, 0x80000000, v104 :: v_dual_fmac_f32 v26, v47, v105
	v_dual_fmac_f32 v32, 0, v105 :: v_dual_fmac_f32 v27, v60, v107
	s_delay_alu instid0(VALU_DEP_4) | instskip(SKIP_1) | instid1(VALU_DEP_4)
	v_dual_fmac_f32 v25, v59, v106 :: v_dual_fmac_f32 v28, 0, v107
	v_fmac_f32_e32 v30, v51, v106
	v_dual_fmac_f32 v31, v51, v105 :: v_dual_fmac_f32 v26, 0x80000000, v106
	s_delay_alu instid0(VALU_DEP_3) | instskip(NEXT) | instid1(VALU_DEP_3)
	v_fmac_f32_e32 v25, 0, v107
	v_dual_fmac_f32 v29, 0x80000000, v106 :: v_dual_fmac_f32 v30, 0, v107
	v_dual_fmac_f32 v32, v47, v106 :: v_dual_fmac_f32 v27, 0x80000000, v108
	v_fmac_f32_e32 v28, v56, v108
	s_delay_alu instid0(VALU_DEP_3)
	v_fmac_f32_e32 v29, v56, v107
	v_dual_fmac_f32 v31, 0x80000000, v106 :: v_dual_fmac_f32 v26, v48, v107
	s_waitcnt vmcnt(3)
	v_dual_fmac_f32 v32, 0, v107 :: v_dual_fmac_f32 v27, v73, v109
	v_dual_fmac_f32 v25, v60, v108 :: v_dual_fmac_f32 v28, 0, v109
	v_fmac_f32_e32 v30, v52, v108
	v_dual_fmac_f32 v31, v52, v107 :: v_dual_fmac_f32 v26, 0x80000000, v108
	s_delay_alu instid0(VALU_DEP_3) | instskip(NEXT) | instid1(VALU_DEP_3)
	v_fmac_f32_e32 v25, 0, v109
	v_dual_fmac_f32 v29, 0x80000000, v108 :: v_dual_fmac_f32 v30, 0, v109
	v_dual_fmac_f32 v32, v48, v108 :: v_dual_fmac_f32 v27, 0x80000000, v110
	v_fmac_f32_e32 v28, v69, v110
	s_delay_alu instid0(VALU_DEP_3) | instskip(SKIP_1) | instid1(VALU_DEP_4)
	v_fmac_f32_e32 v29, v69, v109
	v_dual_fmac_f32 v31, 0x80000000, v108 :: v_dual_fmac_f32 v26, v61, v109
	v_dual_fmac_f32 v32, 0, v109 :: v_dual_fmac_f32 v27, v74, v111
	s_delay_alu instid0(VALU_DEP_4) | instskip(SKIP_1) | instid1(VALU_DEP_4)
	v_dual_fmac_f32 v25, v73, v110 :: v_dual_fmac_f32 v28, 0, v111
	v_fmac_f32_e32 v30, v65, v110
	v_dual_fmac_f32 v31, v65, v109 :: v_dual_fmac_f32 v26, 0x80000000, v110
	s_delay_alu instid0(VALU_DEP_3) | instskip(NEXT) | instid1(VALU_DEP_3)
	v_fmac_f32_e32 v25, 0, v111
	v_dual_fmac_f32 v29, 0x80000000, v110 :: v_dual_fmac_f32 v30, 0, v111
	v_dual_fmac_f32 v32, v61, v110 :: v_dual_fmac_f32 v27, 0x80000000, v112
	v_fmac_f32_e32 v28, v70, v112
	s_delay_alu instid0(VALU_DEP_3)
	v_fmac_f32_e32 v29, v70, v111
	v_dual_fmac_f32 v31, 0x80000000, v110 :: v_dual_fmac_f32 v26, v62, v111
	s_waitcnt vmcnt(2)
	v_dual_fmac_f32 v32, 0, v111 :: v_dual_fmac_f32 v27, v75, v113
	v_dual_fmac_f32 v25, v74, v112 :: v_dual_fmac_f32 v28, 0, v113
	v_fmac_f32_e32 v30, v66, v112
	v_dual_fmac_f32 v31, v66, v111 :: v_dual_fmac_f32 v26, 0x80000000, v112
	s_delay_alu instid0(VALU_DEP_3) | instskip(NEXT) | instid1(VALU_DEP_3)
	v_fmac_f32_e32 v25, 0, v113
	;; [unrolled: 26-line block ×4, first 2 shown]
	v_dual_fmac_f32 v29, 0x80000000, v120 :: v_dual_fmac_f32 v30, 0, v121
	v_fmac_f32_e32 v32, v78, v120
	s_delay_alu instid0(VALU_DEP_4) | instskip(NEXT) | instid1(VALU_DEP_3)
	v_dual_fmac_f32 v31, 0x80000000, v120 :: v_dual_fmac_f32 v26, v79, v121
	v_fmac_f32_e32 v29, v87, v121
	s_delay_alu instid0(VALU_DEP_3) | instskip(SKIP_1) | instid1(VALU_DEP_4)
	v_dual_fmac_f32 v27, 0x80000000, v122 :: v_dual_fmac_f32 v32, 0, v121
	v_fmac_f32_e32 v28, v87, v122
	v_dual_fmac_f32 v31, v83, v121 :: v_dual_fmac_f32 v26, 0x80000000, v122
	s_delay_alu instid0(VALU_DEP_3) | instskip(NEXT) | instid1(VALU_DEP_3)
	v_fmac_f32_e32 v27, v92, v123
	v_dual_fmac_f32 v25, v91, v122 :: v_dual_fmac_f32 v28, 0, v123
	v_fmac_f32_e32 v30, v83, v122
	s_delay_alu instid0(VALU_DEP_4) | instskip(NEXT) | instid1(VALU_DEP_3)
	v_dual_fmac_f32 v31, 0x80000000, v122 :: v_dual_fmac_f32 v26, v80, v123
	v_fmac_f32_e32 v25, 0, v123
	s_delay_alu instid0(VALU_DEP_3) | instskip(NEXT) | instid1(VALU_DEP_3)
	v_dual_fmac_f32 v29, 0x80000000, v122 :: v_dual_fmac_f32 v30, 0, v123
	v_dual_fmac_f32 v32, v79, v122 :: v_dual_fmac_f32 v31, v84, v123
	s_delay_alu instid0(VALU_DEP_2) | instskip(NEXT) | instid1(VALU_DEP_2)
	v_dual_fmac_f32 v26, 0x80000000, v124 :: v_dual_fmac_f32 v29, v88, v123
	v_dual_fmac_f32 v27, 0x80000000, v124 :: v_dual_fmac_f32 v32, 0, v123
	v_fmac_f32_e32 v25, v92, v124
	v_fmac_f32_e32 v28, v88, v124
	s_delay_alu instid0(VALU_DEP_4)
	v_fmac_f32_e32 v29, 0x80000000, v124
	v_fmac_f32_e32 v31, 0x80000000, v124
	v_fmac_f32_e32 v30, v84, v124
	v_fmac_f32_e32 v32, v80, v124
	s_and_not1_b32 exec_lo, exec_lo, s11
	s_cbranch_execnz .LBB130_29
; %bb.30:
	s_or_b32 exec_lo, exec_lo, s11
.LBB130_31:
	s_delay_alu instid0(SALU_CYCLE_1)
	s_or_b32 exec_lo, exec_lo, s10
.LBB130_32:
	s_delay_alu instid0(SALU_CYCLE_1) | instskip(NEXT) | instid1(SALU_CYCLE_1)
	s_or_b32 exec_lo, exec_lo, s7
	s_and_not1_b32 vcc_lo, exec_lo, s6
	s_cbranch_vccz .LBB130_34
	s_branch .LBB130_45
.LBB130_33:
                                        ; implicit-def: $vgpr25
                                        ; implicit-def: $vgpr27
                                        ; implicit-def: $vgpr28
                                        ; implicit-def: $vgpr29
                                        ; implicit-def: $vgpr30
                                        ; implicit-def: $vgpr31
                                        ; implicit-def: $vgpr32
                                        ; implicit-def: $vgpr26
.LBB130_34:
	v_dual_mov_b32 v25, 0 :: v_dual_mov_b32 v28, 0
	v_dual_mov_b32 v27, 0 :: v_dual_mov_b32 v30, 0
	;; [unrolled: 1-line block ×4, first 2 shown]
	s_and_saveexec_b32 s6, s2
	s_cbranch_execz .LBB130_44
; %bb.35:
	v_or_b32_e32 v10, 4, v24
	v_dual_mov_b32 v26, 0 :: v_dual_mov_b32 v29, 0
	v_dual_mov_b32 v32, 0 :: v_dual_mov_b32 v27, 0
	s_delay_alu instid0(VALU_DEP_3) | instskip(NEXT) | instid1(VALU_DEP_1)
	v_sub_co_u32 v10, s2, v10, s12
	v_sub_co_ci_u32_e64 v11, null, 0, s3, s2
	v_sub_co_u32 v12, s2, s12, v24
	s_delay_alu instid0(VALU_DEP_3) | instskip(NEXT) | instid1(VALU_DEP_3)
	v_add_co_u32 v10, vcc_lo, v10, v6
	v_add_co_ci_u32_e32 v11, vcc_lo, v11, v7, vcc_lo
	v_not_b32_e32 v6, v6
	v_not_b32_e32 v7, v7
	v_sub_co_ci_u32_e64 v13, null, s3, 0, s2
	s_delay_alu instid0(VALU_DEP_4)
	v_cmp_gt_i64_e32 vcc_lo, v[10:11], v[2:3]
	v_mov_b32_e32 v30, 0
	v_mov_b32_e32 v28, 0
	s_mov_b32 s7, 0
	s_mov_b32 s2, exec_lo
	v_mov_b32_e32 v31, 0
	v_dual_cndmask_b32 v11, v3, v11 :: v_dual_cndmask_b32 v10, v2, v10
	v_add_co_u32 v6, vcc_lo, v12, v6
	v_add_co_ci_u32_e32 v7, vcc_lo, v13, v7, vcc_lo
	v_mov_b32_e32 v25, 0
	s_delay_alu instid0(VALU_DEP_3) | instskip(NEXT) | instid1(VALU_DEP_3)
	v_add_co_u32 v6, vcc_lo, v6, v10
	v_add_co_ci_u32_e32 v7, vcc_lo, v7, v11, vcc_lo
	s_delay_alu instid0(VALU_DEP_2) | instskip(NEXT) | instid1(VALU_DEP_1)
	v_lshrrev_b32_e32 v10, 2, v6
	v_add_nc_u32_e32 v10, 1, v10
	s_delay_alu instid0(VALU_DEP_1) | instskip(NEXT) | instid1(VALU_DEP_1)
	v_and_b32_e32 v10, 3, v10
	v_cmpx_ne_u32_e32 0, v10
	s_cbranch_execz .LBB130_39
; %bb.36:
	v_lshlrev_b64 v[12:13], 3, v[0:1]
	v_dual_mov_b32 v11, 0 :: v_dual_lshlrev_b32 v10, 3, v10
	s_delay_alu instid0(VALU_DEP_1) | instskip(NEXT) | instid1(VALU_DEP_3)
	v_mov_b32_e32 v25, v11
	v_add_co_u32 v12, vcc_lo, s8, v12
	s_delay_alu instid0(VALU_DEP_4)
	v_add_co_ci_u32_e32 v13, vcc_lo, s9, v13, vcc_lo
	v_mov_b32_e32 v27, v11
	v_mov_b32_e32 v28, v11
	;; [unrolled: 1-line block ×7, first 2 shown]
.LBB130_37:                             ; =>This Inner Loop Header: Depth=1
	global_load_b64 v[18:19], v[12:13], off
	s_clause 0x1
	global_load_b128 v[14:17], v[4:5], off offset:16
	global_load_b128 v[33:36], v[4:5], off
	s_waitcnt vmcnt(2)
	v_sub_co_u32 v18, vcc_lo, v18, s12
	v_subrev_co_ci_u32_e32 v19, vcc_lo, s3, v19, vcc_lo
	s_delay_alu instid0(VALU_DEP_1) | instskip(NEXT) | instid1(VALU_DEP_1)
	v_lshlrev_b64 v[18:19], 5, v[18:19]
	v_add_co_u32 v18, vcc_lo, s4, v18
	s_delay_alu instid0(VALU_DEP_2)
	v_add_co_ci_u32_e32 v19, vcc_lo, s5, v19, vcc_lo
	s_clause 0x1
	global_load_b128 v[37:40], v[18:19], off
	global_load_b128 v[41:44], v[18:19], off offset:16
	s_clause 0x1
	global_load_b128 v[45:48], v[4:5], off offset:32
	global_load_b128 v[49:52], v[4:5], off offset:48
	v_add_co_u32 v4, vcc_lo, 0x100, v4
	v_add_co_ci_u32_e32 v5, vcc_lo, 0, v5, vcc_lo
	v_add_co_u32 v0, vcc_lo, v0, 4
	v_add_co_ci_u32_e32 v1, vcc_lo, 0, v1, vcc_lo
	v_add_co_u32 v10, vcc_lo, v10, -8
	v_add_co_ci_u32_e32 v11, vcc_lo, -1, v11, vcc_lo
	v_add_co_u32 v12, vcc_lo, v12, 32
	v_add_co_ci_u32_e32 v13, vcc_lo, 0, v13, vcc_lo
	s_delay_alu instid0(VALU_DEP_3)
	v_cmp_eq_u64_e32 vcc_lo, 0, v[10:11]
	s_or_b32 s7, vcc_lo, s7
	s_waitcnt vmcnt(3)
	v_fmac_f32_e32 v28, 0, v37
	v_fmac_f32_e32 v27, v33, v37
	v_fmac_f32_e32 v30, 0, v37
	v_fmac_f32_e32 v25, 0, v37
	v_fmac_f32_e32 v26, v36, v37
	v_fmac_f32_e32 v29, v34, v37
	v_fmac_f32_e32 v32, 0, v37
	v_dual_fmac_f32 v31, v35, v37 :: v_dual_fmac_f32 v28, v34, v38
	v_fmac_f32_e32 v27, 0x80000000, v38
	v_fmac_f32_e32 v30, v35, v38
	s_delay_alu instid0(VALU_DEP_4)
	v_fmac_f32_e32 v32, v36, v38
	v_fmac_f32_e32 v25, v33, v38
	;; [unrolled: 1-line block ×4, first 2 shown]
	v_dual_fmac_f32 v29, 0x80000000, v38 :: v_dual_fmac_f32 v28, 0, v39
	v_fmac_f32_e32 v27, v14, v39
	v_fmac_f32_e32 v30, 0, v39
	;; [unrolled: 1-line block ×6, first 2 shown]
	v_dual_fmac_f32 v31, v16, v39 :: v_dual_fmac_f32 v28, v15, v40
	v_fmac_f32_e32 v27, 0x80000000, v40
	v_fmac_f32_e32 v30, v16, v40
	s_delay_alu instid0(VALU_DEP_4)
	v_fmac_f32_e32 v32, v17, v40
	v_fmac_f32_e32 v25, v14, v40
	;; [unrolled: 1-line block ×4, first 2 shown]
	s_waitcnt vmcnt(2)
	v_dual_fmac_f32 v29, 0x80000000, v40 :: v_dual_fmac_f32 v28, 0, v41
	s_waitcnt vmcnt(1)
	v_fmac_f32_e32 v27, v45, v41
	v_fmac_f32_e32 v30, 0, v41
	;; [unrolled: 1-line block ×6, first 2 shown]
	v_dual_fmac_f32 v31, v47, v41 :: v_dual_fmac_f32 v28, v46, v42
	v_fmac_f32_e32 v27, 0x80000000, v42
	v_fmac_f32_e32 v30, v47, v42
	s_delay_alu instid0(VALU_DEP_4)
	v_fmac_f32_e32 v32, v48, v42
	v_fmac_f32_e32 v25, v45, v42
	;; [unrolled: 1-line block ×4, first 2 shown]
	v_dual_fmac_f32 v29, 0x80000000, v42 :: v_dual_fmac_f32 v28, 0, v43
	s_waitcnt vmcnt(0)
	v_fmac_f32_e32 v27, v49, v43
	v_fmac_f32_e32 v30, 0, v43
	;; [unrolled: 1-line block ×6, first 2 shown]
	v_dual_fmac_f32 v31, v51, v43 :: v_dual_fmac_f32 v28, v50, v44
	v_fmac_f32_e32 v27, 0x80000000, v44
	v_fmac_f32_e32 v30, v51, v44
	s_delay_alu instid0(VALU_DEP_4)
	v_fmac_f32_e32 v32, v52, v44
	v_fmac_f32_e32 v25, v49, v44
	;; [unrolled: 1-line block ×5, first 2 shown]
	s_and_not1_b32 exec_lo, exec_lo, s7
	s_cbranch_execnz .LBB130_37
; %bb.38:
	s_or_b32 exec_lo, exec_lo, s7
.LBB130_39:
	s_delay_alu instid0(SALU_CYCLE_1) | instskip(NEXT) | instid1(SALU_CYCLE_1)
	s_or_b32 exec_lo, exec_lo, s2
	s_mov_b32 s2, exec_lo
	v_cmpx_lt_u64_e32 11, v[6:7]
	s_cbranch_execz .LBB130_43
; %bb.40:
	v_lshlrev_b64 v[6:7], 3, v[0:1]
	s_mov_b32 s7, 0
	s_delay_alu instid0(VALU_DEP_1) | instskip(NEXT) | instid1(VALU_DEP_2)
	v_add_co_u32 v6, vcc_lo, v6, s8
	v_add_co_ci_u32_e32 v7, vcc_lo, s9, v7, vcc_lo
	s_delay_alu instid0(VALU_DEP_2) | instskip(NEXT) | instid1(VALU_DEP_2)
	v_add_co_u32 v6, vcc_lo, v6, 64
	v_add_co_ci_u32_e32 v7, vcc_lo, 0, v7, vcc_lo
.LBB130_41:                             ; =>This Inner Loop Header: Depth=1
	s_clause 0x3
	global_load_b64 v[18:19], v[6:7], off offset:-64
	global_load_b64 v[81:82], v[6:7], off offset:-32
	global_load_b64 v[83:84], v[6:7], off
	global_load_b64 v[85:86], v[6:7], off offset:32
	s_clause 0xd
	global_load_b128 v[10:13], v[4:5], off offset:48
	global_load_b128 v[14:17], v[4:5], off offset:32
	;; [unrolled: 1-line block ×3, first 2 shown]
	global_load_b128 v[37:40], v[4:5], off
	global_load_b128 v[41:44], v[4:5], off offset:304
	global_load_b128 v[45:48], v[4:5], off offset:288
	;; [unrolled: 1-line block ×10, first 2 shown]
	s_waitcnt vmcnt(17)
	v_sub_co_u32 v18, vcc_lo, v18, s12
	v_subrev_co_ci_u32_e32 v19, vcc_lo, s3, v19, vcc_lo
	s_waitcnt vmcnt(16)
	v_sub_co_u32 v81, vcc_lo, v81, s12
	v_subrev_co_ci_u32_e32 v82, vcc_lo, s3, v82, vcc_lo
	s_waitcnt vmcnt(15)
	v_sub_co_u32 v83, vcc_lo, v83, s12
	v_lshlrev_b64 v[18:19], 5, v[18:19]
	v_subrev_co_ci_u32_e32 v84, vcc_lo, s3, v84, vcc_lo
	s_waitcnt vmcnt(14)
	v_sub_co_u32 v85, vcc_lo, v85, s12
	v_lshlrev_b64 v[81:82], 5, v[81:82]
	v_subrev_co_ci_u32_e32 v86, vcc_lo, s3, v86, vcc_lo
	v_lshlrev_b64 v[83:84], 5, v[83:84]
	v_add_co_u32 v18, vcc_lo, s4, v18
	v_add_co_ci_u32_e32 v19, vcc_lo, s5, v19, vcc_lo
	s_delay_alu instid0(VALU_DEP_4)
	v_lshlrev_b64 v[85:86], 5, v[85:86]
	v_add_co_u32 v93, vcc_lo, s4, v81
	v_add_co_ci_u32_e32 v94, vcc_lo, s5, v82, vcc_lo
	v_add_co_u32 v101, vcc_lo, s4, v83
	v_add_co_ci_u32_e32 v102, vcc_lo, s5, v84, vcc_lo
	;; [unrolled: 2-line block ×3, first 2 shown]
	s_clause 0x6
	global_load_b128 v[81:84], v[18:19], off
	global_load_b128 v[85:88], v[18:19], off offset:16
	global_load_b128 v[89:92], v[93:94], off
	global_load_b128 v[93:96], v[93:94], off offset:16
	global_load_b128 v[97:100], v[101:102], off
	global_load_b128 v[101:104], v[101:102], off offset:16
	global_load_b128 v[105:108], v[113:114], off
	global_load_b128 v[109:112], v[4:5], off offset:800
	global_load_b128 v[113:116], v[113:114], off offset:16
	global_load_b128 v[117:120], v[4:5], off offset:816
	v_add_co_u32 v4, vcc_lo, 0x400, v4
	v_add_co_ci_u32_e32 v5, vcc_lo, 0, v5, vcc_lo
	v_add_co_u32 v0, vcc_lo, v0, 16
	v_add_co_ci_u32_e32 v1, vcc_lo, 0, v1, vcc_lo
	;; [unrolled: 2-line block ×3, first 2 shown]
	s_delay_alu instid0(VALU_DEP_3)
	v_cmp_ge_i64_e32 vcc_lo, v[0:1], v[2:3]
	s_or_b32 s7, vcc_lo, s7
	s_waitcnt vmcnt(9)
	v_fmac_f32_e32 v30, 0, v81
	v_fmac_f32_e32 v25, 0, v81
	;; [unrolled: 1-line block ×7, first 2 shown]
	v_dual_fmac_f32 v28, 0, v81 :: v_dual_fmac_f32 v25, v37, v82
	v_dual_fmac_f32 v27, v37, v81 :: v_dual_fmac_f32 v32, v40, v82
	v_fmac_f32_e32 v29, 0x80000000, v82
	s_delay_alu instid0(VALU_DEP_3) | instskip(SKIP_1) | instid1(VALU_DEP_4)
	v_fmac_f32_e32 v28, v38, v82
	v_fmac_f32_e32 v26, 0x80000000, v82
	;; [unrolled: 1-line block ×3, first 2 shown]
	v_dual_fmac_f32 v31, 0x80000000, v82 :: v_dual_fmac_f32 v30, 0, v83
	v_fmac_f32_e32 v25, 0, v83
	v_fmac_f32_e32 v32, 0, v83
	;; [unrolled: 1-line block ×6, first 2 shown]
	v_dual_fmac_f32 v28, 0, v83 :: v_dual_fmac_f32 v25, v33, v84
	v_dual_fmac_f32 v27, v33, v83 :: v_dual_fmac_f32 v32, v36, v84
	v_fmac_f32_e32 v29, 0x80000000, v84
	s_delay_alu instid0(VALU_DEP_3) | instskip(SKIP_1) | instid1(VALU_DEP_4)
	v_fmac_f32_e32 v28, v34, v84
	v_fmac_f32_e32 v26, 0x80000000, v84
	;; [unrolled: 1-line block ×3, first 2 shown]
	s_waitcnt vmcnt(8)
	v_dual_fmac_f32 v31, 0x80000000, v84 :: v_dual_fmac_f32 v30, 0, v85
	v_fmac_f32_e32 v25, 0, v85
	v_fmac_f32_e32 v32, 0, v85
	;; [unrolled: 1-line block ×6, first 2 shown]
	v_dual_fmac_f32 v28, 0, v85 :: v_dual_fmac_f32 v25, v14, v86
	v_dual_fmac_f32 v27, v14, v85 :: v_dual_fmac_f32 v32, v17, v86
	v_fmac_f32_e32 v29, 0x80000000, v86
	s_delay_alu instid0(VALU_DEP_3) | instskip(SKIP_1) | instid1(VALU_DEP_4)
	v_fmac_f32_e32 v28, v15, v86
	v_fmac_f32_e32 v26, 0x80000000, v86
	;; [unrolled: 1-line block ×3, first 2 shown]
	v_dual_fmac_f32 v31, 0x80000000, v86 :: v_dual_fmac_f32 v30, 0, v87
	v_fmac_f32_e32 v25, 0, v87
	v_fmac_f32_e32 v32, 0, v87
	;; [unrolled: 1-line block ×6, first 2 shown]
	v_dual_fmac_f32 v28, 0, v87 :: v_dual_fmac_f32 v25, v10, v88
	v_dual_fmac_f32 v27, v10, v87 :: v_dual_fmac_f32 v32, v13, v88
	v_fmac_f32_e32 v29, 0x80000000, v88
	s_delay_alu instid0(VALU_DEP_3) | instskip(SKIP_1) | instid1(VALU_DEP_4)
	v_fmac_f32_e32 v28, v11, v88
	v_fmac_f32_e32 v26, 0x80000000, v88
	v_fmac_f32_e32 v27, 0x80000000, v88
	s_waitcnt vmcnt(7)
	v_dual_fmac_f32 v31, 0x80000000, v88 :: v_dual_fmac_f32 v30, 0, v89
	v_fmac_f32_e32 v25, 0, v89
	v_fmac_f32_e32 v28, 0, v89
	v_fmac_f32_e32 v27, v53, v89
	v_fmac_f32_e32 v26, v56, v89
	v_fmac_f32_e32 v29, v54, v89
	v_fmac_f32_e32 v32, 0, v89
	v_dual_fmac_f32 v31, v55, v89 :: v_dual_fmac_f32 v28, v54, v90
	v_fmac_f32_e32 v27, 0x80000000, v90
	v_fmac_f32_e32 v30, v55, v90
	s_delay_alu instid0(VALU_DEP_4)
	v_fmac_f32_e32 v32, v56, v90
	v_fmac_f32_e32 v25, v53, v90
	v_fmac_f32_e32 v31, 0x80000000, v90
	v_fmac_f32_e32 v26, 0x80000000, v90
	v_dual_fmac_f32 v29, 0x80000000, v90 :: v_dual_fmac_f32 v28, 0, v91
	v_fmac_f32_e32 v27, v49, v91
	v_fmac_f32_e32 v30, 0, v91
	v_fmac_f32_e32 v25, 0, v91
	v_fmac_f32_e32 v26, v52, v91
	v_fmac_f32_e32 v29, v50, v91
	v_fmac_f32_e32 v32, 0, v91
	v_dual_fmac_f32 v31, v51, v91 :: v_dual_fmac_f32 v28, v50, v92
	v_fmac_f32_e32 v27, 0x80000000, v92
	v_fmac_f32_e32 v30, v51, v92
	s_delay_alu instid0(VALU_DEP_4)
	v_fmac_f32_e32 v32, v52, v92
	v_fmac_f32_e32 v25, v49, v92
	v_fmac_f32_e32 v31, 0x80000000, v92
	v_fmac_f32_e32 v26, 0x80000000, v92
	s_waitcnt vmcnt(6)
	v_dual_fmac_f32 v29, 0x80000000, v92 :: v_dual_fmac_f32 v28, 0, v93
	v_fmac_f32_e32 v27, v45, v93
	v_fmac_f32_e32 v30, 0, v93
	v_fmac_f32_e32 v25, 0, v93
	v_fmac_f32_e32 v26, v48, v93
	v_fmac_f32_e32 v29, v46, v93
	v_fmac_f32_e32 v32, 0, v93
	v_dual_fmac_f32 v31, v47, v93 :: v_dual_fmac_f32 v28, v46, v94
	v_fmac_f32_e32 v27, 0x80000000, v94
	v_fmac_f32_e32 v30, v47, v94
	s_delay_alu instid0(VALU_DEP_4)
	v_fmac_f32_e32 v32, v48, v94
	v_fmac_f32_e32 v25, v45, v94
	v_fmac_f32_e32 v31, 0x80000000, v94
	v_fmac_f32_e32 v26, 0x80000000, v94
	v_dual_fmac_f32 v29, 0x80000000, v94 :: v_dual_fmac_f32 v28, 0, v95
	v_fmac_f32_e32 v27, v41, v95
	v_fmac_f32_e32 v30, 0, v95
	v_fmac_f32_e32 v25, 0, v95
	v_fmac_f32_e32 v26, v44, v95
	v_fmac_f32_e32 v29, v42, v95
	v_fmac_f32_e32 v32, 0, v95
	v_dual_fmac_f32 v31, v43, v95 :: v_dual_fmac_f32 v28, v42, v96
	v_fmac_f32_e32 v27, 0x80000000, v96
	v_fmac_f32_e32 v30, v43, v96
	s_delay_alu instid0(VALU_DEP_4)
	v_fmac_f32_e32 v32, v44, v96
	;; [unrolled: 31-line block ×5, first 2 shown]
	v_fmac_f32_e32 v25, v73, v108
	v_fmac_f32_e32 v31, 0x80000000, v108
	;; [unrolled: 1-line block ×3, first 2 shown]
	s_waitcnt vmcnt(1)
	v_dual_fmac_f32 v29, 0x80000000, v108 :: v_dual_fmac_f32 v28, 0, v113
	v_fmac_f32_e32 v27, v109, v113
	v_fmac_f32_e32 v30, 0, v113
	;; [unrolled: 1-line block ×6, first 2 shown]
	v_dual_fmac_f32 v31, v111, v113 :: v_dual_fmac_f32 v28, v110, v114
	v_fmac_f32_e32 v27, 0x80000000, v114
	v_fmac_f32_e32 v30, v111, v114
	s_delay_alu instid0(VALU_DEP_4)
	v_fmac_f32_e32 v32, v112, v114
	v_fmac_f32_e32 v25, v109, v114
	;; [unrolled: 1-line block ×4, first 2 shown]
	v_dual_fmac_f32 v29, 0x80000000, v114 :: v_dual_fmac_f32 v28, 0, v115
	s_waitcnt vmcnt(0)
	v_fmac_f32_e32 v27, v117, v115
	v_fmac_f32_e32 v30, 0, v115
	v_fmac_f32_e32 v25, 0, v115
	v_fmac_f32_e32 v26, v120, v115
	v_fmac_f32_e32 v29, v118, v115
	v_fmac_f32_e32 v32, 0, v115
	v_dual_fmac_f32 v31, v119, v115 :: v_dual_fmac_f32 v28, v118, v116
	v_fmac_f32_e32 v27, 0x80000000, v116
	v_fmac_f32_e32 v30, v119, v116
	s_delay_alu instid0(VALU_DEP_4)
	v_fmac_f32_e32 v32, v120, v116
	v_fmac_f32_e32 v25, v117, v116
	v_fmac_f32_e32 v31, 0x80000000, v116
	v_fmac_f32_e32 v26, 0x80000000, v116
	v_fmac_f32_e32 v29, 0x80000000, v116
	s_and_not1_b32 exec_lo, exec_lo, s7
	s_cbranch_execnz .LBB130_41
; %bb.42:
	s_or_b32 exec_lo, exec_lo, s7
.LBB130_43:
	s_delay_alu instid0(SALU_CYCLE_1)
	s_or_b32 exec_lo, exec_lo, s2
.LBB130_44:
	s_delay_alu instid0(SALU_CYCLE_1)
	s_or_b32 exec_lo, exec_lo, s6
.LBB130_45:
	v_mbcnt_lo_u32_b32 v0, -1, 0
	s_delay_alu instid0(VALU_DEP_1) | instskip(NEXT) | instid1(VALU_DEP_1)
	v_xor_b32_e32 v1, 2, v0
	v_cmp_gt_i32_e32 vcc_lo, 32, v1
	v_cndmask_b32_e32 v1, v0, v1, vcc_lo
	s_delay_alu instid0(VALU_DEP_1)
	v_lshlrev_b32_e32 v1, 2, v1
	ds_bpermute_b32 v2, v1, v27
	ds_bpermute_b32 v3, v1, v25
	;; [unrolled: 1-line block ×8, first 2 shown]
	v_xor_b32_e32 v1, 1, v0
	s_delay_alu instid0(VALU_DEP_1) | instskip(SKIP_4) | instid1(VALU_DEP_3)
	v_cmp_gt_i32_e32 vcc_lo, 32, v1
	v_cndmask_b32_e32 v0, v0, v1, vcc_lo
	v_cmp_eq_u32_e32 vcc_lo, 3, v24
	s_waitcnt lgkmcnt(6)
	v_add_f32_e32 v1, v25, v3
	v_dual_add_f32 v0, v27, v2 :: v_dual_lshlrev_b32 v17, 2, v0
	s_waitcnt lgkmcnt(5)
	v_add_f32_e32 v2, v29, v4
	s_waitcnt lgkmcnt(3)
	v_dual_add_f32 v4, v31, v6 :: v_dual_add_f32 v3, v28, v5
	s_waitcnt lgkmcnt(1)
	v_add_f32_e32 v6, v26, v10
	v_add_f32_e32 v5, v30, v7
	s_waitcnt lgkmcnt(0)
	v_add_f32_e32 v7, v32, v11
	ds_bpermute_b32 v10, v17, v0
	ds_bpermute_b32 v11, v17, v1
	;; [unrolled: 1-line block ×8, first 2 shown]
	s_and_b32 exec_lo, exec_lo, vcc_lo
	s_cbranch_execz .LBB130_13
; %bb.46:
	s_load_b64 s[2:3], s[0:1], 0x58
	s_waitcnt lgkmcnt(0)
	v_add_f32_e32 v10, v0, v10
	v_dual_add_f32 v0, v1, v11 :: v_dual_add_f32 v1, v3, v13
	v_dual_add_f32 v11, v2, v12 :: v_dual_add_f32 v2, v5, v15
	;; [unrolled: 1-line block ×3, first 2 shown]
	v_add_f32_e32 v13, v6, v16
	s_delay_alu instid0(VALU_DEP_4)
	v_mul_f32_e64 v4, v0, -v23
	v_mul_f32_e64 v6, v1, -v23
	v_mul_f32_e32 v5, v0, v22
	v_mul_f32_e64 v0, v2, -v23
	v_mul_f32_e32 v7, v1, v22
	v_mul_f32_e32 v1, v2, v22
	v_mul_f32_e64 v2, v3, -v23
	v_mul_f32_e32 v3, v3, v22
	v_cmp_eq_f32_e32 vcc_lo, 0, v20
	v_cmp_eq_f32_e64 s0, 0, v21
	v_lshlrev_b64 v[8:9], 5, v[8:9]
	v_fmac_f32_e32 v2, v22, v13
	v_dual_fmac_f32 v6, v22, v11 :: v_dual_fmac_f32 v5, v23, v10
	v_fmac_f32_e32 v0, v22, v12
	v_dual_fmac_f32 v4, v22, v10 :: v_dual_fmac_f32 v7, v23, v11
	v_fmac_f32_e32 v1, v23, v12
	v_fmac_f32_e32 v3, v23, v13
	s_and_b32 s0, vcc_lo, s0
	s_delay_alu instid0(SALU_CYCLE_1) | instskip(NEXT) | instid1(SALU_CYCLE_1)
	s_and_saveexec_b32 s1, s0
	s_xor_b32 s0, exec_lo, s1
; %bb.47:
	v_add_co_u32 v8, vcc_lo, s2, v8
	v_add_co_ci_u32_e32 v9, vcc_lo, s3, v9, vcc_lo
                                        ; implicit-def: $vgpr20
                                        ; implicit-def: $vgpr21
	s_clause 0x1
	global_store_b128 v[8:9], v[4:7], off
	global_store_b128 v[8:9], v[0:3], off offset:16
                                        ; implicit-def: $vgpr4
                                        ; implicit-def: $vgpr8_vgpr9
                                        ; implicit-def: $vgpr0
; %bb.48:
	s_and_not1_saveexec_b32 s0, s0
	s_cbranch_execz .LBB130_13
; %bb.49:
	v_add_co_u32 v16, vcc_lo, s2, v8
	v_add_co_ci_u32_e32 v17, vcc_lo, s3, v9, vcc_lo
	s_clause 0x1
	global_load_b128 v[8:11], v[16:17], off
	global_load_b128 v[12:15], v[16:17], off offset:16
	s_waitcnt vmcnt(1)
	v_dual_fmac_f32 v4, v20, v8 :: v_dual_fmac_f32 v7, v21, v10
	v_dual_fmac_f32 v5, v21, v8 :: v_dual_fmac_f32 v6, v20, v10
	s_waitcnt vmcnt(0)
	v_dual_fmac_f32 v0, v20, v12 :: v_dual_fmac_f32 v3, v21, v14
	v_dual_fmac_f32 v1, v21, v12 :: v_dual_fmac_f32 v2, v20, v14
	v_fma_f32 v4, -v21, v9, v4
	v_fmac_f32_e32 v5, v20, v9
	v_fma_f32 v6, -v21, v11, v6
	v_fmac_f32_e32 v7, v20, v11
	v_fma_f32 v0, -v21, v13, v0
	v_fmac_f32_e32 v1, v20, v13
	v_fma_f32 v2, -v21, v15, v2
	v_fmac_f32_e32 v3, v20, v15
	s_clause 0x1
	global_store_b128 v[16:17], v[4:7], off
	global_store_b128 v[16:17], v[0:3], off offset:16
	s_nop 0
	s_sendmsg sendmsg(MSG_DEALLOC_VGPRS)
	s_endpgm
	.section	.rodata,"a",@progbits
	.p2align	6, 0x0
	.amdhsa_kernel _ZN9rocsparseL18bsrxmvn_4x4_kernelILj128ELj4E21rocsparse_complex_numIfEllfS2_S2_EEvT3_20rocsparse_direction_NS_24const_host_device_scalarIT1_EES3_PKS3_PKT2_SC_S9_PKT4_PKT5_S7_PT6_21rocsparse_index_base_b
		.amdhsa_group_segment_fixed_size 0
		.amdhsa_private_segment_fixed_size 0
		.amdhsa_kernarg_size 104
		.amdhsa_user_sgpr_count 15
		.amdhsa_user_sgpr_dispatch_ptr 0
		.amdhsa_user_sgpr_queue_ptr 0
		.amdhsa_user_sgpr_kernarg_segment_ptr 1
		.amdhsa_user_sgpr_dispatch_id 0
		.amdhsa_user_sgpr_private_segment_size 0
		.amdhsa_wavefront_size32 1
		.amdhsa_uses_dynamic_stack 0
		.amdhsa_enable_private_segment 0
		.amdhsa_system_sgpr_workgroup_id_x 1
		.amdhsa_system_sgpr_workgroup_id_y 0
		.amdhsa_system_sgpr_workgroup_id_z 0
		.amdhsa_system_sgpr_workgroup_info 0
		.amdhsa_system_vgpr_workitem_id 0
		.amdhsa_next_free_vgpr 125
		.amdhsa_next_free_sgpr 16
		.amdhsa_reserve_vcc 1
		.amdhsa_float_round_mode_32 0
		.amdhsa_float_round_mode_16_64 0
		.amdhsa_float_denorm_mode_32 3
		.amdhsa_float_denorm_mode_16_64 3
		.amdhsa_dx10_clamp 1
		.amdhsa_ieee_mode 1
		.amdhsa_fp16_overflow 0
		.amdhsa_workgroup_processor_mode 1
		.amdhsa_memory_ordered 1
		.amdhsa_forward_progress 0
		.amdhsa_shared_vgpr_count 0
		.amdhsa_exception_fp_ieee_invalid_op 0
		.amdhsa_exception_fp_denorm_src 0
		.amdhsa_exception_fp_ieee_div_zero 0
		.amdhsa_exception_fp_ieee_overflow 0
		.amdhsa_exception_fp_ieee_underflow 0
		.amdhsa_exception_fp_ieee_inexact 0
		.amdhsa_exception_int_div_zero 0
	.end_amdhsa_kernel
	.section	.text._ZN9rocsparseL18bsrxmvn_4x4_kernelILj128ELj4E21rocsparse_complex_numIfEllfS2_S2_EEvT3_20rocsparse_direction_NS_24const_host_device_scalarIT1_EES3_PKS3_PKT2_SC_S9_PKT4_PKT5_S7_PT6_21rocsparse_index_base_b,"axG",@progbits,_ZN9rocsparseL18bsrxmvn_4x4_kernelILj128ELj4E21rocsparse_complex_numIfEllfS2_S2_EEvT3_20rocsparse_direction_NS_24const_host_device_scalarIT1_EES3_PKS3_PKT2_SC_S9_PKT4_PKT5_S7_PT6_21rocsparse_index_base_b,comdat
.Lfunc_end130:
	.size	_ZN9rocsparseL18bsrxmvn_4x4_kernelILj128ELj4E21rocsparse_complex_numIfEllfS2_S2_EEvT3_20rocsparse_direction_NS_24const_host_device_scalarIT1_EES3_PKS3_PKT2_SC_S9_PKT4_PKT5_S7_PT6_21rocsparse_index_base_b, .Lfunc_end130-_ZN9rocsparseL18bsrxmvn_4x4_kernelILj128ELj4E21rocsparse_complex_numIfEllfS2_S2_EEvT3_20rocsparse_direction_NS_24const_host_device_scalarIT1_EES3_PKS3_PKT2_SC_S9_PKT4_PKT5_S7_PT6_21rocsparse_index_base_b
                                        ; -- End function
	.section	.AMDGPU.csdata,"",@progbits
; Kernel info:
; codeLenInByte = 6972
; NumSgprs: 18
; NumVgprs: 125
; ScratchSize: 0
; MemoryBound: 0
; FloatMode: 240
; IeeeMode: 1
; LDSByteSize: 0 bytes/workgroup (compile time only)
; SGPRBlocks: 2
; VGPRBlocks: 15
; NumSGPRsForWavesPerEU: 18
; NumVGPRsForWavesPerEU: 125
; Occupancy: 10
; WaveLimiterHint : 1
; COMPUTE_PGM_RSRC2:SCRATCH_EN: 0
; COMPUTE_PGM_RSRC2:USER_SGPR: 15
; COMPUTE_PGM_RSRC2:TRAP_HANDLER: 0
; COMPUTE_PGM_RSRC2:TGID_X_EN: 1
; COMPUTE_PGM_RSRC2:TGID_Y_EN: 0
; COMPUTE_PGM_RSRC2:TGID_Z_EN: 0
; COMPUTE_PGM_RSRC2:TIDIG_COMP_CNT: 0
	.section	.text._ZN9rocsparseL18bsrxmvn_4x4_kernelILj128ELj8E21rocsparse_complex_numIfEllfS2_S2_EEvT3_20rocsparse_direction_NS_24const_host_device_scalarIT1_EES3_PKS3_PKT2_SC_S9_PKT4_PKT5_S7_PT6_21rocsparse_index_base_b,"axG",@progbits,_ZN9rocsparseL18bsrxmvn_4x4_kernelILj128ELj8E21rocsparse_complex_numIfEllfS2_S2_EEvT3_20rocsparse_direction_NS_24const_host_device_scalarIT1_EES3_PKS3_PKT2_SC_S9_PKT4_PKT5_S7_PT6_21rocsparse_index_base_b,comdat
	.globl	_ZN9rocsparseL18bsrxmvn_4x4_kernelILj128ELj8E21rocsparse_complex_numIfEllfS2_S2_EEvT3_20rocsparse_direction_NS_24const_host_device_scalarIT1_EES3_PKS3_PKT2_SC_S9_PKT4_PKT5_S7_PT6_21rocsparse_index_base_b ; -- Begin function _ZN9rocsparseL18bsrxmvn_4x4_kernelILj128ELj8E21rocsparse_complex_numIfEllfS2_S2_EEvT3_20rocsparse_direction_NS_24const_host_device_scalarIT1_EES3_PKS3_PKT2_SC_S9_PKT4_PKT5_S7_PT6_21rocsparse_index_base_b
	.p2align	8
	.type	_ZN9rocsparseL18bsrxmvn_4x4_kernelILj128ELj8E21rocsparse_complex_numIfEllfS2_S2_EEvT3_20rocsparse_direction_NS_24const_host_device_scalarIT1_EES3_PKS3_PKT2_SC_S9_PKT4_PKT5_S7_PT6_21rocsparse_index_base_b,@function
_ZN9rocsparseL18bsrxmvn_4x4_kernelILj128ELj8E21rocsparse_complex_numIfEllfS2_S2_EEvT3_20rocsparse_direction_NS_24const_host_device_scalarIT1_EES3_PKS3_PKT2_SC_S9_PKT4_PKT5_S7_PT6_21rocsparse_index_base_b: ; @_ZN9rocsparseL18bsrxmvn_4x4_kernelILj128ELj8E21rocsparse_complex_numIfEllfS2_S2_EEvT3_20rocsparse_direction_NS_24const_host_device_scalarIT1_EES3_PKS3_PKT2_SC_S9_PKT4_PKT5_S7_PT6_21rocsparse_index_base_b
; %bb.0:
	s_clause 0x2
	s_load_b64 s[12:13], s[0:1], 0x60
	s_load_b128 s[4:7], s[0:1], 0x10
	s_load_b64 s[2:3], s[0:1], 0x50
	s_waitcnt lgkmcnt(0)
	s_bitcmp1_b32 s13, 0
	v_mov_b32_e32 v22, s4
	s_cselect_b32 s8, -1, 0
	s_delay_alu instid0(SALU_CYCLE_1)
	s_and_b32 vcc_lo, exec_lo, s8
	s_xor_b32 s8, s8, -1
	s_cbranch_vccz .LBB131_14
; %bb.1:
	v_cndmask_b32_e64 v1, 0, 1, s8
	v_mov_b32_e32 v23, s5
	s_and_not1_b32 vcc_lo, exec_lo, s8
	s_cbranch_vccz .LBB131_15
.LBB131_2:
	s_delay_alu instid0(VALU_DEP_2)
	v_cmp_ne_u32_e32 vcc_lo, 1, v1
	v_mov_b32_e32 v20, s2
	s_cbranch_vccz .LBB131_16
.LBB131_3:
	v_cmp_ne_u32_e32 vcc_lo, 1, v1
	v_mov_b32_e32 v21, s3
	s_cbranch_vccnz .LBB131_5
.LBB131_4:
	v_dual_mov_b32 v1, s2 :: v_dual_mov_b32 v2, s3
	flat_load_b32 v21, v[1:2] offset:4
.LBB131_5:
	s_waitcnt vmcnt(0) lgkmcnt(0)
	v_cmp_eq_f32_e32 vcc_lo, 0, v22
	v_cmp_eq_f32_e64 s2, 0, v23
	s_delay_alu instid0(VALU_DEP_1)
	s_and_b32 s4, vcc_lo, s2
	s_mov_b32 s2, -1
	s_and_saveexec_b32 s3, s4
; %bb.6:
	v_cmp_neq_f32_e32 vcc_lo, 1.0, v20
	v_cmp_neq_f32_e64 s2, 0, v21
	s_delay_alu instid0(VALU_DEP_1) | instskip(NEXT) | instid1(SALU_CYCLE_1)
	s_or_b32 s2, vcc_lo, s2
	s_or_not1_b32 s2, s2, exec_lo
; %bb.7:
	s_or_b32 exec_lo, exec_lo, s3
	s_and_saveexec_b32 s3, s2
	s_cbranch_execz .LBB131_13
; %bb.8:
	s_load_b64 s[4:5], s[0:1], 0x20
	v_lshrrev_b32_e32 v1, 3, v0
	v_mov_b32_e32 v2, 0
	s_mov_b32 s8, 0
	s_delay_alu instid0(VALU_DEP_2)
	v_lshl_or_b32 v1, s15, 4, v1
	s_waitcnt lgkmcnt(0)
	s_cmp_lg_u64 s[4:5], 0
	s_cbranch_scc0 .LBB131_17
; %bb.9:
	s_delay_alu instid0(VALU_DEP_1) | instskip(SKIP_2) | instid1(SALU_CYCLE_1)
	v_cmp_gt_i64_e32 vcc_lo, s[6:7], v[1:2]
	s_mov_b32 s6, 0
                                        ; implicit-def: $vgpr8_vgpr9
	s_and_saveexec_b32 s2, vcc_lo
	s_xor_b32 s7, exec_lo, s2
                                        ; implicit-def: $sgpr2_sgpr3
	s_cbranch_execz .LBB131_11
; %bb.10:
	v_lshlrev_b64 v[3:4], 3, v[1:2]
	s_mov_b32 s8, exec_lo
	s_mov_b32 s3, 0
	s_delay_alu instid0(VALU_DEP_1) | instskip(NEXT) | instid1(VALU_DEP_2)
	v_add_co_u32 v3, vcc_lo, s4, v3
	v_add_co_ci_u32_e32 v4, vcc_lo, s5, v4, vcc_lo
	global_load_b64 v[3:4], v[3:4], off
	s_waitcnt vmcnt(0)
	v_sub_co_u32 v8, vcc_lo, v3, s12
	v_subrev_co_ci_u32_e32 v9, vcc_lo, 0, v4, vcc_lo
.LBB131_11:
	s_or_b32 exec_lo, exec_lo, s7
	s_delay_alu instid0(SALU_CYCLE_1)
	s_and_b32 vcc_lo, exec_lo, s6
	s_cbranch_vccnz .LBB131_18
.LBB131_12:
	s_and_b32 exec_lo, exec_lo, s8
	s_cbranch_execnz .LBB131_21
.LBB131_13:
	s_nop 0
	s_sendmsg sendmsg(MSG_DEALLOC_VGPRS)
	s_endpgm
.LBB131_14:
	v_dual_mov_b32 v1, s4 :: v_dual_mov_b32 v2, s5
	flat_load_b32 v22, v[1:2]
	v_cndmask_b32_e64 v1, 0, 1, s8
	v_mov_b32_e32 v23, s5
	s_and_not1_b32 vcc_lo, exec_lo, s8
	s_cbranch_vccnz .LBB131_2
.LBB131_15:
	v_dual_mov_b32 v2, s4 :: v_dual_mov_b32 v3, s5
	flat_load_b32 v23, v[2:3] offset:4
	v_cmp_ne_u32_e32 vcc_lo, 1, v1
	v_mov_b32_e32 v20, s2
	s_cbranch_vccnz .LBB131_3
.LBB131_16:
	v_dual_mov_b32 v2, s2 :: v_dual_mov_b32 v3, s3
	flat_load_b32 v20, v[2:3]
	v_cmp_ne_u32_e32 vcc_lo, 1, v1
	v_mov_b32_e32 v21, s3
	s_cbranch_vccz .LBB131_4
	s_branch .LBB131_5
.LBB131_17:
                                        ; implicit-def: $vgpr8_vgpr9
                                        ; implicit-def: $sgpr2_sgpr3
	s_cbranch_execz .LBB131_12
.LBB131_18:
	s_load_b64 s[2:3], s[0:1], 0x0
	s_mov_b32 s4, exec_lo
                                        ; implicit-def: $vgpr8_vgpr9
	s_waitcnt lgkmcnt(0)
	v_cmpx_gt_i64_e64 s[2:3], v[1:2]
                                        ; implicit-def: $sgpr2_sgpr3
; %bb.19:
	v_dual_mov_b32 v9, v2 :: v_dual_mov_b32 v8, v1
	s_mov_b32 s3, 0
	s_or_b32 s8, s8, exec_lo
; %bb.20:
	s_or_b32 exec_lo, exec_lo, s4
	s_delay_alu instid0(SALU_CYCLE_1)
	s_and_b32 exec_lo, exec_lo, s8
	s_cbranch_execz .LBB131_13
.LBB131_21:
	s_load_b256 s[4:11], s[0:1], 0x28
	v_lshlrev_b64 v[1:2], 3, v[8:9]
	v_dual_mov_b32 v25, 0 :: v_dual_and_b32 v24, 7, v0
	s_waitcnt lgkmcnt(0)
	s_delay_alu instid0(VALU_DEP_2) | instskip(NEXT) | instid1(VALU_DEP_3)
	v_add_co_u32 v3, vcc_lo, s4, v1
	v_add_co_ci_u32_e32 v4, vcc_lo, s5, v2, vcc_lo
	v_add_co_u32 v1, vcc_lo, s6, v1
	v_add_co_ci_u32_e32 v2, vcc_lo, s7, v2, vcc_lo
	s_delay_alu instid0(VALU_DEP_4)
	v_add_co_u32 v5, vcc_lo, v3, 8
	global_load_b64 v[6:7], v[3:4], off
	v_add_co_ci_u32_e32 v10, vcc_lo, 0, v4, vcc_lo
	s_cmp_eq_u64 s[6:7], 0
	s_clause 0x1
	s_load_b32 s6, s[0:1], 0x8
	s_load_b64 s[4:5], s[0:1], 0x48
	s_cselect_b32 vcc_lo, -1, 0
	v_dual_cndmask_b32 v2, v2, v10 :: v_dual_cndmask_b32 v1, v1, v5
	global_load_b64 v[2:3], v[1:2], off
	s_waitcnt lgkmcnt(0)
	s_cmp_eq_u32 s6, 1
	s_waitcnt vmcnt(1)
	v_sub_co_u32 v0, vcc_lo, v6, s12
	v_subrev_co_ci_u32_e32 v1, vcc_lo, s3, v7, vcc_lo
	s_delay_alu instid0(VALU_DEP_2) | instskip(NEXT) | instid1(VALU_DEP_2)
	v_add_co_u32 v0, vcc_lo, v0, v24
	v_add_co_ci_u32_e32 v1, vcc_lo, 0, v1, vcc_lo
	s_delay_alu instid0(VALU_DEP_1) | instskip(SKIP_3) | instid1(VALU_DEP_3)
	v_lshlrev_b64 v[4:5], 6, v[0:1]
	s_waitcnt vmcnt(0)
	v_sub_co_u32 v2, vcc_lo, v2, s12
	v_subrev_co_ci_u32_e32 v3, vcc_lo, s3, v3, vcc_lo
	v_add_co_u32 v4, vcc_lo, s10, v4
	s_delay_alu instid0(VALU_DEP_4) | instskip(NEXT) | instid1(VALU_DEP_3)
	v_add_co_ci_u32_e32 v5, vcc_lo, s11, v5, vcc_lo
	v_cmp_lt_i64_e64 s2, v[0:1], v[2:3]
	s_cbranch_scc1 .LBB131_33
; %bb.22:
	v_dual_mov_b32 v27, 0 :: v_dual_mov_b32 v28, 0
	v_dual_mov_b32 v29, 0 :: v_dual_mov_b32 v30, 0
	;; [unrolled: 1-line block ×3, first 2 shown]
	v_mov_b32_e32 v26, 0
	s_mov_b32 s6, 0
	s_and_saveexec_b32 s7, s2
	s_cbranch_execz .LBB131_32
; %bb.23:
	v_or_b32_e32 v10, 8, v24
	v_not_b32_e32 v13, v6
	v_not_b32_e32 v12, v7
	v_mov_b32_e32 v28, 0
	v_dual_mov_b32 v26, 0 :: v_dual_mov_b32 v31, 0
	v_sub_co_u32 v10, s10, v10, s12
	s_delay_alu instid0(VALU_DEP_1) | instskip(SKIP_1) | instid1(VALU_DEP_3)
	v_sub_co_ci_u32_e64 v11, null, 0, s3, s10
	v_sub_co_u32 v14, s10, s12, v24
	v_add_co_u32 v10, vcc_lo, v10, v6
	s_delay_alu instid0(VALU_DEP_3) | instskip(SKIP_2) | instid1(VALU_DEP_3)
	v_add_co_ci_u32_e32 v11, vcc_lo, v11, v7, vcc_lo
	v_sub_co_ci_u32_e64 v15, null, s3, 0, s10
	v_dual_mov_b32 v32, 0 :: v_dual_mov_b32 v27, 0
	v_cmp_gt_i64_e32 vcc_lo, v[10:11], v[2:3]
	v_dual_mov_b32 v30, 0 :: v_dual_mov_b32 v25, 0
	s_mov_b32 s11, 0
	s_mov_b32 s10, exec_lo
	v_mov_b32_e32 v29, 0
	v_dual_cndmask_b32 v11, v3, v11 :: v_dual_cndmask_b32 v10, v2, v10
	v_add_co_u32 v13, vcc_lo, v14, v13
	v_add_co_ci_u32_e32 v12, vcc_lo, v15, v12, vcc_lo
	s_delay_alu instid0(VALU_DEP_2) | instskip(NEXT) | instid1(VALU_DEP_2)
	v_add_co_u32 v14, vcc_lo, v13, v10
	v_add_co_ci_u32_e32 v15, vcc_lo, v12, v11, vcc_lo
	v_mov_b32_e32 v13, v1
	s_delay_alu instid0(VALU_DEP_3) | instskip(SKIP_1) | instid1(VALU_DEP_2)
	v_lshrrev_b32_e32 v10, 3, v14
	v_mov_b32_e32 v12, v0
	v_add_nc_u32_e32 v10, 1, v10
	s_delay_alu instid0(VALU_DEP_1) | instskip(SKIP_1) | instid1(VALU_DEP_2)
	v_dual_mov_b32 v11, v5 :: v_dual_and_b32 v16, 3, v10
	v_mov_b32_e32 v10, v4
	v_cmpx_ne_u32_e32 0, v16
	s_cbranch_execz .LBB131_27
; %bb.24:
	v_lshlrev_b64 v[10:11], 3, v[0:1]
	v_dual_mov_b32 v17, 0 :: v_dual_lshlrev_b32 v16, 3, v16
	v_dual_mov_b32 v13, v1 :: v_dual_mov_b32 v12, v0
	s_delay_alu instid0(VALU_DEP_2) | instskip(NEXT) | instid1(VALU_DEP_4)
	v_mov_b32_e32 v25, v17
	v_add_co_u32 v18, vcc_lo, s8, v10
	v_add_co_ci_u32_e32 v19, vcc_lo, s9, v11, vcc_lo
	v_dual_mov_b32 v11, v5 :: v_dual_mov_b32 v10, v4
	v_mov_b32_e32 v27, v17
	v_mov_b32_e32 v28, v17
	;; [unrolled: 1-line block ×7, first 2 shown]
.LBB131_25:                             ; =>This Inner Loop Header: Depth=1
	global_load_b64 v[49:50], v[18:19], off
	s_clause 0x3
	global_load_b128 v[33:36], v[10:11], off offset:48
	global_load_b128 v[37:40], v[10:11], off offset:32
	;; [unrolled: 1-line block ×3, first 2 shown]
	global_load_b128 v[45:48], v[10:11], off
	s_waitcnt vmcnt(4)
	v_sub_co_u32 v49, vcc_lo, v49, s12
	v_subrev_co_ci_u32_e32 v50, vcc_lo, s3, v50, vcc_lo
	s_delay_alu instid0(VALU_DEP_1) | instskip(NEXT) | instid1(VALU_DEP_1)
	v_lshlrev_b64 v[49:50], 5, v[49:50]
	v_add_co_u32 v53, vcc_lo, s4, v49
	s_delay_alu instid0(VALU_DEP_2)
	v_add_co_ci_u32_e32 v54, vcc_lo, s5, v50, vcc_lo
	v_add_co_u32 v10, vcc_lo, 0x200, v10
	v_add_co_ci_u32_e32 v11, vcc_lo, 0, v11, vcc_lo
	s_clause 0x1
	global_load_b128 v[49:52], v[53:54], off
	global_load_b128 v[53:56], v[53:54], off offset:16
	v_add_co_u32 v12, vcc_lo, v12, 8
	v_add_co_ci_u32_e32 v13, vcc_lo, 0, v13, vcc_lo
	v_add_co_u32 v16, vcc_lo, v16, -8
	v_add_co_ci_u32_e32 v17, vcc_lo, -1, v17, vcc_lo
	v_add_co_u32 v18, vcc_lo, v18, 64
	v_add_co_ci_u32_e32 v19, vcc_lo, 0, v19, vcc_lo
	s_delay_alu instid0(VALU_DEP_3) | instskip(SKIP_3) | instid1(VALU_DEP_1)
	v_cmp_eq_u64_e32 vcc_lo, 0, v[16:17]
	s_or_b32 s11, vcc_lo, s11
	s_waitcnt vmcnt(1)
	v_fmac_f32_e32 v26, v33, v49
	v_dual_fmac_f32 v27, v45, v49 :: v_dual_fmac_f32 v26, 0x80000000, v50
	s_delay_alu instid0(VALU_DEP_1) | instskip(NEXT) | instid1(VALU_DEP_1)
	v_dual_fmac_f32 v28, 0, v49 :: v_dual_fmac_f32 v27, 0x80000000, v50
	v_dual_fmac_f32 v25, 0, v49 :: v_dual_fmac_f32 v28, v41, v50
	s_delay_alu instid0(VALU_DEP_1) | instskip(SKIP_1) | instid1(VALU_DEP_4)
	v_dual_fmac_f32 v30, 0, v49 :: v_dual_fmac_f32 v25, v45, v50
	v_fmac_f32_e32 v29, v41, v49
	v_fmac_f32_e32 v27, v46, v51
	s_delay_alu instid0(VALU_DEP_4) | instskip(NEXT) | instid1(VALU_DEP_4)
	v_fmac_f32_e32 v28, 0, v51
	v_fmac_f32_e32 v30, v37, v50
	;; [unrolled: 1-line block ×3, first 2 shown]
	v_dual_fmac_f32 v29, 0x80000000, v50 :: v_dual_fmac_f32 v26, v34, v51
	s_delay_alu instid0(VALU_DEP_3) | instskip(NEXT) | instid1(VALU_DEP_3)
	v_dual_fmac_f32 v27, 0x80000000, v52 :: v_dual_fmac_f32 v30, 0, v51
	v_dual_fmac_f32 v32, 0, v49 :: v_dual_fmac_f32 v31, 0x80000000, v50
	v_fmac_f32_e32 v25, 0, v51
	s_delay_alu instid0(VALU_DEP_4) | instskip(NEXT) | instid1(VALU_DEP_3)
	v_dual_fmac_f32 v29, v42, v51 :: v_dual_fmac_f32 v26, 0x80000000, v52
	v_fmac_f32_e32 v32, v33, v50
	s_waitcnt vmcnt(0)
	v_dual_fmac_f32 v28, v42, v52 :: v_dual_fmac_f32 v27, v47, v53
	v_fmac_f32_e32 v25, v46, v52
	v_fmac_f32_e32 v30, v38, v52
	;; [unrolled: 1-line block ×3, first 2 shown]
	s_delay_alu instid0(VALU_DEP_4) | instskip(NEXT) | instid1(VALU_DEP_4)
	v_dual_fmac_f32 v31, v38, v51 :: v_dual_fmac_f32 v28, 0, v53
	v_fmac_f32_e32 v25, 0, v53
	s_delay_alu instid0(VALU_DEP_4) | instskip(NEXT) | instid1(VALU_DEP_4)
	v_dual_fmac_f32 v29, 0x80000000, v52 :: v_dual_fmac_f32 v30, 0, v53
	v_fmac_f32_e32 v32, v34, v52
	s_delay_alu instid0(VALU_DEP_4) | instskip(NEXT) | instid1(VALU_DEP_3)
	v_dual_fmac_f32 v31, 0x80000000, v52 :: v_dual_fmac_f32 v26, v35, v53
	v_fmac_f32_e32 v29, v43, v53
	s_delay_alu instid0(VALU_DEP_3) | instskip(SKIP_1) | instid1(VALU_DEP_4)
	v_dual_fmac_f32 v27, 0x80000000, v54 :: v_dual_fmac_f32 v32, 0, v53
	v_fmac_f32_e32 v28, v43, v54
	v_dual_fmac_f32 v31, v39, v53 :: v_dual_fmac_f32 v26, 0x80000000, v54
	s_delay_alu instid0(VALU_DEP_3) | instskip(NEXT) | instid1(VALU_DEP_3)
	v_fmac_f32_e32 v27, v48, v55
	v_dual_fmac_f32 v25, v47, v54 :: v_dual_fmac_f32 v28, 0, v55
	v_fmac_f32_e32 v30, v39, v54
	s_delay_alu instid0(VALU_DEP_4) | instskip(NEXT) | instid1(VALU_DEP_3)
	v_dual_fmac_f32 v31, 0x80000000, v54 :: v_dual_fmac_f32 v26, v36, v55
	v_fmac_f32_e32 v25, 0, v55
	s_delay_alu instid0(VALU_DEP_3) | instskip(NEXT) | instid1(VALU_DEP_3)
	v_dual_fmac_f32 v29, 0x80000000, v54 :: v_dual_fmac_f32 v30, 0, v55
	v_dual_fmac_f32 v32, v35, v54 :: v_dual_fmac_f32 v31, v40, v55
	s_delay_alu instid0(VALU_DEP_2) | instskip(NEXT) | instid1(VALU_DEP_2)
	v_dual_fmac_f32 v26, 0x80000000, v56 :: v_dual_fmac_f32 v29, v44, v55
	v_dual_fmac_f32 v27, 0x80000000, v56 :: v_dual_fmac_f32 v32, 0, v55
	v_fmac_f32_e32 v25, v48, v56
	v_fmac_f32_e32 v28, v44, v56
	s_delay_alu instid0(VALU_DEP_4)
	v_fmac_f32_e32 v29, 0x80000000, v56
	v_fmac_f32_e32 v31, 0x80000000, v56
	;; [unrolled: 1-line block ×4, first 2 shown]
	s_and_not1_b32 exec_lo, exec_lo, s11
	s_cbranch_execnz .LBB131_25
; %bb.26:
	s_or_b32 exec_lo, exec_lo, s11
.LBB131_27:
	s_delay_alu instid0(SALU_CYCLE_1) | instskip(NEXT) | instid1(SALU_CYCLE_1)
	s_or_b32 exec_lo, exec_lo, s10
	s_mov_b32 s10, exec_lo
	v_cmpx_lt_u64_e32 23, v[14:15]
	s_cbranch_execz .LBB131_31
; %bb.28:
	v_lshlrev_b64 v[14:15], 3, v[12:13]
	s_mov_b32 s11, 0
	s_delay_alu instid0(VALU_DEP_1) | instskip(NEXT) | instid1(VALU_DEP_2)
	v_add_co_u32 v14, vcc_lo, v14, s8
	v_add_co_ci_u32_e32 v15, vcc_lo, s9, v15, vcc_lo
	s_delay_alu instid0(VALU_DEP_2) | instskip(NEXT) | instid1(VALU_DEP_2)
	v_add_co_u32 v14, vcc_lo, 0x80, v14
	v_add_co_ci_u32_e32 v15, vcc_lo, 0, v15, vcc_lo
.LBB131_29:                             ; =>This Inner Loop Header: Depth=1
	s_clause 0x3
	global_load_b64 v[93:94], v[14:15], off offset:-128
	global_load_b64 v[95:96], v[14:15], off offset:-64
	global_load_b64 v[97:98], v[14:15], off
	global_load_b64 v[99:100], v[14:15], off offset:64
	s_clause 0xf
	global_load_b128 v[16:19], v[10:11], off offset:48
	global_load_b128 v[33:36], v[10:11], off offset:32
	;; [unrolled: 1-line block ×3, first 2 shown]
	global_load_b128 v[41:44], v[10:11], off
	global_load_b128 v[45:48], v[10:11], off offset:560
	global_load_b128 v[49:52], v[10:11], off offset:544
	;; [unrolled: 1-line block ×12, first 2 shown]
	s_waitcnt vmcnt(19)
	v_sub_co_u32 v93, vcc_lo, v93, s12
	v_subrev_co_ci_u32_e32 v94, vcc_lo, s3, v94, vcc_lo
	s_waitcnt vmcnt(18)
	v_sub_co_u32 v95, vcc_lo, v95, s12
	v_subrev_co_ci_u32_e32 v96, vcc_lo, s3, v96, vcc_lo
	s_waitcnt vmcnt(17)
	v_sub_co_u32 v97, vcc_lo, v97, s12
	v_lshlrev_b64 v[93:94], 5, v[93:94]
	v_subrev_co_ci_u32_e32 v98, vcc_lo, s3, v98, vcc_lo
	s_waitcnt vmcnt(16)
	v_sub_co_u32 v99, vcc_lo, v99, s12
	v_lshlrev_b64 v[95:96], 5, v[95:96]
	v_subrev_co_ci_u32_e32 v100, vcc_lo, s3, v100, vcc_lo
	v_lshlrev_b64 v[97:98], 5, v[97:98]
	v_add_co_u32 v101, vcc_lo, s4, v93
	v_add_co_ci_u32_e32 v102, vcc_lo, s5, v94, vcc_lo
	s_delay_alu instid0(VALU_DEP_4)
	v_lshlrev_b64 v[99:100], 5, v[99:100]
	v_add_co_u32 v105, vcc_lo, s4, v95
	v_add_co_ci_u32_e32 v106, vcc_lo, s5, v96, vcc_lo
	v_add_co_u32 v113, vcc_lo, s4, v97
	v_add_co_ci_u32_e32 v114, vcc_lo, s5, v98, vcc_lo
	;; [unrolled: 2-line block ×3, first 2 shown]
	s_clause 0x7
	global_load_b128 v[93:96], v[101:102], off
	global_load_b128 v[97:100], v[101:102], off offset:16
	global_load_b128 v[101:104], v[105:106], off
	global_load_b128 v[105:108], v[105:106], off offset:16
	;; [unrolled: 2-line block ×4, first 2 shown]
	v_add_co_u32 v12, vcc_lo, v12, 32
	v_add_co_ci_u32_e32 v13, vcc_lo, 0, v13, vcc_lo
	v_add_co_u32 v10, vcc_lo, 0x800, v10
	v_add_co_ci_u32_e32 v11, vcc_lo, 0, v11, vcc_lo
	;; [unrolled: 2-line block ×3, first 2 shown]
	v_cmp_ge_i64_e32 vcc_lo, v[12:13], v[2:3]
	s_or_b32 s11, vcc_lo, s11
	s_waitcnt vmcnt(7)
	v_fmac_f32_e32 v32, 0, v93
	s_delay_alu instid0(VALU_DEP_1) | instskip(NEXT) | instid1(VALU_DEP_1)
	v_dual_fmac_f32 v29, v37, v93 :: v_dual_fmac_f32 v32, v16, v94
	v_dual_fmac_f32 v26, v16, v93 :: v_dual_fmac_f32 v29, 0x80000000, v94
	s_delay_alu instid0(VALU_DEP_1) | instskip(NEXT) | instid1(VALU_DEP_1)
	v_dual_fmac_f32 v27, v41, v93 :: v_dual_fmac_f32 v26, 0x80000000, v94
	v_dual_fmac_f32 v28, 0, v93 :: v_dual_fmac_f32 v27, 0x80000000, v94
	s_delay_alu instid0(VALU_DEP_1) | instskip(NEXT) | instid1(VALU_DEP_1)
	v_dual_fmac_f32 v25, 0, v93 :: v_dual_fmac_f32 v28, v37, v94
	v_dual_fmac_f32 v30, 0, v93 :: v_dual_fmac_f32 v25, v41, v94
	v_fmac_f32_e32 v31, v33, v93
	s_delay_alu instid0(VALU_DEP_4) | instskip(NEXT) | instid1(VALU_DEP_4)
	v_fmac_f32_e32 v27, v42, v95
	v_fmac_f32_e32 v28, 0, v95
	s_delay_alu instid0(VALU_DEP_4) | instskip(NEXT) | instid1(VALU_DEP_4)
	v_dual_fmac_f32 v30, v33, v94 :: v_dual_fmac_f32 v25, 0, v95
	v_fmac_f32_e32 v31, 0x80000000, v94
	s_delay_alu instid0(VALU_DEP_4) | instskip(NEXT) | instid1(VALU_DEP_4)
	v_fmac_f32_e32 v27, 0x80000000, v96
	v_fmac_f32_e32 v28, v38, v96
	s_delay_alu instid0(VALU_DEP_4)
	v_dual_fmac_f32 v26, v17, v95 :: v_dual_fmac_f32 v25, v42, v96
	v_fmac_f32_e32 v29, v38, v95
	v_fmac_f32_e32 v30, 0, v95
	s_waitcnt vmcnt(6)
	v_fmac_f32_e32 v28, 0, v97
	v_fmac_f32_e32 v26, 0x80000000, v96
	v_dual_fmac_f32 v32, 0, v95 :: v_dual_fmac_f32 v29, 0x80000000, v96
	v_fmac_f32_e32 v31, v34, v95
	s_delay_alu instid0(VALU_DEP_4) | instskip(NEXT) | instid1(VALU_DEP_3)
	v_dual_fmac_f32 v25, 0, v97 :: v_dual_fmac_f32 v28, v39, v98
	v_fmac_f32_e32 v32, v17, v96
	v_dual_fmac_f32 v30, v34, v96 :: v_dual_fmac_f32 v27, v43, v97
	s_delay_alu instid0(VALU_DEP_4) | instskip(NEXT) | instid1(VALU_DEP_4)
	v_dual_fmac_f32 v31, 0x80000000, v96 :: v_dual_fmac_f32 v26, v18, v97
	v_fmac_f32_e32 v25, v43, v98
	v_fmac_f32_e32 v29, v39, v97
	s_delay_alu instid0(VALU_DEP_4) | instskip(NEXT) | instid1(VALU_DEP_4)
	v_dual_fmac_f32 v30, 0, v97 :: v_dual_fmac_f32 v27, 0x80000000, v98
	v_fmac_f32_e32 v26, 0x80000000, v98
	s_delay_alu instid0(VALU_DEP_3) | instskip(SKIP_1) | instid1(VALU_DEP_4)
	v_dual_fmac_f32 v32, 0, v97 :: v_dual_fmac_f32 v29, 0x80000000, v98
	v_fmac_f32_e32 v31, v35, v97
	v_dual_fmac_f32 v30, v35, v98 :: v_dual_fmac_f32 v27, v44, v99
	s_delay_alu instid0(VALU_DEP_3) | instskip(NEXT) | instid1(VALU_DEP_3)
	v_fmac_f32_e32 v32, v18, v98
	v_dual_fmac_f32 v28, 0, v99 :: v_dual_fmac_f32 v31, 0x80000000, v98
	v_fmac_f32_e32 v25, 0, v99
	s_delay_alu instid0(VALU_DEP_4) | instskip(NEXT) | instid1(VALU_DEP_3)
	v_dual_fmac_f32 v30, 0, v99 :: v_dual_fmac_f32 v27, 0x80000000, v100
	v_fmac_f32_e32 v28, v40, v100
	s_delay_alu instid0(VALU_DEP_3) | instskip(SKIP_3) | instid1(VALU_DEP_3)
	v_dual_fmac_f32 v26, v19, v99 :: v_dual_fmac_f32 v25, v44, v100
	v_fmac_f32_e32 v29, v40, v99
	s_waitcnt vmcnt(5)
	v_dual_fmac_f32 v30, v36, v100 :: v_dual_fmac_f32 v27, v57, v101
	v_fmac_f32_e32 v26, 0x80000000, v100
	s_delay_alu instid0(VALU_DEP_3) | instskip(SKIP_1) | instid1(VALU_DEP_2)
	v_dual_fmac_f32 v32, 0, v99 :: v_dual_fmac_f32 v29, 0x80000000, v100
	v_dual_fmac_f32 v31, v36, v99 :: v_dual_fmac_f32 v28, 0, v101
	;; [unrolled: 1-line block ×4, first 2 shown]
	s_delay_alu instid0(VALU_DEP_3) | instskip(SKIP_3) | instid1(VALU_DEP_4)
	v_dual_fmac_f32 v31, 0x80000000, v100 :: v_dual_fmac_f32 v26, v45, v101
	v_fmac_f32_e32 v29, v53, v101
	v_fmac_f32_e32 v28, v53, v102
	v_dual_fmac_f32 v32, 0, v101 :: v_dual_fmac_f32 v25, v57, v102
	v_fmac_f32_e32 v31, v49, v101
	v_dual_fmac_f32 v30, v49, v102 :: v_dual_fmac_f32 v27, v58, v103
	v_fmac_f32_e32 v26, 0x80000000, v102
	v_fmac_f32_e32 v29, 0x80000000, v102
	v_dual_fmac_f32 v32, v45, v102 :: v_dual_fmac_f32 v25, 0, v103
	v_dual_fmac_f32 v28, 0, v103 :: v_dual_fmac_f32 v31, 0x80000000, v102
	v_fmac_f32_e32 v30, 0, v103
	v_dual_fmac_f32 v26, v46, v103 :: v_dual_fmac_f32 v27, 0x80000000, v104
	v_fmac_f32_e32 v29, v54, v103
	v_dual_fmac_f32 v32, 0, v103 :: v_dual_fmac_f32 v25, v58, v104
	s_waitcnt vmcnt(4)
	s_delay_alu instid0(VALU_DEP_3) | instskip(SKIP_2) | instid1(VALU_DEP_3)
	v_dual_fmac_f32 v28, v54, v104 :: v_dual_fmac_f32 v27, v59, v105
	v_fmac_f32_e32 v30, v50, v104
	v_dual_fmac_f32 v31, v50, v103 :: v_dual_fmac_f32 v26, 0x80000000, v104
	v_fmac_f32_e32 v28, 0, v105
	v_fmac_f32_e32 v25, 0, v105
	s_delay_alu instid0(VALU_DEP_4) | instskip(SKIP_1) | instid1(VALU_DEP_4)
	v_dual_fmac_f32 v29, 0x80000000, v104 :: v_dual_fmac_f32 v30, 0, v105
	v_dual_fmac_f32 v32, v46, v104 :: v_dual_fmac_f32 v27, 0x80000000, v106
	v_fmac_f32_e32 v28, v55, v106
	s_delay_alu instid0(VALU_DEP_3) | instskip(SKIP_1) | instid1(VALU_DEP_4)
	v_fmac_f32_e32 v29, v55, v105
	v_dual_fmac_f32 v31, 0x80000000, v104 :: v_dual_fmac_f32 v26, v47, v105
	v_dual_fmac_f32 v32, 0, v105 :: v_dual_fmac_f32 v27, v60, v107
	s_delay_alu instid0(VALU_DEP_4) | instskip(SKIP_1) | instid1(VALU_DEP_4)
	v_dual_fmac_f32 v25, v59, v106 :: v_dual_fmac_f32 v28, 0, v107
	v_fmac_f32_e32 v30, v51, v106
	v_dual_fmac_f32 v31, v51, v105 :: v_dual_fmac_f32 v26, 0x80000000, v106
	s_delay_alu instid0(VALU_DEP_3) | instskip(NEXT) | instid1(VALU_DEP_3)
	v_fmac_f32_e32 v25, 0, v107
	v_dual_fmac_f32 v29, 0x80000000, v106 :: v_dual_fmac_f32 v30, 0, v107
	v_dual_fmac_f32 v32, v47, v106 :: v_dual_fmac_f32 v27, 0x80000000, v108
	v_fmac_f32_e32 v28, v56, v108
	s_delay_alu instid0(VALU_DEP_3)
	v_fmac_f32_e32 v29, v56, v107
	v_dual_fmac_f32 v31, 0x80000000, v106 :: v_dual_fmac_f32 v26, v48, v107
	s_waitcnt vmcnt(3)
	v_dual_fmac_f32 v32, 0, v107 :: v_dual_fmac_f32 v27, v73, v109
	v_dual_fmac_f32 v25, v60, v108 :: v_dual_fmac_f32 v28, 0, v109
	v_fmac_f32_e32 v30, v52, v108
	v_dual_fmac_f32 v31, v52, v107 :: v_dual_fmac_f32 v26, 0x80000000, v108
	s_delay_alu instid0(VALU_DEP_3) | instskip(NEXT) | instid1(VALU_DEP_3)
	v_fmac_f32_e32 v25, 0, v109
	v_dual_fmac_f32 v29, 0x80000000, v108 :: v_dual_fmac_f32 v30, 0, v109
	v_dual_fmac_f32 v32, v48, v108 :: v_dual_fmac_f32 v27, 0x80000000, v110
	v_fmac_f32_e32 v28, v69, v110
	s_delay_alu instid0(VALU_DEP_3) | instskip(SKIP_1) | instid1(VALU_DEP_4)
	v_fmac_f32_e32 v29, v69, v109
	v_dual_fmac_f32 v31, 0x80000000, v108 :: v_dual_fmac_f32 v26, v61, v109
	v_dual_fmac_f32 v32, 0, v109 :: v_dual_fmac_f32 v27, v74, v111
	s_delay_alu instid0(VALU_DEP_4) | instskip(SKIP_1) | instid1(VALU_DEP_4)
	v_dual_fmac_f32 v25, v73, v110 :: v_dual_fmac_f32 v28, 0, v111
	v_fmac_f32_e32 v30, v65, v110
	v_dual_fmac_f32 v31, v65, v109 :: v_dual_fmac_f32 v26, 0x80000000, v110
	s_delay_alu instid0(VALU_DEP_3) | instskip(NEXT) | instid1(VALU_DEP_3)
	v_fmac_f32_e32 v25, 0, v111
	v_dual_fmac_f32 v29, 0x80000000, v110 :: v_dual_fmac_f32 v30, 0, v111
	v_dual_fmac_f32 v32, v61, v110 :: v_dual_fmac_f32 v27, 0x80000000, v112
	v_fmac_f32_e32 v28, v70, v112
	s_delay_alu instid0(VALU_DEP_3)
	v_fmac_f32_e32 v29, v70, v111
	v_dual_fmac_f32 v31, 0x80000000, v110 :: v_dual_fmac_f32 v26, v62, v111
	s_waitcnt vmcnt(2)
	v_dual_fmac_f32 v32, 0, v111 :: v_dual_fmac_f32 v27, v75, v113
	v_dual_fmac_f32 v25, v74, v112 :: v_dual_fmac_f32 v28, 0, v113
	v_fmac_f32_e32 v30, v66, v112
	v_dual_fmac_f32 v31, v66, v111 :: v_dual_fmac_f32 v26, 0x80000000, v112
	s_delay_alu instid0(VALU_DEP_3) | instskip(NEXT) | instid1(VALU_DEP_3)
	v_fmac_f32_e32 v25, 0, v113
	;; [unrolled: 26-line block ×4, first 2 shown]
	v_dual_fmac_f32 v29, 0x80000000, v120 :: v_dual_fmac_f32 v30, 0, v121
	v_fmac_f32_e32 v32, v78, v120
	s_delay_alu instid0(VALU_DEP_4) | instskip(NEXT) | instid1(VALU_DEP_3)
	v_dual_fmac_f32 v31, 0x80000000, v120 :: v_dual_fmac_f32 v26, v79, v121
	v_fmac_f32_e32 v29, v87, v121
	s_delay_alu instid0(VALU_DEP_3) | instskip(SKIP_1) | instid1(VALU_DEP_4)
	v_dual_fmac_f32 v27, 0x80000000, v122 :: v_dual_fmac_f32 v32, 0, v121
	v_fmac_f32_e32 v28, v87, v122
	v_dual_fmac_f32 v31, v83, v121 :: v_dual_fmac_f32 v26, 0x80000000, v122
	s_delay_alu instid0(VALU_DEP_3) | instskip(NEXT) | instid1(VALU_DEP_3)
	v_fmac_f32_e32 v27, v92, v123
	v_dual_fmac_f32 v25, v91, v122 :: v_dual_fmac_f32 v28, 0, v123
	v_fmac_f32_e32 v30, v83, v122
	s_delay_alu instid0(VALU_DEP_4) | instskip(NEXT) | instid1(VALU_DEP_3)
	v_dual_fmac_f32 v31, 0x80000000, v122 :: v_dual_fmac_f32 v26, v80, v123
	v_fmac_f32_e32 v25, 0, v123
	s_delay_alu instid0(VALU_DEP_3) | instskip(NEXT) | instid1(VALU_DEP_3)
	v_dual_fmac_f32 v29, 0x80000000, v122 :: v_dual_fmac_f32 v30, 0, v123
	v_dual_fmac_f32 v32, v79, v122 :: v_dual_fmac_f32 v31, v84, v123
	s_delay_alu instid0(VALU_DEP_2) | instskip(NEXT) | instid1(VALU_DEP_2)
	v_dual_fmac_f32 v26, 0x80000000, v124 :: v_dual_fmac_f32 v29, v88, v123
	v_dual_fmac_f32 v27, 0x80000000, v124 :: v_dual_fmac_f32 v32, 0, v123
	v_fmac_f32_e32 v25, v92, v124
	v_fmac_f32_e32 v28, v88, v124
	s_delay_alu instid0(VALU_DEP_4)
	v_fmac_f32_e32 v29, 0x80000000, v124
	v_fmac_f32_e32 v31, 0x80000000, v124
	;; [unrolled: 1-line block ×4, first 2 shown]
	s_and_not1_b32 exec_lo, exec_lo, s11
	s_cbranch_execnz .LBB131_29
; %bb.30:
	s_or_b32 exec_lo, exec_lo, s11
.LBB131_31:
	s_delay_alu instid0(SALU_CYCLE_1)
	s_or_b32 exec_lo, exec_lo, s10
.LBB131_32:
	s_delay_alu instid0(SALU_CYCLE_1) | instskip(NEXT) | instid1(SALU_CYCLE_1)
	s_or_b32 exec_lo, exec_lo, s7
	s_and_not1_b32 vcc_lo, exec_lo, s6
	s_cbranch_vccz .LBB131_34
	s_branch .LBB131_45
.LBB131_33:
                                        ; implicit-def: $vgpr25
                                        ; implicit-def: $vgpr27
                                        ; implicit-def: $vgpr28
                                        ; implicit-def: $vgpr29
                                        ; implicit-def: $vgpr30
                                        ; implicit-def: $vgpr31
                                        ; implicit-def: $vgpr32
                                        ; implicit-def: $vgpr26
.LBB131_34:
	v_dual_mov_b32 v25, 0 :: v_dual_mov_b32 v28, 0
	v_dual_mov_b32 v27, 0 :: v_dual_mov_b32 v30, 0
	;; [unrolled: 1-line block ×4, first 2 shown]
	s_and_saveexec_b32 s6, s2
	s_cbranch_execz .LBB131_44
; %bb.35:
	v_or_b32_e32 v10, 8, v24
	v_dual_mov_b32 v26, 0 :: v_dual_mov_b32 v29, 0
	v_dual_mov_b32 v32, 0 :: v_dual_mov_b32 v27, 0
	s_delay_alu instid0(VALU_DEP_3) | instskip(NEXT) | instid1(VALU_DEP_1)
	v_sub_co_u32 v10, s2, v10, s12
	v_sub_co_ci_u32_e64 v11, null, 0, s3, s2
	v_sub_co_u32 v12, s2, s12, v24
	s_delay_alu instid0(VALU_DEP_3) | instskip(NEXT) | instid1(VALU_DEP_3)
	v_add_co_u32 v10, vcc_lo, v10, v6
	v_add_co_ci_u32_e32 v11, vcc_lo, v11, v7, vcc_lo
	v_not_b32_e32 v6, v6
	v_not_b32_e32 v7, v7
	v_sub_co_ci_u32_e64 v13, null, s3, 0, s2
	s_delay_alu instid0(VALU_DEP_4)
	v_cmp_gt_i64_e32 vcc_lo, v[10:11], v[2:3]
	v_mov_b32_e32 v30, 0
	v_mov_b32_e32 v28, 0
	s_mov_b32 s7, 0
	s_mov_b32 s2, exec_lo
	v_mov_b32_e32 v31, 0
	v_dual_cndmask_b32 v11, v3, v11 :: v_dual_cndmask_b32 v10, v2, v10
	v_add_co_u32 v6, vcc_lo, v12, v6
	v_add_co_ci_u32_e32 v7, vcc_lo, v13, v7, vcc_lo
	v_mov_b32_e32 v25, 0
	s_delay_alu instid0(VALU_DEP_3) | instskip(NEXT) | instid1(VALU_DEP_3)
	v_add_co_u32 v6, vcc_lo, v6, v10
	v_add_co_ci_u32_e32 v7, vcc_lo, v7, v11, vcc_lo
	s_delay_alu instid0(VALU_DEP_2) | instskip(NEXT) | instid1(VALU_DEP_1)
	v_lshrrev_b32_e32 v10, 3, v6
	v_add_nc_u32_e32 v10, 1, v10
	s_delay_alu instid0(VALU_DEP_1) | instskip(NEXT) | instid1(VALU_DEP_1)
	v_and_b32_e32 v10, 3, v10
	v_cmpx_ne_u32_e32 0, v10
	s_cbranch_execz .LBB131_39
; %bb.36:
	v_lshlrev_b64 v[12:13], 3, v[0:1]
	v_dual_mov_b32 v11, 0 :: v_dual_lshlrev_b32 v10, 3, v10
	s_delay_alu instid0(VALU_DEP_1) | instskip(NEXT) | instid1(VALU_DEP_3)
	v_mov_b32_e32 v25, v11
	v_add_co_u32 v12, vcc_lo, s8, v12
	s_delay_alu instid0(VALU_DEP_4)
	v_add_co_ci_u32_e32 v13, vcc_lo, s9, v13, vcc_lo
	v_mov_b32_e32 v27, v11
	v_mov_b32_e32 v28, v11
	;; [unrolled: 1-line block ×7, first 2 shown]
.LBB131_37:                             ; =>This Inner Loop Header: Depth=1
	global_load_b64 v[18:19], v[12:13], off
	s_clause 0x1
	global_load_b128 v[14:17], v[4:5], off offset:16
	global_load_b128 v[33:36], v[4:5], off
	s_waitcnt vmcnt(2)
	v_sub_co_u32 v18, vcc_lo, v18, s12
	v_subrev_co_ci_u32_e32 v19, vcc_lo, s3, v19, vcc_lo
	s_delay_alu instid0(VALU_DEP_1) | instskip(NEXT) | instid1(VALU_DEP_1)
	v_lshlrev_b64 v[18:19], 5, v[18:19]
	v_add_co_u32 v18, vcc_lo, s4, v18
	s_delay_alu instid0(VALU_DEP_2)
	v_add_co_ci_u32_e32 v19, vcc_lo, s5, v19, vcc_lo
	s_clause 0x1
	global_load_b128 v[37:40], v[18:19], off
	global_load_b128 v[41:44], v[18:19], off offset:16
	s_clause 0x1
	global_load_b128 v[45:48], v[4:5], off offset:32
	global_load_b128 v[49:52], v[4:5], off offset:48
	v_add_co_u32 v4, vcc_lo, 0x200, v4
	v_add_co_ci_u32_e32 v5, vcc_lo, 0, v5, vcc_lo
	v_add_co_u32 v0, vcc_lo, v0, 8
	v_add_co_ci_u32_e32 v1, vcc_lo, 0, v1, vcc_lo
	v_add_co_u32 v10, vcc_lo, v10, -8
	v_add_co_ci_u32_e32 v11, vcc_lo, -1, v11, vcc_lo
	v_add_co_u32 v12, vcc_lo, v12, 64
	v_add_co_ci_u32_e32 v13, vcc_lo, 0, v13, vcc_lo
	s_delay_alu instid0(VALU_DEP_3)
	v_cmp_eq_u64_e32 vcc_lo, 0, v[10:11]
	s_or_b32 s7, vcc_lo, s7
	s_waitcnt vmcnt(3)
	v_fmac_f32_e32 v28, 0, v37
	v_fmac_f32_e32 v27, v33, v37
	v_fmac_f32_e32 v30, 0, v37
	v_fmac_f32_e32 v25, 0, v37
	v_fmac_f32_e32 v26, v36, v37
	v_fmac_f32_e32 v29, v34, v37
	v_fmac_f32_e32 v32, 0, v37
	v_dual_fmac_f32 v31, v35, v37 :: v_dual_fmac_f32 v28, v34, v38
	v_fmac_f32_e32 v27, 0x80000000, v38
	v_fmac_f32_e32 v30, v35, v38
	s_delay_alu instid0(VALU_DEP_4)
	v_fmac_f32_e32 v32, v36, v38
	v_fmac_f32_e32 v25, v33, v38
	;; [unrolled: 1-line block ×4, first 2 shown]
	v_dual_fmac_f32 v29, 0x80000000, v38 :: v_dual_fmac_f32 v28, 0, v39
	v_fmac_f32_e32 v27, v14, v39
	v_fmac_f32_e32 v30, 0, v39
	;; [unrolled: 1-line block ×6, first 2 shown]
	v_dual_fmac_f32 v31, v16, v39 :: v_dual_fmac_f32 v28, v15, v40
	v_fmac_f32_e32 v27, 0x80000000, v40
	v_fmac_f32_e32 v30, v16, v40
	s_delay_alu instid0(VALU_DEP_4)
	v_fmac_f32_e32 v32, v17, v40
	v_fmac_f32_e32 v25, v14, v40
	;; [unrolled: 1-line block ×4, first 2 shown]
	s_waitcnt vmcnt(2)
	v_dual_fmac_f32 v29, 0x80000000, v40 :: v_dual_fmac_f32 v28, 0, v41
	s_waitcnt vmcnt(1)
	v_fmac_f32_e32 v27, v45, v41
	v_fmac_f32_e32 v30, 0, v41
	;; [unrolled: 1-line block ×6, first 2 shown]
	v_dual_fmac_f32 v31, v47, v41 :: v_dual_fmac_f32 v28, v46, v42
	v_fmac_f32_e32 v27, 0x80000000, v42
	v_fmac_f32_e32 v30, v47, v42
	s_delay_alu instid0(VALU_DEP_4)
	v_fmac_f32_e32 v32, v48, v42
	v_fmac_f32_e32 v25, v45, v42
	;; [unrolled: 1-line block ×4, first 2 shown]
	v_dual_fmac_f32 v29, 0x80000000, v42 :: v_dual_fmac_f32 v28, 0, v43
	s_waitcnt vmcnt(0)
	v_fmac_f32_e32 v27, v49, v43
	v_fmac_f32_e32 v30, 0, v43
	;; [unrolled: 1-line block ×6, first 2 shown]
	v_dual_fmac_f32 v31, v51, v43 :: v_dual_fmac_f32 v28, v50, v44
	v_fmac_f32_e32 v27, 0x80000000, v44
	v_fmac_f32_e32 v30, v51, v44
	s_delay_alu instid0(VALU_DEP_4)
	v_fmac_f32_e32 v32, v52, v44
	v_fmac_f32_e32 v25, v49, v44
	;; [unrolled: 1-line block ×5, first 2 shown]
	s_and_not1_b32 exec_lo, exec_lo, s7
	s_cbranch_execnz .LBB131_37
; %bb.38:
	s_or_b32 exec_lo, exec_lo, s7
.LBB131_39:
	s_delay_alu instid0(SALU_CYCLE_1) | instskip(NEXT) | instid1(SALU_CYCLE_1)
	s_or_b32 exec_lo, exec_lo, s2
	s_mov_b32 s2, exec_lo
	v_cmpx_lt_u64_e32 23, v[6:7]
	s_cbranch_execz .LBB131_43
; %bb.40:
	v_lshlrev_b64 v[6:7], 3, v[0:1]
	s_mov_b32 s7, 0
	s_delay_alu instid0(VALU_DEP_1) | instskip(NEXT) | instid1(VALU_DEP_2)
	v_add_co_u32 v6, vcc_lo, v6, s8
	v_add_co_ci_u32_e32 v7, vcc_lo, s9, v7, vcc_lo
	s_delay_alu instid0(VALU_DEP_2) | instskip(NEXT) | instid1(VALU_DEP_2)
	v_add_co_u32 v6, vcc_lo, 0x80, v6
	v_add_co_ci_u32_e32 v7, vcc_lo, 0, v7, vcc_lo
.LBB131_41:                             ; =>This Inner Loop Header: Depth=1
	s_clause 0x3
	global_load_b64 v[18:19], v[6:7], off offset:-128
	global_load_b64 v[81:82], v[6:7], off offset:-64
	global_load_b64 v[83:84], v[6:7], off
	global_load_b64 v[85:86], v[6:7], off offset:64
	s_clause 0xd
	global_load_b128 v[10:13], v[4:5], off offset:48
	global_load_b128 v[14:17], v[4:5], off offset:32
	;; [unrolled: 1-line block ×3, first 2 shown]
	global_load_b128 v[37:40], v[4:5], off
	global_load_b128 v[41:44], v[4:5], off offset:560
	global_load_b128 v[45:48], v[4:5], off offset:544
	;; [unrolled: 1-line block ×10, first 2 shown]
	s_waitcnt vmcnt(17)
	v_sub_co_u32 v18, vcc_lo, v18, s12
	v_subrev_co_ci_u32_e32 v19, vcc_lo, s3, v19, vcc_lo
	s_waitcnt vmcnt(16)
	v_sub_co_u32 v81, vcc_lo, v81, s12
	v_subrev_co_ci_u32_e32 v82, vcc_lo, s3, v82, vcc_lo
	s_waitcnt vmcnt(15)
	v_sub_co_u32 v83, vcc_lo, v83, s12
	v_lshlrev_b64 v[18:19], 5, v[18:19]
	v_subrev_co_ci_u32_e32 v84, vcc_lo, s3, v84, vcc_lo
	s_waitcnt vmcnt(14)
	v_sub_co_u32 v85, vcc_lo, v85, s12
	v_lshlrev_b64 v[81:82], 5, v[81:82]
	v_subrev_co_ci_u32_e32 v86, vcc_lo, s3, v86, vcc_lo
	v_lshlrev_b64 v[83:84], 5, v[83:84]
	v_add_co_u32 v18, vcc_lo, s4, v18
	v_add_co_ci_u32_e32 v19, vcc_lo, s5, v19, vcc_lo
	s_delay_alu instid0(VALU_DEP_4)
	v_lshlrev_b64 v[85:86], 5, v[85:86]
	v_add_co_u32 v93, vcc_lo, s4, v81
	v_add_co_ci_u32_e32 v94, vcc_lo, s5, v82, vcc_lo
	v_add_co_u32 v101, vcc_lo, s4, v83
	v_add_co_ci_u32_e32 v102, vcc_lo, s5, v84, vcc_lo
	;; [unrolled: 2-line block ×3, first 2 shown]
	s_clause 0x6
	global_load_b128 v[81:84], v[18:19], off
	global_load_b128 v[85:88], v[18:19], off offset:16
	global_load_b128 v[89:92], v[93:94], off
	global_load_b128 v[93:96], v[93:94], off offset:16
	;; [unrolled: 2-line block ×4, first 2 shown]
	global_load_b128 v[113:116], v[113:114], off offset:16
	global_load_b128 v[117:120], v[4:5], off offset:1584
	v_add_co_u32 v4, vcc_lo, 0x800, v4
	v_add_co_ci_u32_e32 v5, vcc_lo, 0, v5, vcc_lo
	v_add_co_u32 v0, vcc_lo, v0, 32
	v_add_co_ci_u32_e32 v1, vcc_lo, 0, v1, vcc_lo
	;; [unrolled: 2-line block ×3, first 2 shown]
	s_delay_alu instid0(VALU_DEP_3)
	v_cmp_ge_i64_e32 vcc_lo, v[0:1], v[2:3]
	s_or_b32 s7, vcc_lo, s7
	s_waitcnt vmcnt(9)
	v_fmac_f32_e32 v30, 0, v81
	v_fmac_f32_e32 v25, 0, v81
	;; [unrolled: 1-line block ×7, first 2 shown]
	v_dual_fmac_f32 v28, 0, v81 :: v_dual_fmac_f32 v25, v37, v82
	v_dual_fmac_f32 v27, v37, v81 :: v_dual_fmac_f32 v32, v40, v82
	v_fmac_f32_e32 v29, 0x80000000, v82
	s_delay_alu instid0(VALU_DEP_3) | instskip(SKIP_1) | instid1(VALU_DEP_4)
	v_fmac_f32_e32 v28, v38, v82
	v_fmac_f32_e32 v26, 0x80000000, v82
	;; [unrolled: 1-line block ×3, first 2 shown]
	v_dual_fmac_f32 v31, 0x80000000, v82 :: v_dual_fmac_f32 v30, 0, v83
	v_fmac_f32_e32 v25, 0, v83
	v_fmac_f32_e32 v32, 0, v83
	;; [unrolled: 1-line block ×6, first 2 shown]
	v_dual_fmac_f32 v28, 0, v83 :: v_dual_fmac_f32 v25, v33, v84
	v_dual_fmac_f32 v27, v33, v83 :: v_dual_fmac_f32 v32, v36, v84
	v_fmac_f32_e32 v29, 0x80000000, v84
	s_delay_alu instid0(VALU_DEP_3) | instskip(SKIP_1) | instid1(VALU_DEP_4)
	v_fmac_f32_e32 v28, v34, v84
	v_fmac_f32_e32 v26, 0x80000000, v84
	;; [unrolled: 1-line block ×3, first 2 shown]
	s_waitcnt vmcnt(8)
	v_dual_fmac_f32 v31, 0x80000000, v84 :: v_dual_fmac_f32 v30, 0, v85
	v_fmac_f32_e32 v25, 0, v85
	v_fmac_f32_e32 v32, 0, v85
	;; [unrolled: 1-line block ×6, first 2 shown]
	v_dual_fmac_f32 v28, 0, v85 :: v_dual_fmac_f32 v25, v14, v86
	v_dual_fmac_f32 v27, v14, v85 :: v_dual_fmac_f32 v32, v17, v86
	v_fmac_f32_e32 v29, 0x80000000, v86
	s_delay_alu instid0(VALU_DEP_3) | instskip(SKIP_1) | instid1(VALU_DEP_4)
	v_fmac_f32_e32 v28, v15, v86
	v_fmac_f32_e32 v26, 0x80000000, v86
	;; [unrolled: 1-line block ×3, first 2 shown]
	v_dual_fmac_f32 v31, 0x80000000, v86 :: v_dual_fmac_f32 v30, 0, v87
	v_fmac_f32_e32 v25, 0, v87
	v_fmac_f32_e32 v32, 0, v87
	;; [unrolled: 1-line block ×6, first 2 shown]
	v_dual_fmac_f32 v28, 0, v87 :: v_dual_fmac_f32 v25, v10, v88
	v_dual_fmac_f32 v27, v10, v87 :: v_dual_fmac_f32 v32, v13, v88
	v_fmac_f32_e32 v29, 0x80000000, v88
	s_delay_alu instid0(VALU_DEP_3) | instskip(SKIP_1) | instid1(VALU_DEP_4)
	v_fmac_f32_e32 v28, v11, v88
	v_fmac_f32_e32 v26, 0x80000000, v88
	v_fmac_f32_e32 v27, 0x80000000, v88
	s_waitcnt vmcnt(7)
	v_dual_fmac_f32 v31, 0x80000000, v88 :: v_dual_fmac_f32 v30, 0, v89
	v_fmac_f32_e32 v25, 0, v89
	v_fmac_f32_e32 v28, 0, v89
	v_fmac_f32_e32 v27, v53, v89
	v_fmac_f32_e32 v26, v56, v89
	v_fmac_f32_e32 v29, v54, v89
	v_fmac_f32_e32 v32, 0, v89
	v_dual_fmac_f32 v31, v55, v89 :: v_dual_fmac_f32 v28, v54, v90
	v_fmac_f32_e32 v27, 0x80000000, v90
	v_fmac_f32_e32 v30, v55, v90
	s_delay_alu instid0(VALU_DEP_4)
	v_fmac_f32_e32 v32, v56, v90
	v_fmac_f32_e32 v25, v53, v90
	v_fmac_f32_e32 v31, 0x80000000, v90
	v_fmac_f32_e32 v26, 0x80000000, v90
	v_dual_fmac_f32 v29, 0x80000000, v90 :: v_dual_fmac_f32 v28, 0, v91
	v_fmac_f32_e32 v27, v49, v91
	v_fmac_f32_e32 v30, 0, v91
	v_fmac_f32_e32 v25, 0, v91
	v_fmac_f32_e32 v26, v52, v91
	v_fmac_f32_e32 v29, v50, v91
	v_fmac_f32_e32 v32, 0, v91
	v_dual_fmac_f32 v31, v51, v91 :: v_dual_fmac_f32 v28, v50, v92
	v_fmac_f32_e32 v27, 0x80000000, v92
	v_fmac_f32_e32 v30, v51, v92
	s_delay_alu instid0(VALU_DEP_4)
	v_fmac_f32_e32 v32, v52, v92
	v_fmac_f32_e32 v25, v49, v92
	v_fmac_f32_e32 v31, 0x80000000, v92
	v_fmac_f32_e32 v26, 0x80000000, v92
	s_waitcnt vmcnt(6)
	v_dual_fmac_f32 v29, 0x80000000, v92 :: v_dual_fmac_f32 v28, 0, v93
	v_fmac_f32_e32 v27, v45, v93
	v_fmac_f32_e32 v30, 0, v93
	v_fmac_f32_e32 v25, 0, v93
	v_fmac_f32_e32 v26, v48, v93
	v_fmac_f32_e32 v29, v46, v93
	v_fmac_f32_e32 v32, 0, v93
	v_dual_fmac_f32 v31, v47, v93 :: v_dual_fmac_f32 v28, v46, v94
	v_fmac_f32_e32 v27, 0x80000000, v94
	v_fmac_f32_e32 v30, v47, v94
	s_delay_alu instid0(VALU_DEP_4)
	v_fmac_f32_e32 v32, v48, v94
	v_fmac_f32_e32 v25, v45, v94
	v_fmac_f32_e32 v31, 0x80000000, v94
	v_fmac_f32_e32 v26, 0x80000000, v94
	v_dual_fmac_f32 v29, 0x80000000, v94 :: v_dual_fmac_f32 v28, 0, v95
	v_fmac_f32_e32 v27, v41, v95
	v_fmac_f32_e32 v30, 0, v95
	v_fmac_f32_e32 v25, 0, v95
	v_fmac_f32_e32 v26, v44, v95
	v_fmac_f32_e32 v29, v42, v95
	v_fmac_f32_e32 v32, 0, v95
	v_dual_fmac_f32 v31, v43, v95 :: v_dual_fmac_f32 v28, v42, v96
	v_fmac_f32_e32 v27, 0x80000000, v96
	v_fmac_f32_e32 v30, v43, v96
	s_delay_alu instid0(VALU_DEP_4)
	v_fmac_f32_e32 v32, v44, v96
	;; [unrolled: 31-line block ×5, first 2 shown]
	v_fmac_f32_e32 v25, v73, v108
	v_fmac_f32_e32 v31, 0x80000000, v108
	;; [unrolled: 1-line block ×3, first 2 shown]
	s_waitcnt vmcnt(1)
	v_dual_fmac_f32 v29, 0x80000000, v108 :: v_dual_fmac_f32 v28, 0, v113
	v_fmac_f32_e32 v27, v109, v113
	v_fmac_f32_e32 v30, 0, v113
	v_fmac_f32_e32 v25, 0, v113
	v_fmac_f32_e32 v26, v112, v113
	v_fmac_f32_e32 v29, v110, v113
	v_fmac_f32_e32 v32, 0, v113
	v_dual_fmac_f32 v31, v111, v113 :: v_dual_fmac_f32 v28, v110, v114
	v_fmac_f32_e32 v27, 0x80000000, v114
	v_fmac_f32_e32 v30, v111, v114
	s_delay_alu instid0(VALU_DEP_4)
	v_fmac_f32_e32 v32, v112, v114
	v_fmac_f32_e32 v25, v109, v114
	;; [unrolled: 1-line block ×4, first 2 shown]
	v_dual_fmac_f32 v29, 0x80000000, v114 :: v_dual_fmac_f32 v28, 0, v115
	s_waitcnt vmcnt(0)
	v_fmac_f32_e32 v27, v117, v115
	v_fmac_f32_e32 v30, 0, v115
	;; [unrolled: 1-line block ×6, first 2 shown]
	v_dual_fmac_f32 v31, v119, v115 :: v_dual_fmac_f32 v28, v118, v116
	v_fmac_f32_e32 v27, 0x80000000, v116
	v_fmac_f32_e32 v30, v119, v116
	s_delay_alu instid0(VALU_DEP_4)
	v_fmac_f32_e32 v32, v120, v116
	v_fmac_f32_e32 v25, v117, v116
	;; [unrolled: 1-line block ×5, first 2 shown]
	s_and_not1_b32 exec_lo, exec_lo, s7
	s_cbranch_execnz .LBB131_41
; %bb.42:
	s_or_b32 exec_lo, exec_lo, s7
.LBB131_43:
	s_delay_alu instid0(SALU_CYCLE_1)
	s_or_b32 exec_lo, exec_lo, s2
.LBB131_44:
	s_delay_alu instid0(SALU_CYCLE_1)
	s_or_b32 exec_lo, exec_lo, s6
.LBB131_45:
	v_mbcnt_lo_u32_b32 v0, -1, 0
	s_delay_alu instid0(VALU_DEP_1) | instskip(SKIP_2) | instid1(VALU_DEP_3)
	v_xor_b32_e32 v1, 4, v0
	v_xor_b32_e32 v11, 2, v0
	;; [unrolled: 1-line block ×3, first 2 shown]
	v_cmp_gt_i32_e32 vcc_lo, 32, v1
	v_cndmask_b32_e32 v1, v0, v1, vcc_lo
	s_delay_alu instid0(VALU_DEP_4) | instskip(NEXT) | instid1(VALU_DEP_2)
	v_cmp_gt_i32_e32 vcc_lo, 32, v11
	v_lshlrev_b32_e32 v1, 2, v1
	ds_bpermute_b32 v4, v1, v29
	s_waitcnt lgkmcnt(0)
	v_add_f32_e32 v4, v29, v4
	ds_bpermute_b32 v2, v1, v27
	ds_bpermute_b32 v6, v1, v31
	;; [unrolled: 1-line block ×7, first 2 shown]
	v_cndmask_b32_e32 v11, v0, v11, vcc_lo
	v_cmp_gt_i32_e32 vcc_lo, 32, v19
	s_waitcnt lgkmcnt(6)
	v_add_f32_e32 v2, v27, v2
	s_waitcnt lgkmcnt(5)
	v_dual_add_f32 v6, v31, v6 :: v_dual_lshlrev_b32 v11, 2, v11
	s_waitcnt lgkmcnt(1)
	v_dual_add_f32 v3, v25, v3 :: v_dual_add_f32 v10, v26, v10
	s_waitcnt lgkmcnt(0)
	v_add_f32_e32 v12, v32, v1
	ds_bpermute_b32 v1, v11, v2
	ds_bpermute_b32 v14, v11, v4
	;; [unrolled: 1-line block ×3, first 2 shown]
	v_add_f32_e32 v5, v28, v5
	v_add_f32_e32 v7, v30, v7
	ds_bpermute_b32 v13, v11, v3
	v_cndmask_b32_e32 v0, v0, v19, vcc_lo
	ds_bpermute_b32 v18, v11, v10
	v_cmp_eq_u32_e32 vcc_lo, 7, v24
	s_waitcnt lgkmcnt(4)
	v_dual_add_f32 v0, v2, v1 :: v_dual_lshlrev_b32 v19, 2, v0
	s_waitcnt lgkmcnt(3)
	v_add_f32_e32 v2, v4, v14
	ds_bpermute_b32 v17, v11, v7
	s_waitcnt lgkmcnt(3)
	v_add_f32_e32 v4, v6, v16
	ds_bpermute_b32 v15, v11, v5
	ds_bpermute_b32 v11, v11, v12
	s_waitcnt lgkmcnt(3)
	v_dual_add_f32 v1, v3, v13 :: v_dual_add_f32 v6, v10, v18
	ds_bpermute_b32 v10, v19, v0
	ds_bpermute_b32 v14, v19, v4
	;; [unrolled: 1-line block ×3, first 2 shown]
	s_waitcnt lgkmcnt(4)
	v_add_f32_e32 v3, v5, v15
	v_add_f32_e32 v5, v7, v17
	s_waitcnt lgkmcnt(3)
	v_add_f32_e32 v7, v12, v11
	ds_bpermute_b32 v11, v19, v1
	ds_bpermute_b32 v12, v19, v2
	;; [unrolled: 1-line block ×5, first 2 shown]
	s_and_b32 exec_lo, exec_lo, vcc_lo
	s_cbranch_execz .LBB131_13
; %bb.46:
	s_load_b64 s[2:3], s[0:1], 0x58
	s_waitcnt lgkmcnt(0)
	v_add_f32_e32 v10, v0, v10
	v_dual_add_f32 v0, v1, v11 :: v_dual_add_f32 v1, v3, v13
	v_dual_add_f32 v11, v2, v12 :: v_dual_add_f32 v2, v5, v15
	;; [unrolled: 1-line block ×3, first 2 shown]
	v_add_f32_e32 v13, v6, v16
	s_delay_alu instid0(VALU_DEP_4)
	v_mul_f32_e64 v4, v0, -v23
	v_mul_f32_e64 v6, v1, -v23
	v_mul_f32_e32 v5, v0, v22
	v_mul_f32_e64 v0, v2, -v23
	v_mul_f32_e32 v7, v1, v22
	v_mul_f32_e32 v1, v2, v22
	v_mul_f32_e64 v2, v3, -v23
	v_mul_f32_e32 v3, v3, v22
	v_cmp_eq_f32_e32 vcc_lo, 0, v20
	v_cmp_eq_f32_e64 s0, 0, v21
	v_lshlrev_b64 v[8:9], 5, v[8:9]
	v_fmac_f32_e32 v2, v22, v13
	v_dual_fmac_f32 v6, v22, v11 :: v_dual_fmac_f32 v5, v23, v10
	v_fmac_f32_e32 v0, v22, v12
	v_dual_fmac_f32 v4, v22, v10 :: v_dual_fmac_f32 v7, v23, v11
	v_fmac_f32_e32 v1, v23, v12
	v_fmac_f32_e32 v3, v23, v13
	s_and_b32 s0, vcc_lo, s0
	s_delay_alu instid0(SALU_CYCLE_1) | instskip(NEXT) | instid1(SALU_CYCLE_1)
	s_and_saveexec_b32 s1, s0
	s_xor_b32 s0, exec_lo, s1
; %bb.47:
	v_add_co_u32 v8, vcc_lo, s2, v8
	v_add_co_ci_u32_e32 v9, vcc_lo, s3, v9, vcc_lo
                                        ; implicit-def: $vgpr20
                                        ; implicit-def: $vgpr21
	s_clause 0x1
	global_store_b128 v[8:9], v[4:7], off
	global_store_b128 v[8:9], v[0:3], off offset:16
                                        ; implicit-def: $vgpr4
                                        ; implicit-def: $vgpr8_vgpr9
                                        ; implicit-def: $vgpr0
; %bb.48:
	s_and_not1_saveexec_b32 s0, s0
	s_cbranch_execz .LBB131_13
; %bb.49:
	v_add_co_u32 v16, vcc_lo, s2, v8
	v_add_co_ci_u32_e32 v17, vcc_lo, s3, v9, vcc_lo
	s_clause 0x1
	global_load_b128 v[8:11], v[16:17], off
	global_load_b128 v[12:15], v[16:17], off offset:16
	s_waitcnt vmcnt(1)
	v_dual_fmac_f32 v4, v20, v8 :: v_dual_fmac_f32 v7, v21, v10
	v_dual_fmac_f32 v5, v21, v8 :: v_dual_fmac_f32 v6, v20, v10
	s_waitcnt vmcnt(0)
	v_dual_fmac_f32 v0, v20, v12 :: v_dual_fmac_f32 v3, v21, v14
	v_dual_fmac_f32 v1, v21, v12 :: v_dual_fmac_f32 v2, v20, v14
	v_fma_f32 v4, -v21, v9, v4
	v_fmac_f32_e32 v5, v20, v9
	v_fma_f32 v6, -v21, v11, v6
	v_fmac_f32_e32 v7, v20, v11
	;; [unrolled: 2-line block ×4, first 2 shown]
	s_clause 0x1
	global_store_b128 v[16:17], v[4:7], off
	global_store_b128 v[16:17], v[0:3], off offset:16
	s_nop 0
	s_sendmsg sendmsg(MSG_DEALLOC_VGPRS)
	s_endpgm
	.section	.rodata,"a",@progbits
	.p2align	6, 0x0
	.amdhsa_kernel _ZN9rocsparseL18bsrxmvn_4x4_kernelILj128ELj8E21rocsparse_complex_numIfEllfS2_S2_EEvT3_20rocsparse_direction_NS_24const_host_device_scalarIT1_EES3_PKS3_PKT2_SC_S9_PKT4_PKT5_S7_PT6_21rocsparse_index_base_b
		.amdhsa_group_segment_fixed_size 0
		.amdhsa_private_segment_fixed_size 0
		.amdhsa_kernarg_size 104
		.amdhsa_user_sgpr_count 15
		.amdhsa_user_sgpr_dispatch_ptr 0
		.amdhsa_user_sgpr_queue_ptr 0
		.amdhsa_user_sgpr_kernarg_segment_ptr 1
		.amdhsa_user_sgpr_dispatch_id 0
		.amdhsa_user_sgpr_private_segment_size 0
		.amdhsa_wavefront_size32 1
		.amdhsa_uses_dynamic_stack 0
		.amdhsa_enable_private_segment 0
		.amdhsa_system_sgpr_workgroup_id_x 1
		.amdhsa_system_sgpr_workgroup_id_y 0
		.amdhsa_system_sgpr_workgroup_id_z 0
		.amdhsa_system_sgpr_workgroup_info 0
		.amdhsa_system_vgpr_workitem_id 0
		.amdhsa_next_free_vgpr 125
		.amdhsa_next_free_sgpr 16
		.amdhsa_reserve_vcc 1
		.amdhsa_float_round_mode_32 0
		.amdhsa_float_round_mode_16_64 0
		.amdhsa_float_denorm_mode_32 3
		.amdhsa_float_denorm_mode_16_64 3
		.amdhsa_dx10_clamp 1
		.amdhsa_ieee_mode 1
		.amdhsa_fp16_overflow 0
		.amdhsa_workgroup_processor_mode 1
		.amdhsa_memory_ordered 1
		.amdhsa_forward_progress 0
		.amdhsa_shared_vgpr_count 0
		.amdhsa_exception_fp_ieee_invalid_op 0
		.amdhsa_exception_fp_denorm_src 0
		.amdhsa_exception_fp_ieee_div_zero 0
		.amdhsa_exception_fp_ieee_overflow 0
		.amdhsa_exception_fp_ieee_underflow 0
		.amdhsa_exception_fp_ieee_inexact 0
		.amdhsa_exception_int_div_zero 0
	.end_amdhsa_kernel
	.section	.text._ZN9rocsparseL18bsrxmvn_4x4_kernelILj128ELj8E21rocsparse_complex_numIfEllfS2_S2_EEvT3_20rocsparse_direction_NS_24const_host_device_scalarIT1_EES3_PKS3_PKT2_SC_S9_PKT4_PKT5_S7_PT6_21rocsparse_index_base_b,"axG",@progbits,_ZN9rocsparseL18bsrxmvn_4x4_kernelILj128ELj8E21rocsparse_complex_numIfEllfS2_S2_EEvT3_20rocsparse_direction_NS_24const_host_device_scalarIT1_EES3_PKS3_PKT2_SC_S9_PKT4_PKT5_S7_PT6_21rocsparse_index_base_b,comdat
.Lfunc_end131:
	.size	_ZN9rocsparseL18bsrxmvn_4x4_kernelILj128ELj8E21rocsparse_complex_numIfEllfS2_S2_EEvT3_20rocsparse_direction_NS_24const_host_device_scalarIT1_EES3_PKS3_PKT2_SC_S9_PKT4_PKT5_S7_PT6_21rocsparse_index_base_b, .Lfunc_end131-_ZN9rocsparseL18bsrxmvn_4x4_kernelILj128ELj8E21rocsparse_complex_numIfEllfS2_S2_EEvT3_20rocsparse_direction_NS_24const_host_device_scalarIT1_EES3_PKS3_PKT2_SC_S9_PKT4_PKT5_S7_PT6_21rocsparse_index_base_b
                                        ; -- End function
	.section	.AMDGPU.csdata,"",@progbits
; Kernel info:
; codeLenInByte = 7112
; NumSgprs: 18
; NumVgprs: 125
; ScratchSize: 0
; MemoryBound: 0
; FloatMode: 240
; IeeeMode: 1
; LDSByteSize: 0 bytes/workgroup (compile time only)
; SGPRBlocks: 2
; VGPRBlocks: 15
; NumSGPRsForWavesPerEU: 18
; NumVGPRsForWavesPerEU: 125
; Occupancy: 10
; WaveLimiterHint : 1
; COMPUTE_PGM_RSRC2:SCRATCH_EN: 0
; COMPUTE_PGM_RSRC2:USER_SGPR: 15
; COMPUTE_PGM_RSRC2:TRAP_HANDLER: 0
; COMPUTE_PGM_RSRC2:TGID_X_EN: 1
; COMPUTE_PGM_RSRC2:TGID_Y_EN: 0
; COMPUTE_PGM_RSRC2:TGID_Z_EN: 0
; COMPUTE_PGM_RSRC2:TIDIG_COMP_CNT: 0
	.section	.text._ZN9rocsparseL18bsrxmvn_4x4_kernelILj128ELj16E21rocsparse_complex_numIfEllfS2_S2_EEvT3_20rocsparse_direction_NS_24const_host_device_scalarIT1_EES3_PKS3_PKT2_SC_S9_PKT4_PKT5_S7_PT6_21rocsparse_index_base_b,"axG",@progbits,_ZN9rocsparseL18bsrxmvn_4x4_kernelILj128ELj16E21rocsparse_complex_numIfEllfS2_S2_EEvT3_20rocsparse_direction_NS_24const_host_device_scalarIT1_EES3_PKS3_PKT2_SC_S9_PKT4_PKT5_S7_PT6_21rocsparse_index_base_b,comdat
	.globl	_ZN9rocsparseL18bsrxmvn_4x4_kernelILj128ELj16E21rocsparse_complex_numIfEllfS2_S2_EEvT3_20rocsparse_direction_NS_24const_host_device_scalarIT1_EES3_PKS3_PKT2_SC_S9_PKT4_PKT5_S7_PT6_21rocsparse_index_base_b ; -- Begin function _ZN9rocsparseL18bsrxmvn_4x4_kernelILj128ELj16E21rocsparse_complex_numIfEllfS2_S2_EEvT3_20rocsparse_direction_NS_24const_host_device_scalarIT1_EES3_PKS3_PKT2_SC_S9_PKT4_PKT5_S7_PT6_21rocsparse_index_base_b
	.p2align	8
	.type	_ZN9rocsparseL18bsrxmvn_4x4_kernelILj128ELj16E21rocsparse_complex_numIfEllfS2_S2_EEvT3_20rocsparse_direction_NS_24const_host_device_scalarIT1_EES3_PKS3_PKT2_SC_S9_PKT4_PKT5_S7_PT6_21rocsparse_index_base_b,@function
_ZN9rocsparseL18bsrxmvn_4x4_kernelILj128ELj16E21rocsparse_complex_numIfEllfS2_S2_EEvT3_20rocsparse_direction_NS_24const_host_device_scalarIT1_EES3_PKS3_PKT2_SC_S9_PKT4_PKT5_S7_PT6_21rocsparse_index_base_b: ; @_ZN9rocsparseL18bsrxmvn_4x4_kernelILj128ELj16E21rocsparse_complex_numIfEllfS2_S2_EEvT3_20rocsparse_direction_NS_24const_host_device_scalarIT1_EES3_PKS3_PKT2_SC_S9_PKT4_PKT5_S7_PT6_21rocsparse_index_base_b
; %bb.0:
	s_clause 0x2
	s_load_b64 s[12:13], s[0:1], 0x60
	s_load_b128 s[4:7], s[0:1], 0x10
	s_load_b64 s[2:3], s[0:1], 0x50
	s_waitcnt lgkmcnt(0)
	s_bitcmp1_b32 s13, 0
	v_mov_b32_e32 v22, s4
	s_cselect_b32 s8, -1, 0
	s_delay_alu instid0(SALU_CYCLE_1)
	s_and_b32 vcc_lo, exec_lo, s8
	s_xor_b32 s8, s8, -1
	s_cbranch_vccz .LBB132_14
; %bb.1:
	v_cndmask_b32_e64 v1, 0, 1, s8
	v_mov_b32_e32 v23, s5
	s_and_not1_b32 vcc_lo, exec_lo, s8
	s_cbranch_vccz .LBB132_15
.LBB132_2:
	s_delay_alu instid0(VALU_DEP_2)
	v_cmp_ne_u32_e32 vcc_lo, 1, v1
	v_mov_b32_e32 v20, s2
	s_cbranch_vccz .LBB132_16
.LBB132_3:
	v_cmp_ne_u32_e32 vcc_lo, 1, v1
	v_mov_b32_e32 v21, s3
	s_cbranch_vccnz .LBB132_5
.LBB132_4:
	v_dual_mov_b32 v1, s2 :: v_dual_mov_b32 v2, s3
	flat_load_b32 v21, v[1:2] offset:4
.LBB132_5:
	s_waitcnt vmcnt(0) lgkmcnt(0)
	v_cmp_eq_f32_e32 vcc_lo, 0, v22
	v_cmp_eq_f32_e64 s2, 0, v23
	s_delay_alu instid0(VALU_DEP_1)
	s_and_b32 s4, vcc_lo, s2
	s_mov_b32 s2, -1
	s_and_saveexec_b32 s3, s4
; %bb.6:
	v_cmp_neq_f32_e32 vcc_lo, 1.0, v20
	v_cmp_neq_f32_e64 s2, 0, v21
	s_delay_alu instid0(VALU_DEP_1) | instskip(NEXT) | instid1(SALU_CYCLE_1)
	s_or_b32 s2, vcc_lo, s2
	s_or_not1_b32 s2, s2, exec_lo
; %bb.7:
	s_or_b32 exec_lo, exec_lo, s3
	s_and_saveexec_b32 s3, s2
	s_cbranch_execz .LBB132_13
; %bb.8:
	s_load_b64 s[4:5], s[0:1], 0x20
	v_lshrrev_b32_e32 v1, 4, v0
	v_mov_b32_e32 v2, 0
	s_mov_b32 s8, 0
	s_delay_alu instid0(VALU_DEP_2)
	v_lshl_or_b32 v1, s15, 3, v1
	s_waitcnt lgkmcnt(0)
	s_cmp_lg_u64 s[4:5], 0
	s_cbranch_scc0 .LBB132_17
; %bb.9:
	s_delay_alu instid0(VALU_DEP_1) | instskip(SKIP_2) | instid1(SALU_CYCLE_1)
	v_cmp_gt_i64_e32 vcc_lo, s[6:7], v[1:2]
	s_mov_b32 s6, 0
                                        ; implicit-def: $vgpr8_vgpr9
	s_and_saveexec_b32 s2, vcc_lo
	s_xor_b32 s7, exec_lo, s2
                                        ; implicit-def: $sgpr2_sgpr3
	s_cbranch_execz .LBB132_11
; %bb.10:
	v_lshlrev_b64 v[3:4], 3, v[1:2]
	s_mov_b32 s8, exec_lo
	s_mov_b32 s3, 0
	s_delay_alu instid0(VALU_DEP_1) | instskip(NEXT) | instid1(VALU_DEP_2)
	v_add_co_u32 v3, vcc_lo, s4, v3
	v_add_co_ci_u32_e32 v4, vcc_lo, s5, v4, vcc_lo
	global_load_b64 v[3:4], v[3:4], off
	s_waitcnt vmcnt(0)
	v_sub_co_u32 v8, vcc_lo, v3, s12
	v_subrev_co_ci_u32_e32 v9, vcc_lo, 0, v4, vcc_lo
.LBB132_11:
	s_or_b32 exec_lo, exec_lo, s7
	s_delay_alu instid0(SALU_CYCLE_1)
	s_and_b32 vcc_lo, exec_lo, s6
	s_cbranch_vccnz .LBB132_18
.LBB132_12:
	s_and_b32 exec_lo, exec_lo, s8
	s_cbranch_execnz .LBB132_21
.LBB132_13:
	s_nop 0
	s_sendmsg sendmsg(MSG_DEALLOC_VGPRS)
	s_endpgm
.LBB132_14:
	v_dual_mov_b32 v1, s4 :: v_dual_mov_b32 v2, s5
	flat_load_b32 v22, v[1:2]
	v_cndmask_b32_e64 v1, 0, 1, s8
	v_mov_b32_e32 v23, s5
	s_and_not1_b32 vcc_lo, exec_lo, s8
	s_cbranch_vccnz .LBB132_2
.LBB132_15:
	v_dual_mov_b32 v2, s4 :: v_dual_mov_b32 v3, s5
	flat_load_b32 v23, v[2:3] offset:4
	v_cmp_ne_u32_e32 vcc_lo, 1, v1
	v_mov_b32_e32 v20, s2
	s_cbranch_vccnz .LBB132_3
.LBB132_16:
	v_dual_mov_b32 v2, s2 :: v_dual_mov_b32 v3, s3
	flat_load_b32 v20, v[2:3]
	v_cmp_ne_u32_e32 vcc_lo, 1, v1
	v_mov_b32_e32 v21, s3
	s_cbranch_vccz .LBB132_4
	s_branch .LBB132_5
.LBB132_17:
                                        ; implicit-def: $vgpr8_vgpr9
                                        ; implicit-def: $sgpr2_sgpr3
	s_cbranch_execz .LBB132_12
.LBB132_18:
	s_load_b64 s[2:3], s[0:1], 0x0
	s_mov_b32 s4, exec_lo
                                        ; implicit-def: $vgpr8_vgpr9
	s_waitcnt lgkmcnt(0)
	v_cmpx_gt_i64_e64 s[2:3], v[1:2]
                                        ; implicit-def: $sgpr2_sgpr3
; %bb.19:
	v_dual_mov_b32 v9, v2 :: v_dual_mov_b32 v8, v1
	s_mov_b32 s3, 0
	s_or_b32 s8, s8, exec_lo
; %bb.20:
	s_or_b32 exec_lo, exec_lo, s4
	s_delay_alu instid0(SALU_CYCLE_1)
	s_and_b32 exec_lo, exec_lo, s8
	s_cbranch_execz .LBB132_13
.LBB132_21:
	s_load_b256 s[4:11], s[0:1], 0x28
	v_lshlrev_b64 v[1:2], 3, v[8:9]
	v_dual_mov_b32 v25, 0 :: v_dual_and_b32 v24, 15, v0
	s_waitcnt lgkmcnt(0)
	s_delay_alu instid0(VALU_DEP_2) | instskip(NEXT) | instid1(VALU_DEP_3)
	v_add_co_u32 v3, vcc_lo, s4, v1
	v_add_co_ci_u32_e32 v4, vcc_lo, s5, v2, vcc_lo
	v_add_co_u32 v1, vcc_lo, s6, v1
	v_add_co_ci_u32_e32 v2, vcc_lo, s7, v2, vcc_lo
	s_delay_alu instid0(VALU_DEP_4)
	v_add_co_u32 v5, vcc_lo, v3, 8
	global_load_b64 v[6:7], v[3:4], off
	v_add_co_ci_u32_e32 v10, vcc_lo, 0, v4, vcc_lo
	s_cmp_eq_u64 s[6:7], 0
	s_clause 0x1
	s_load_b32 s6, s[0:1], 0x8
	s_load_b64 s[4:5], s[0:1], 0x48
	s_cselect_b32 vcc_lo, -1, 0
	v_dual_cndmask_b32 v2, v2, v10 :: v_dual_cndmask_b32 v1, v1, v5
	global_load_b64 v[2:3], v[1:2], off
	s_waitcnt lgkmcnt(0)
	s_cmp_eq_u32 s6, 1
	s_waitcnt vmcnt(1)
	v_sub_co_u32 v0, vcc_lo, v6, s12
	v_subrev_co_ci_u32_e32 v1, vcc_lo, s3, v7, vcc_lo
	s_delay_alu instid0(VALU_DEP_2) | instskip(NEXT) | instid1(VALU_DEP_2)
	v_add_co_u32 v0, vcc_lo, v0, v24
	v_add_co_ci_u32_e32 v1, vcc_lo, 0, v1, vcc_lo
	s_delay_alu instid0(VALU_DEP_1) | instskip(SKIP_3) | instid1(VALU_DEP_3)
	v_lshlrev_b64 v[4:5], 6, v[0:1]
	s_waitcnt vmcnt(0)
	v_sub_co_u32 v2, vcc_lo, v2, s12
	v_subrev_co_ci_u32_e32 v3, vcc_lo, s3, v3, vcc_lo
	v_add_co_u32 v4, vcc_lo, s10, v4
	s_delay_alu instid0(VALU_DEP_4) | instskip(NEXT) | instid1(VALU_DEP_3)
	v_add_co_ci_u32_e32 v5, vcc_lo, s11, v5, vcc_lo
	v_cmp_lt_i64_e64 s2, v[0:1], v[2:3]
	s_cbranch_scc1 .LBB132_33
; %bb.22:
	v_dual_mov_b32 v27, 0 :: v_dual_mov_b32 v28, 0
	v_dual_mov_b32 v29, 0 :: v_dual_mov_b32 v30, 0
	;; [unrolled: 1-line block ×3, first 2 shown]
	v_mov_b32_e32 v26, 0
	s_mov_b32 s6, 0
	s_and_saveexec_b32 s7, s2
	s_cbranch_execz .LBB132_32
; %bb.23:
	v_or_b32_e32 v10, 16, v24
	v_not_b32_e32 v13, v6
	v_not_b32_e32 v12, v7
	v_mov_b32_e32 v28, 0
	v_dual_mov_b32 v26, 0 :: v_dual_mov_b32 v31, 0
	v_sub_co_u32 v10, s10, v10, s12
	s_delay_alu instid0(VALU_DEP_1) | instskip(SKIP_1) | instid1(VALU_DEP_3)
	v_sub_co_ci_u32_e64 v11, null, 0, s3, s10
	v_sub_co_u32 v14, s10, s12, v24
	v_add_co_u32 v10, vcc_lo, v10, v6
	s_delay_alu instid0(VALU_DEP_3) | instskip(SKIP_2) | instid1(VALU_DEP_3)
	v_add_co_ci_u32_e32 v11, vcc_lo, v11, v7, vcc_lo
	v_sub_co_ci_u32_e64 v15, null, s3, 0, s10
	v_dual_mov_b32 v32, 0 :: v_dual_mov_b32 v27, 0
	v_cmp_gt_i64_e32 vcc_lo, v[10:11], v[2:3]
	v_dual_mov_b32 v30, 0 :: v_dual_mov_b32 v25, 0
	s_mov_b32 s11, 0
	s_mov_b32 s10, exec_lo
	v_mov_b32_e32 v29, 0
	v_dual_cndmask_b32 v11, v3, v11 :: v_dual_cndmask_b32 v10, v2, v10
	v_add_co_u32 v13, vcc_lo, v14, v13
	v_add_co_ci_u32_e32 v12, vcc_lo, v15, v12, vcc_lo
	s_delay_alu instid0(VALU_DEP_2) | instskip(NEXT) | instid1(VALU_DEP_2)
	v_add_co_u32 v14, vcc_lo, v13, v10
	v_add_co_ci_u32_e32 v15, vcc_lo, v12, v11, vcc_lo
	v_mov_b32_e32 v13, v1
	s_delay_alu instid0(VALU_DEP_3) | instskip(SKIP_1) | instid1(VALU_DEP_2)
	v_lshrrev_b32_e32 v10, 4, v14
	v_mov_b32_e32 v12, v0
	v_add_nc_u32_e32 v10, 1, v10
	s_delay_alu instid0(VALU_DEP_1) | instskip(SKIP_1) | instid1(VALU_DEP_2)
	v_dual_mov_b32 v11, v5 :: v_dual_and_b32 v16, 3, v10
	v_mov_b32_e32 v10, v4
	v_cmpx_ne_u32_e32 0, v16
	s_cbranch_execz .LBB132_27
; %bb.24:
	v_lshlrev_b64 v[10:11], 3, v[0:1]
	v_dual_mov_b32 v17, 0 :: v_dual_lshlrev_b32 v16, 3, v16
	v_dual_mov_b32 v13, v1 :: v_dual_mov_b32 v12, v0
	s_delay_alu instid0(VALU_DEP_2) | instskip(NEXT) | instid1(VALU_DEP_4)
	v_mov_b32_e32 v25, v17
	v_add_co_u32 v18, vcc_lo, s8, v10
	v_add_co_ci_u32_e32 v19, vcc_lo, s9, v11, vcc_lo
	v_dual_mov_b32 v11, v5 :: v_dual_mov_b32 v10, v4
	v_mov_b32_e32 v27, v17
	v_mov_b32_e32 v28, v17
	v_mov_b32_e32 v29, v17
	v_mov_b32_e32 v30, v17
	v_mov_b32_e32 v31, v17
	v_mov_b32_e32 v32, v17
	v_mov_b32_e32 v26, v17
.LBB132_25:                             ; =>This Inner Loop Header: Depth=1
	global_load_b64 v[49:50], v[18:19], off
	s_clause 0x3
	global_load_b128 v[33:36], v[10:11], off offset:48
	global_load_b128 v[37:40], v[10:11], off offset:32
	;; [unrolled: 1-line block ×3, first 2 shown]
	global_load_b128 v[45:48], v[10:11], off
	s_waitcnt vmcnt(4)
	v_sub_co_u32 v49, vcc_lo, v49, s12
	v_subrev_co_ci_u32_e32 v50, vcc_lo, s3, v50, vcc_lo
	s_delay_alu instid0(VALU_DEP_1) | instskip(NEXT) | instid1(VALU_DEP_1)
	v_lshlrev_b64 v[49:50], 5, v[49:50]
	v_add_co_u32 v53, vcc_lo, s4, v49
	s_delay_alu instid0(VALU_DEP_2)
	v_add_co_ci_u32_e32 v54, vcc_lo, s5, v50, vcc_lo
	v_add_co_u32 v10, vcc_lo, 0x400, v10
	v_add_co_ci_u32_e32 v11, vcc_lo, 0, v11, vcc_lo
	s_clause 0x1
	global_load_b128 v[49:52], v[53:54], off
	global_load_b128 v[53:56], v[53:54], off offset:16
	v_add_co_u32 v12, vcc_lo, v12, 16
	v_add_co_ci_u32_e32 v13, vcc_lo, 0, v13, vcc_lo
	v_add_co_u32 v16, vcc_lo, v16, -8
	v_add_co_ci_u32_e32 v17, vcc_lo, -1, v17, vcc_lo
	v_add_co_u32 v18, vcc_lo, 0x80, v18
	v_add_co_ci_u32_e32 v19, vcc_lo, 0, v19, vcc_lo
	s_delay_alu instid0(VALU_DEP_3) | instskip(SKIP_3) | instid1(VALU_DEP_1)
	v_cmp_eq_u64_e32 vcc_lo, 0, v[16:17]
	s_or_b32 s11, vcc_lo, s11
	s_waitcnt vmcnt(1)
	v_fmac_f32_e32 v26, v33, v49
	v_dual_fmac_f32 v27, v45, v49 :: v_dual_fmac_f32 v26, 0x80000000, v50
	s_delay_alu instid0(VALU_DEP_1) | instskip(NEXT) | instid1(VALU_DEP_1)
	v_dual_fmac_f32 v28, 0, v49 :: v_dual_fmac_f32 v27, 0x80000000, v50
	v_dual_fmac_f32 v25, 0, v49 :: v_dual_fmac_f32 v28, v41, v50
	s_delay_alu instid0(VALU_DEP_1) | instskip(SKIP_1) | instid1(VALU_DEP_4)
	v_dual_fmac_f32 v30, 0, v49 :: v_dual_fmac_f32 v25, v45, v50
	v_fmac_f32_e32 v29, v41, v49
	v_fmac_f32_e32 v27, v46, v51
	s_delay_alu instid0(VALU_DEP_4) | instskip(NEXT) | instid1(VALU_DEP_4)
	v_fmac_f32_e32 v28, 0, v51
	v_fmac_f32_e32 v30, v37, v50
	v_fmac_f32_e32 v31, v37, v49
	v_dual_fmac_f32 v29, 0x80000000, v50 :: v_dual_fmac_f32 v26, v34, v51
	s_delay_alu instid0(VALU_DEP_3) | instskip(NEXT) | instid1(VALU_DEP_3)
	v_dual_fmac_f32 v27, 0x80000000, v52 :: v_dual_fmac_f32 v30, 0, v51
	v_dual_fmac_f32 v32, 0, v49 :: v_dual_fmac_f32 v31, 0x80000000, v50
	v_fmac_f32_e32 v25, 0, v51
	s_delay_alu instid0(VALU_DEP_4) | instskip(NEXT) | instid1(VALU_DEP_3)
	v_dual_fmac_f32 v29, v42, v51 :: v_dual_fmac_f32 v26, 0x80000000, v52
	v_fmac_f32_e32 v32, v33, v50
	s_waitcnt vmcnt(0)
	v_dual_fmac_f32 v28, v42, v52 :: v_dual_fmac_f32 v27, v47, v53
	v_fmac_f32_e32 v25, v46, v52
	v_fmac_f32_e32 v30, v38, v52
	;; [unrolled: 1-line block ×3, first 2 shown]
	s_delay_alu instid0(VALU_DEP_4) | instskip(NEXT) | instid1(VALU_DEP_4)
	v_dual_fmac_f32 v31, v38, v51 :: v_dual_fmac_f32 v28, 0, v53
	v_fmac_f32_e32 v25, 0, v53
	s_delay_alu instid0(VALU_DEP_4) | instskip(NEXT) | instid1(VALU_DEP_4)
	v_dual_fmac_f32 v29, 0x80000000, v52 :: v_dual_fmac_f32 v30, 0, v53
	v_fmac_f32_e32 v32, v34, v52
	s_delay_alu instid0(VALU_DEP_4) | instskip(NEXT) | instid1(VALU_DEP_3)
	v_dual_fmac_f32 v31, 0x80000000, v52 :: v_dual_fmac_f32 v26, v35, v53
	v_fmac_f32_e32 v29, v43, v53
	s_delay_alu instid0(VALU_DEP_3) | instskip(SKIP_1) | instid1(VALU_DEP_4)
	v_dual_fmac_f32 v27, 0x80000000, v54 :: v_dual_fmac_f32 v32, 0, v53
	v_fmac_f32_e32 v28, v43, v54
	v_dual_fmac_f32 v31, v39, v53 :: v_dual_fmac_f32 v26, 0x80000000, v54
	s_delay_alu instid0(VALU_DEP_3) | instskip(NEXT) | instid1(VALU_DEP_3)
	v_fmac_f32_e32 v27, v48, v55
	v_dual_fmac_f32 v25, v47, v54 :: v_dual_fmac_f32 v28, 0, v55
	v_fmac_f32_e32 v30, v39, v54
	s_delay_alu instid0(VALU_DEP_4) | instskip(NEXT) | instid1(VALU_DEP_3)
	v_dual_fmac_f32 v31, 0x80000000, v54 :: v_dual_fmac_f32 v26, v36, v55
	v_fmac_f32_e32 v25, 0, v55
	s_delay_alu instid0(VALU_DEP_3) | instskip(NEXT) | instid1(VALU_DEP_3)
	v_dual_fmac_f32 v29, 0x80000000, v54 :: v_dual_fmac_f32 v30, 0, v55
	v_dual_fmac_f32 v32, v35, v54 :: v_dual_fmac_f32 v31, v40, v55
	s_delay_alu instid0(VALU_DEP_2) | instskip(NEXT) | instid1(VALU_DEP_2)
	v_dual_fmac_f32 v26, 0x80000000, v56 :: v_dual_fmac_f32 v29, v44, v55
	v_dual_fmac_f32 v27, 0x80000000, v56 :: v_dual_fmac_f32 v32, 0, v55
	v_fmac_f32_e32 v25, v48, v56
	v_fmac_f32_e32 v28, v44, v56
	s_delay_alu instid0(VALU_DEP_4)
	v_fmac_f32_e32 v29, 0x80000000, v56
	v_fmac_f32_e32 v31, 0x80000000, v56
	;; [unrolled: 1-line block ×4, first 2 shown]
	s_and_not1_b32 exec_lo, exec_lo, s11
	s_cbranch_execnz .LBB132_25
; %bb.26:
	s_or_b32 exec_lo, exec_lo, s11
.LBB132_27:
	s_delay_alu instid0(SALU_CYCLE_1) | instskip(NEXT) | instid1(SALU_CYCLE_1)
	s_or_b32 exec_lo, exec_lo, s10
	s_mov_b32 s10, exec_lo
	v_cmpx_lt_u64_e32 47, v[14:15]
	s_cbranch_execz .LBB132_31
; %bb.28:
	v_lshlrev_b64 v[14:15], 3, v[12:13]
	s_mov_b32 s11, 0
	s_delay_alu instid0(VALU_DEP_1) | instskip(NEXT) | instid1(VALU_DEP_2)
	v_add_co_u32 v14, vcc_lo, v14, s8
	v_add_co_ci_u32_e32 v15, vcc_lo, s9, v15, vcc_lo
	s_delay_alu instid0(VALU_DEP_2) | instskip(NEXT) | instid1(VALU_DEP_2)
	v_add_co_u32 v14, vcc_lo, 0x100, v14
	v_add_co_ci_u32_e32 v15, vcc_lo, 0, v15, vcc_lo
.LBB132_29:                             ; =>This Inner Loop Header: Depth=1
	s_clause 0x3
	global_load_b64 v[93:94], v[14:15], off offset:-256
	global_load_b64 v[95:96], v[14:15], off offset:-128
	global_load_b64 v[97:98], v[14:15], off
	global_load_b64 v[99:100], v[14:15], off offset:128
	s_clause 0xf
	global_load_b128 v[16:19], v[10:11], off offset:48
	global_load_b128 v[33:36], v[10:11], off offset:32
	;; [unrolled: 1-line block ×3, first 2 shown]
	global_load_b128 v[41:44], v[10:11], off
	global_load_b128 v[45:48], v[10:11], off offset:1072
	global_load_b128 v[49:52], v[10:11], off offset:1056
	;; [unrolled: 1-line block ×12, first 2 shown]
	s_waitcnt vmcnt(19)
	v_sub_co_u32 v93, vcc_lo, v93, s12
	v_subrev_co_ci_u32_e32 v94, vcc_lo, s3, v94, vcc_lo
	s_waitcnt vmcnt(18)
	v_sub_co_u32 v95, vcc_lo, v95, s12
	v_subrev_co_ci_u32_e32 v96, vcc_lo, s3, v96, vcc_lo
	s_waitcnt vmcnt(17)
	v_sub_co_u32 v97, vcc_lo, v97, s12
	v_lshlrev_b64 v[93:94], 5, v[93:94]
	v_subrev_co_ci_u32_e32 v98, vcc_lo, s3, v98, vcc_lo
	s_waitcnt vmcnt(16)
	v_sub_co_u32 v99, vcc_lo, v99, s12
	v_lshlrev_b64 v[95:96], 5, v[95:96]
	v_subrev_co_ci_u32_e32 v100, vcc_lo, s3, v100, vcc_lo
	v_lshlrev_b64 v[97:98], 5, v[97:98]
	v_add_co_u32 v101, vcc_lo, s4, v93
	v_add_co_ci_u32_e32 v102, vcc_lo, s5, v94, vcc_lo
	s_delay_alu instid0(VALU_DEP_4)
	v_lshlrev_b64 v[99:100], 5, v[99:100]
	v_add_co_u32 v105, vcc_lo, s4, v95
	v_add_co_ci_u32_e32 v106, vcc_lo, s5, v96, vcc_lo
	v_add_co_u32 v113, vcc_lo, s4, v97
	v_add_co_ci_u32_e32 v114, vcc_lo, s5, v98, vcc_lo
	;; [unrolled: 2-line block ×3, first 2 shown]
	s_clause 0x7
	global_load_b128 v[93:96], v[101:102], off
	global_load_b128 v[97:100], v[101:102], off offset:16
	global_load_b128 v[101:104], v[105:106], off
	global_load_b128 v[105:108], v[105:106], off offset:16
	;; [unrolled: 2-line block ×4, first 2 shown]
	v_add_co_u32 v12, vcc_lo, v12, 64
	v_add_co_ci_u32_e32 v13, vcc_lo, 0, v13, vcc_lo
	v_add_co_u32 v10, vcc_lo, 0x1000, v10
	v_add_co_ci_u32_e32 v11, vcc_lo, 0, v11, vcc_lo
	;; [unrolled: 2-line block ×3, first 2 shown]
	v_cmp_ge_i64_e32 vcc_lo, v[12:13], v[2:3]
	s_or_b32 s11, vcc_lo, s11
	s_waitcnt vmcnt(7)
	v_fmac_f32_e32 v32, 0, v93
	s_delay_alu instid0(VALU_DEP_1) | instskip(NEXT) | instid1(VALU_DEP_1)
	v_dual_fmac_f32 v29, v37, v93 :: v_dual_fmac_f32 v32, v16, v94
	v_dual_fmac_f32 v26, v16, v93 :: v_dual_fmac_f32 v29, 0x80000000, v94
	s_delay_alu instid0(VALU_DEP_1) | instskip(NEXT) | instid1(VALU_DEP_1)
	v_dual_fmac_f32 v27, v41, v93 :: v_dual_fmac_f32 v26, 0x80000000, v94
	v_dual_fmac_f32 v28, 0, v93 :: v_dual_fmac_f32 v27, 0x80000000, v94
	;; [unrolled: 3-line block ×3, first 2 shown]
	v_fmac_f32_e32 v31, v33, v93
	s_delay_alu instid0(VALU_DEP_4) | instskip(NEXT) | instid1(VALU_DEP_4)
	v_fmac_f32_e32 v27, v42, v95
	v_fmac_f32_e32 v28, 0, v95
	s_delay_alu instid0(VALU_DEP_4) | instskip(NEXT) | instid1(VALU_DEP_4)
	v_dual_fmac_f32 v30, v33, v94 :: v_dual_fmac_f32 v25, 0, v95
	v_fmac_f32_e32 v31, 0x80000000, v94
	s_delay_alu instid0(VALU_DEP_4) | instskip(NEXT) | instid1(VALU_DEP_4)
	v_fmac_f32_e32 v27, 0x80000000, v96
	v_fmac_f32_e32 v28, v38, v96
	s_delay_alu instid0(VALU_DEP_4)
	v_dual_fmac_f32 v26, v17, v95 :: v_dual_fmac_f32 v25, v42, v96
	v_fmac_f32_e32 v29, v38, v95
	v_fmac_f32_e32 v30, 0, v95
	s_waitcnt vmcnt(6)
	v_fmac_f32_e32 v28, 0, v97
	v_fmac_f32_e32 v26, 0x80000000, v96
	v_dual_fmac_f32 v32, 0, v95 :: v_dual_fmac_f32 v29, 0x80000000, v96
	v_fmac_f32_e32 v31, v34, v95
	s_delay_alu instid0(VALU_DEP_4) | instskip(NEXT) | instid1(VALU_DEP_3)
	v_dual_fmac_f32 v25, 0, v97 :: v_dual_fmac_f32 v28, v39, v98
	v_fmac_f32_e32 v32, v17, v96
	v_dual_fmac_f32 v30, v34, v96 :: v_dual_fmac_f32 v27, v43, v97
	s_delay_alu instid0(VALU_DEP_4) | instskip(NEXT) | instid1(VALU_DEP_4)
	v_dual_fmac_f32 v31, 0x80000000, v96 :: v_dual_fmac_f32 v26, v18, v97
	v_fmac_f32_e32 v25, v43, v98
	v_fmac_f32_e32 v29, v39, v97
	s_delay_alu instid0(VALU_DEP_4) | instskip(NEXT) | instid1(VALU_DEP_4)
	v_dual_fmac_f32 v30, 0, v97 :: v_dual_fmac_f32 v27, 0x80000000, v98
	v_fmac_f32_e32 v26, 0x80000000, v98
	s_delay_alu instid0(VALU_DEP_3) | instskip(SKIP_1) | instid1(VALU_DEP_4)
	v_dual_fmac_f32 v32, 0, v97 :: v_dual_fmac_f32 v29, 0x80000000, v98
	v_fmac_f32_e32 v31, v35, v97
	v_dual_fmac_f32 v30, v35, v98 :: v_dual_fmac_f32 v27, v44, v99
	s_delay_alu instid0(VALU_DEP_3) | instskip(NEXT) | instid1(VALU_DEP_3)
	v_fmac_f32_e32 v32, v18, v98
	v_dual_fmac_f32 v28, 0, v99 :: v_dual_fmac_f32 v31, 0x80000000, v98
	v_fmac_f32_e32 v25, 0, v99
	s_delay_alu instid0(VALU_DEP_4) | instskip(NEXT) | instid1(VALU_DEP_3)
	v_dual_fmac_f32 v30, 0, v99 :: v_dual_fmac_f32 v27, 0x80000000, v100
	v_fmac_f32_e32 v28, v40, v100
	s_delay_alu instid0(VALU_DEP_3) | instskip(SKIP_3) | instid1(VALU_DEP_3)
	v_dual_fmac_f32 v26, v19, v99 :: v_dual_fmac_f32 v25, v44, v100
	v_fmac_f32_e32 v29, v40, v99
	s_waitcnt vmcnt(5)
	v_dual_fmac_f32 v30, v36, v100 :: v_dual_fmac_f32 v27, v57, v101
	v_fmac_f32_e32 v26, 0x80000000, v100
	s_delay_alu instid0(VALU_DEP_3) | instskip(SKIP_1) | instid1(VALU_DEP_2)
	v_dual_fmac_f32 v32, 0, v99 :: v_dual_fmac_f32 v29, 0x80000000, v100
	v_dual_fmac_f32 v31, v36, v99 :: v_dual_fmac_f32 v28, 0, v101
	;; [unrolled: 1-line block ×4, first 2 shown]
	s_delay_alu instid0(VALU_DEP_3) | instskip(SKIP_3) | instid1(VALU_DEP_4)
	v_dual_fmac_f32 v31, 0x80000000, v100 :: v_dual_fmac_f32 v26, v45, v101
	v_fmac_f32_e32 v29, v53, v101
	v_fmac_f32_e32 v28, v53, v102
	v_dual_fmac_f32 v32, 0, v101 :: v_dual_fmac_f32 v25, v57, v102
	v_fmac_f32_e32 v31, v49, v101
	v_dual_fmac_f32 v30, v49, v102 :: v_dual_fmac_f32 v27, v58, v103
	v_fmac_f32_e32 v26, 0x80000000, v102
	v_fmac_f32_e32 v29, 0x80000000, v102
	v_dual_fmac_f32 v32, v45, v102 :: v_dual_fmac_f32 v25, 0, v103
	v_dual_fmac_f32 v28, 0, v103 :: v_dual_fmac_f32 v31, 0x80000000, v102
	v_fmac_f32_e32 v30, 0, v103
	v_dual_fmac_f32 v26, v46, v103 :: v_dual_fmac_f32 v27, 0x80000000, v104
	v_fmac_f32_e32 v29, v54, v103
	v_dual_fmac_f32 v32, 0, v103 :: v_dual_fmac_f32 v25, v58, v104
	s_waitcnt vmcnt(4)
	s_delay_alu instid0(VALU_DEP_3) | instskip(SKIP_2) | instid1(VALU_DEP_3)
	v_dual_fmac_f32 v28, v54, v104 :: v_dual_fmac_f32 v27, v59, v105
	v_fmac_f32_e32 v30, v50, v104
	v_dual_fmac_f32 v31, v50, v103 :: v_dual_fmac_f32 v26, 0x80000000, v104
	v_fmac_f32_e32 v28, 0, v105
	v_fmac_f32_e32 v25, 0, v105
	s_delay_alu instid0(VALU_DEP_4) | instskip(SKIP_1) | instid1(VALU_DEP_4)
	v_dual_fmac_f32 v29, 0x80000000, v104 :: v_dual_fmac_f32 v30, 0, v105
	v_dual_fmac_f32 v32, v46, v104 :: v_dual_fmac_f32 v27, 0x80000000, v106
	v_fmac_f32_e32 v28, v55, v106
	s_delay_alu instid0(VALU_DEP_3) | instskip(SKIP_1) | instid1(VALU_DEP_4)
	v_fmac_f32_e32 v29, v55, v105
	v_dual_fmac_f32 v31, 0x80000000, v104 :: v_dual_fmac_f32 v26, v47, v105
	v_dual_fmac_f32 v32, 0, v105 :: v_dual_fmac_f32 v27, v60, v107
	s_delay_alu instid0(VALU_DEP_4) | instskip(SKIP_1) | instid1(VALU_DEP_4)
	v_dual_fmac_f32 v25, v59, v106 :: v_dual_fmac_f32 v28, 0, v107
	v_fmac_f32_e32 v30, v51, v106
	v_dual_fmac_f32 v31, v51, v105 :: v_dual_fmac_f32 v26, 0x80000000, v106
	s_delay_alu instid0(VALU_DEP_3) | instskip(NEXT) | instid1(VALU_DEP_3)
	v_fmac_f32_e32 v25, 0, v107
	v_dual_fmac_f32 v29, 0x80000000, v106 :: v_dual_fmac_f32 v30, 0, v107
	v_dual_fmac_f32 v32, v47, v106 :: v_dual_fmac_f32 v27, 0x80000000, v108
	v_fmac_f32_e32 v28, v56, v108
	s_delay_alu instid0(VALU_DEP_3)
	v_fmac_f32_e32 v29, v56, v107
	v_dual_fmac_f32 v31, 0x80000000, v106 :: v_dual_fmac_f32 v26, v48, v107
	s_waitcnt vmcnt(3)
	v_dual_fmac_f32 v32, 0, v107 :: v_dual_fmac_f32 v27, v73, v109
	v_dual_fmac_f32 v25, v60, v108 :: v_dual_fmac_f32 v28, 0, v109
	v_fmac_f32_e32 v30, v52, v108
	v_dual_fmac_f32 v31, v52, v107 :: v_dual_fmac_f32 v26, 0x80000000, v108
	s_delay_alu instid0(VALU_DEP_3) | instskip(NEXT) | instid1(VALU_DEP_3)
	v_fmac_f32_e32 v25, 0, v109
	v_dual_fmac_f32 v29, 0x80000000, v108 :: v_dual_fmac_f32 v30, 0, v109
	v_dual_fmac_f32 v32, v48, v108 :: v_dual_fmac_f32 v27, 0x80000000, v110
	v_fmac_f32_e32 v28, v69, v110
	s_delay_alu instid0(VALU_DEP_3) | instskip(SKIP_1) | instid1(VALU_DEP_4)
	v_fmac_f32_e32 v29, v69, v109
	v_dual_fmac_f32 v31, 0x80000000, v108 :: v_dual_fmac_f32 v26, v61, v109
	v_dual_fmac_f32 v32, 0, v109 :: v_dual_fmac_f32 v27, v74, v111
	s_delay_alu instid0(VALU_DEP_4) | instskip(SKIP_1) | instid1(VALU_DEP_4)
	v_dual_fmac_f32 v25, v73, v110 :: v_dual_fmac_f32 v28, 0, v111
	v_fmac_f32_e32 v30, v65, v110
	v_dual_fmac_f32 v31, v65, v109 :: v_dual_fmac_f32 v26, 0x80000000, v110
	s_delay_alu instid0(VALU_DEP_3) | instskip(NEXT) | instid1(VALU_DEP_3)
	v_fmac_f32_e32 v25, 0, v111
	v_dual_fmac_f32 v29, 0x80000000, v110 :: v_dual_fmac_f32 v30, 0, v111
	v_dual_fmac_f32 v32, v61, v110 :: v_dual_fmac_f32 v27, 0x80000000, v112
	v_fmac_f32_e32 v28, v70, v112
	s_delay_alu instid0(VALU_DEP_3)
	v_fmac_f32_e32 v29, v70, v111
	v_dual_fmac_f32 v31, 0x80000000, v110 :: v_dual_fmac_f32 v26, v62, v111
	s_waitcnt vmcnt(2)
	v_dual_fmac_f32 v32, 0, v111 :: v_dual_fmac_f32 v27, v75, v113
	v_dual_fmac_f32 v25, v74, v112 :: v_dual_fmac_f32 v28, 0, v113
	v_fmac_f32_e32 v30, v66, v112
	v_dual_fmac_f32 v31, v66, v111 :: v_dual_fmac_f32 v26, 0x80000000, v112
	s_delay_alu instid0(VALU_DEP_3) | instskip(NEXT) | instid1(VALU_DEP_3)
	v_fmac_f32_e32 v25, 0, v113
	;; [unrolled: 26-line block ×4, first 2 shown]
	v_dual_fmac_f32 v29, 0x80000000, v120 :: v_dual_fmac_f32 v30, 0, v121
	v_fmac_f32_e32 v32, v78, v120
	s_delay_alu instid0(VALU_DEP_4) | instskip(NEXT) | instid1(VALU_DEP_3)
	v_dual_fmac_f32 v31, 0x80000000, v120 :: v_dual_fmac_f32 v26, v79, v121
	v_fmac_f32_e32 v29, v87, v121
	s_delay_alu instid0(VALU_DEP_3) | instskip(SKIP_1) | instid1(VALU_DEP_4)
	v_dual_fmac_f32 v27, 0x80000000, v122 :: v_dual_fmac_f32 v32, 0, v121
	v_fmac_f32_e32 v28, v87, v122
	v_dual_fmac_f32 v31, v83, v121 :: v_dual_fmac_f32 v26, 0x80000000, v122
	s_delay_alu instid0(VALU_DEP_3) | instskip(NEXT) | instid1(VALU_DEP_3)
	v_fmac_f32_e32 v27, v92, v123
	v_dual_fmac_f32 v25, v91, v122 :: v_dual_fmac_f32 v28, 0, v123
	v_fmac_f32_e32 v30, v83, v122
	s_delay_alu instid0(VALU_DEP_4) | instskip(NEXT) | instid1(VALU_DEP_3)
	v_dual_fmac_f32 v31, 0x80000000, v122 :: v_dual_fmac_f32 v26, v80, v123
	v_fmac_f32_e32 v25, 0, v123
	s_delay_alu instid0(VALU_DEP_3) | instskip(NEXT) | instid1(VALU_DEP_3)
	v_dual_fmac_f32 v29, 0x80000000, v122 :: v_dual_fmac_f32 v30, 0, v123
	v_dual_fmac_f32 v32, v79, v122 :: v_dual_fmac_f32 v31, v84, v123
	s_delay_alu instid0(VALU_DEP_2) | instskip(NEXT) | instid1(VALU_DEP_2)
	v_dual_fmac_f32 v26, 0x80000000, v124 :: v_dual_fmac_f32 v29, v88, v123
	v_dual_fmac_f32 v27, 0x80000000, v124 :: v_dual_fmac_f32 v32, 0, v123
	v_fmac_f32_e32 v25, v92, v124
	v_fmac_f32_e32 v28, v88, v124
	s_delay_alu instid0(VALU_DEP_4)
	v_fmac_f32_e32 v29, 0x80000000, v124
	v_fmac_f32_e32 v31, 0x80000000, v124
	;; [unrolled: 1-line block ×4, first 2 shown]
	s_and_not1_b32 exec_lo, exec_lo, s11
	s_cbranch_execnz .LBB132_29
; %bb.30:
	s_or_b32 exec_lo, exec_lo, s11
.LBB132_31:
	s_delay_alu instid0(SALU_CYCLE_1)
	s_or_b32 exec_lo, exec_lo, s10
.LBB132_32:
	s_delay_alu instid0(SALU_CYCLE_1) | instskip(NEXT) | instid1(SALU_CYCLE_1)
	s_or_b32 exec_lo, exec_lo, s7
	s_and_not1_b32 vcc_lo, exec_lo, s6
	s_cbranch_vccz .LBB132_34
	s_branch .LBB132_45
.LBB132_33:
                                        ; implicit-def: $vgpr25
                                        ; implicit-def: $vgpr27
                                        ; implicit-def: $vgpr28
                                        ; implicit-def: $vgpr29
                                        ; implicit-def: $vgpr30
                                        ; implicit-def: $vgpr31
                                        ; implicit-def: $vgpr32
                                        ; implicit-def: $vgpr26
.LBB132_34:
	v_dual_mov_b32 v25, 0 :: v_dual_mov_b32 v28, 0
	v_dual_mov_b32 v27, 0 :: v_dual_mov_b32 v30, 0
	;; [unrolled: 1-line block ×4, first 2 shown]
	s_and_saveexec_b32 s6, s2
	s_cbranch_execz .LBB132_44
; %bb.35:
	v_or_b32_e32 v10, 16, v24
	v_dual_mov_b32 v26, 0 :: v_dual_mov_b32 v29, 0
	v_dual_mov_b32 v32, 0 :: v_dual_mov_b32 v27, 0
	s_delay_alu instid0(VALU_DEP_3) | instskip(NEXT) | instid1(VALU_DEP_1)
	v_sub_co_u32 v10, s2, v10, s12
	v_sub_co_ci_u32_e64 v11, null, 0, s3, s2
	v_sub_co_u32 v12, s2, s12, v24
	s_delay_alu instid0(VALU_DEP_3) | instskip(NEXT) | instid1(VALU_DEP_3)
	v_add_co_u32 v10, vcc_lo, v10, v6
	v_add_co_ci_u32_e32 v11, vcc_lo, v11, v7, vcc_lo
	v_not_b32_e32 v6, v6
	v_not_b32_e32 v7, v7
	v_sub_co_ci_u32_e64 v13, null, s3, 0, s2
	s_delay_alu instid0(VALU_DEP_4)
	v_cmp_gt_i64_e32 vcc_lo, v[10:11], v[2:3]
	v_mov_b32_e32 v30, 0
	v_mov_b32_e32 v28, 0
	s_mov_b32 s7, 0
	s_mov_b32 s2, exec_lo
	v_mov_b32_e32 v31, 0
	v_dual_cndmask_b32 v11, v3, v11 :: v_dual_cndmask_b32 v10, v2, v10
	v_add_co_u32 v6, vcc_lo, v12, v6
	v_add_co_ci_u32_e32 v7, vcc_lo, v13, v7, vcc_lo
	v_mov_b32_e32 v25, 0
	s_delay_alu instid0(VALU_DEP_3) | instskip(NEXT) | instid1(VALU_DEP_3)
	v_add_co_u32 v6, vcc_lo, v6, v10
	v_add_co_ci_u32_e32 v7, vcc_lo, v7, v11, vcc_lo
	s_delay_alu instid0(VALU_DEP_2) | instskip(NEXT) | instid1(VALU_DEP_1)
	v_lshrrev_b32_e32 v10, 4, v6
	v_add_nc_u32_e32 v10, 1, v10
	s_delay_alu instid0(VALU_DEP_1) | instskip(NEXT) | instid1(VALU_DEP_1)
	v_and_b32_e32 v10, 3, v10
	v_cmpx_ne_u32_e32 0, v10
	s_cbranch_execz .LBB132_39
; %bb.36:
	v_lshlrev_b64 v[12:13], 3, v[0:1]
	v_dual_mov_b32 v11, 0 :: v_dual_lshlrev_b32 v10, 3, v10
	s_delay_alu instid0(VALU_DEP_1) | instskip(NEXT) | instid1(VALU_DEP_3)
	v_mov_b32_e32 v25, v11
	v_add_co_u32 v12, vcc_lo, s8, v12
	s_delay_alu instid0(VALU_DEP_4)
	v_add_co_ci_u32_e32 v13, vcc_lo, s9, v13, vcc_lo
	v_mov_b32_e32 v27, v11
	v_mov_b32_e32 v28, v11
	;; [unrolled: 1-line block ×7, first 2 shown]
.LBB132_37:                             ; =>This Inner Loop Header: Depth=1
	global_load_b64 v[18:19], v[12:13], off
	s_clause 0x1
	global_load_b128 v[14:17], v[4:5], off offset:16
	global_load_b128 v[33:36], v[4:5], off
	s_waitcnt vmcnt(2)
	v_sub_co_u32 v18, vcc_lo, v18, s12
	v_subrev_co_ci_u32_e32 v19, vcc_lo, s3, v19, vcc_lo
	s_delay_alu instid0(VALU_DEP_1) | instskip(NEXT) | instid1(VALU_DEP_1)
	v_lshlrev_b64 v[18:19], 5, v[18:19]
	v_add_co_u32 v18, vcc_lo, s4, v18
	s_delay_alu instid0(VALU_DEP_2)
	v_add_co_ci_u32_e32 v19, vcc_lo, s5, v19, vcc_lo
	s_clause 0x1
	global_load_b128 v[37:40], v[18:19], off
	global_load_b128 v[41:44], v[18:19], off offset:16
	s_clause 0x1
	global_load_b128 v[45:48], v[4:5], off offset:32
	global_load_b128 v[49:52], v[4:5], off offset:48
	v_add_co_u32 v4, vcc_lo, 0x400, v4
	v_add_co_ci_u32_e32 v5, vcc_lo, 0, v5, vcc_lo
	v_add_co_u32 v0, vcc_lo, v0, 16
	v_add_co_ci_u32_e32 v1, vcc_lo, 0, v1, vcc_lo
	v_add_co_u32 v10, vcc_lo, v10, -8
	v_add_co_ci_u32_e32 v11, vcc_lo, -1, v11, vcc_lo
	v_add_co_u32 v12, vcc_lo, 0x80, v12
	v_add_co_ci_u32_e32 v13, vcc_lo, 0, v13, vcc_lo
	s_delay_alu instid0(VALU_DEP_3)
	v_cmp_eq_u64_e32 vcc_lo, 0, v[10:11]
	s_or_b32 s7, vcc_lo, s7
	s_waitcnt vmcnt(3)
	v_fmac_f32_e32 v28, 0, v37
	v_fmac_f32_e32 v27, v33, v37
	;; [unrolled: 1-line block ×7, first 2 shown]
	v_dual_fmac_f32 v31, v35, v37 :: v_dual_fmac_f32 v28, v34, v38
	v_fmac_f32_e32 v27, 0x80000000, v38
	v_fmac_f32_e32 v30, v35, v38
	s_delay_alu instid0(VALU_DEP_4)
	v_fmac_f32_e32 v32, v36, v38
	v_fmac_f32_e32 v25, v33, v38
	;; [unrolled: 1-line block ×4, first 2 shown]
	v_dual_fmac_f32 v29, 0x80000000, v38 :: v_dual_fmac_f32 v28, 0, v39
	v_fmac_f32_e32 v27, v14, v39
	v_fmac_f32_e32 v30, 0, v39
	;; [unrolled: 1-line block ×6, first 2 shown]
	v_dual_fmac_f32 v31, v16, v39 :: v_dual_fmac_f32 v28, v15, v40
	v_fmac_f32_e32 v27, 0x80000000, v40
	v_fmac_f32_e32 v30, v16, v40
	s_delay_alu instid0(VALU_DEP_4)
	v_fmac_f32_e32 v32, v17, v40
	v_fmac_f32_e32 v25, v14, v40
	;; [unrolled: 1-line block ×4, first 2 shown]
	s_waitcnt vmcnt(2)
	v_dual_fmac_f32 v29, 0x80000000, v40 :: v_dual_fmac_f32 v28, 0, v41
	s_waitcnt vmcnt(1)
	v_fmac_f32_e32 v27, v45, v41
	v_fmac_f32_e32 v30, 0, v41
	;; [unrolled: 1-line block ×6, first 2 shown]
	v_dual_fmac_f32 v31, v47, v41 :: v_dual_fmac_f32 v28, v46, v42
	v_fmac_f32_e32 v27, 0x80000000, v42
	v_fmac_f32_e32 v30, v47, v42
	s_delay_alu instid0(VALU_DEP_4)
	v_fmac_f32_e32 v32, v48, v42
	v_fmac_f32_e32 v25, v45, v42
	;; [unrolled: 1-line block ×4, first 2 shown]
	v_dual_fmac_f32 v29, 0x80000000, v42 :: v_dual_fmac_f32 v28, 0, v43
	s_waitcnt vmcnt(0)
	v_fmac_f32_e32 v27, v49, v43
	v_fmac_f32_e32 v30, 0, v43
	;; [unrolled: 1-line block ×6, first 2 shown]
	v_dual_fmac_f32 v31, v51, v43 :: v_dual_fmac_f32 v28, v50, v44
	v_fmac_f32_e32 v27, 0x80000000, v44
	v_fmac_f32_e32 v30, v51, v44
	s_delay_alu instid0(VALU_DEP_4)
	v_fmac_f32_e32 v32, v52, v44
	v_fmac_f32_e32 v25, v49, v44
	;; [unrolled: 1-line block ×5, first 2 shown]
	s_and_not1_b32 exec_lo, exec_lo, s7
	s_cbranch_execnz .LBB132_37
; %bb.38:
	s_or_b32 exec_lo, exec_lo, s7
.LBB132_39:
	s_delay_alu instid0(SALU_CYCLE_1) | instskip(NEXT) | instid1(SALU_CYCLE_1)
	s_or_b32 exec_lo, exec_lo, s2
	s_mov_b32 s2, exec_lo
	v_cmpx_lt_u64_e32 47, v[6:7]
	s_cbranch_execz .LBB132_43
; %bb.40:
	v_lshlrev_b64 v[6:7], 3, v[0:1]
	s_mov_b32 s7, 0
	s_delay_alu instid0(VALU_DEP_1) | instskip(NEXT) | instid1(VALU_DEP_2)
	v_add_co_u32 v6, vcc_lo, v6, s8
	v_add_co_ci_u32_e32 v7, vcc_lo, s9, v7, vcc_lo
	s_delay_alu instid0(VALU_DEP_2) | instskip(NEXT) | instid1(VALU_DEP_2)
	v_add_co_u32 v6, vcc_lo, 0x100, v6
	v_add_co_ci_u32_e32 v7, vcc_lo, 0, v7, vcc_lo
.LBB132_41:                             ; =>This Inner Loop Header: Depth=1
	s_clause 0x3
	global_load_b64 v[18:19], v[6:7], off offset:-256
	global_load_b64 v[81:82], v[6:7], off offset:-128
	global_load_b64 v[83:84], v[6:7], off
	global_load_b64 v[85:86], v[6:7], off offset:128
	s_clause 0xd
	global_load_b128 v[10:13], v[4:5], off offset:48
	global_load_b128 v[14:17], v[4:5], off offset:32
	;; [unrolled: 1-line block ×3, first 2 shown]
	global_load_b128 v[37:40], v[4:5], off
	global_load_b128 v[41:44], v[4:5], off offset:1072
	global_load_b128 v[45:48], v[4:5], off offset:1056
	;; [unrolled: 1-line block ×10, first 2 shown]
	s_waitcnt vmcnt(17)
	v_sub_co_u32 v18, vcc_lo, v18, s12
	v_subrev_co_ci_u32_e32 v19, vcc_lo, s3, v19, vcc_lo
	s_waitcnt vmcnt(16)
	v_sub_co_u32 v81, vcc_lo, v81, s12
	v_subrev_co_ci_u32_e32 v82, vcc_lo, s3, v82, vcc_lo
	s_waitcnt vmcnt(15)
	v_sub_co_u32 v83, vcc_lo, v83, s12
	v_lshlrev_b64 v[18:19], 5, v[18:19]
	v_subrev_co_ci_u32_e32 v84, vcc_lo, s3, v84, vcc_lo
	s_waitcnt vmcnt(14)
	v_sub_co_u32 v85, vcc_lo, v85, s12
	v_lshlrev_b64 v[81:82], 5, v[81:82]
	v_subrev_co_ci_u32_e32 v86, vcc_lo, s3, v86, vcc_lo
	v_lshlrev_b64 v[83:84], 5, v[83:84]
	v_add_co_u32 v18, vcc_lo, s4, v18
	v_add_co_ci_u32_e32 v19, vcc_lo, s5, v19, vcc_lo
	s_delay_alu instid0(VALU_DEP_4)
	v_lshlrev_b64 v[85:86], 5, v[85:86]
	v_add_co_u32 v93, vcc_lo, s4, v81
	v_add_co_ci_u32_e32 v94, vcc_lo, s5, v82, vcc_lo
	v_add_co_u32 v101, vcc_lo, s4, v83
	v_add_co_ci_u32_e32 v102, vcc_lo, s5, v84, vcc_lo
	;; [unrolled: 2-line block ×3, first 2 shown]
	s_clause 0x6
	global_load_b128 v[81:84], v[18:19], off
	global_load_b128 v[85:88], v[18:19], off offset:16
	global_load_b128 v[89:92], v[93:94], off
	global_load_b128 v[93:96], v[93:94], off offset:16
	global_load_b128 v[97:100], v[101:102], off
	global_load_b128 v[101:104], v[101:102], off offset:16
	global_load_b128 v[105:108], v[113:114], off
	global_load_b128 v[109:112], v[4:5], off offset:3104
	global_load_b128 v[113:116], v[113:114], off offset:16
	global_load_b128 v[117:120], v[4:5], off offset:3120
	v_add_co_u32 v4, vcc_lo, 0x1000, v4
	v_add_co_ci_u32_e32 v5, vcc_lo, 0, v5, vcc_lo
	v_add_co_u32 v0, vcc_lo, v0, 64
	v_add_co_ci_u32_e32 v1, vcc_lo, 0, v1, vcc_lo
	;; [unrolled: 2-line block ×3, first 2 shown]
	s_delay_alu instid0(VALU_DEP_3)
	v_cmp_ge_i64_e32 vcc_lo, v[0:1], v[2:3]
	s_or_b32 s7, vcc_lo, s7
	s_waitcnt vmcnt(9)
	v_fmac_f32_e32 v30, 0, v81
	v_fmac_f32_e32 v25, 0, v81
	;; [unrolled: 1-line block ×7, first 2 shown]
	v_dual_fmac_f32 v28, 0, v81 :: v_dual_fmac_f32 v25, v37, v82
	v_dual_fmac_f32 v27, v37, v81 :: v_dual_fmac_f32 v32, v40, v82
	v_fmac_f32_e32 v29, 0x80000000, v82
	s_delay_alu instid0(VALU_DEP_3) | instskip(SKIP_1) | instid1(VALU_DEP_4)
	v_fmac_f32_e32 v28, v38, v82
	v_fmac_f32_e32 v26, 0x80000000, v82
	;; [unrolled: 1-line block ×3, first 2 shown]
	v_dual_fmac_f32 v31, 0x80000000, v82 :: v_dual_fmac_f32 v30, 0, v83
	v_fmac_f32_e32 v25, 0, v83
	v_fmac_f32_e32 v32, 0, v83
	;; [unrolled: 1-line block ×6, first 2 shown]
	v_dual_fmac_f32 v28, 0, v83 :: v_dual_fmac_f32 v25, v33, v84
	v_dual_fmac_f32 v27, v33, v83 :: v_dual_fmac_f32 v32, v36, v84
	v_fmac_f32_e32 v29, 0x80000000, v84
	s_delay_alu instid0(VALU_DEP_3) | instskip(SKIP_1) | instid1(VALU_DEP_4)
	v_fmac_f32_e32 v28, v34, v84
	v_fmac_f32_e32 v26, 0x80000000, v84
	;; [unrolled: 1-line block ×3, first 2 shown]
	s_waitcnt vmcnt(8)
	v_dual_fmac_f32 v31, 0x80000000, v84 :: v_dual_fmac_f32 v30, 0, v85
	v_fmac_f32_e32 v25, 0, v85
	v_fmac_f32_e32 v32, 0, v85
	;; [unrolled: 1-line block ×6, first 2 shown]
	v_dual_fmac_f32 v28, 0, v85 :: v_dual_fmac_f32 v25, v14, v86
	v_dual_fmac_f32 v27, v14, v85 :: v_dual_fmac_f32 v32, v17, v86
	v_fmac_f32_e32 v29, 0x80000000, v86
	s_delay_alu instid0(VALU_DEP_3) | instskip(SKIP_1) | instid1(VALU_DEP_4)
	v_fmac_f32_e32 v28, v15, v86
	v_fmac_f32_e32 v26, 0x80000000, v86
	;; [unrolled: 1-line block ×3, first 2 shown]
	v_dual_fmac_f32 v31, 0x80000000, v86 :: v_dual_fmac_f32 v30, 0, v87
	v_fmac_f32_e32 v25, 0, v87
	v_fmac_f32_e32 v32, 0, v87
	v_fmac_f32_e32 v29, v11, v87
	v_fmac_f32_e32 v26, v13, v87
	v_fmac_f32_e32 v31, v12, v87
	v_fmac_f32_e32 v30, v12, v88
	v_dual_fmac_f32 v28, 0, v87 :: v_dual_fmac_f32 v25, v10, v88
	v_dual_fmac_f32 v27, v10, v87 :: v_dual_fmac_f32 v32, v13, v88
	v_fmac_f32_e32 v29, 0x80000000, v88
	s_delay_alu instid0(VALU_DEP_3) | instskip(SKIP_1) | instid1(VALU_DEP_4)
	v_fmac_f32_e32 v28, v11, v88
	v_fmac_f32_e32 v26, 0x80000000, v88
	v_fmac_f32_e32 v27, 0x80000000, v88
	s_waitcnt vmcnt(7)
	v_dual_fmac_f32 v31, 0x80000000, v88 :: v_dual_fmac_f32 v30, 0, v89
	v_fmac_f32_e32 v25, 0, v89
	v_fmac_f32_e32 v28, 0, v89
	v_fmac_f32_e32 v27, v53, v89
	v_fmac_f32_e32 v26, v56, v89
	v_fmac_f32_e32 v29, v54, v89
	v_fmac_f32_e32 v32, 0, v89
	v_dual_fmac_f32 v31, v55, v89 :: v_dual_fmac_f32 v28, v54, v90
	v_fmac_f32_e32 v27, 0x80000000, v90
	v_fmac_f32_e32 v30, v55, v90
	s_delay_alu instid0(VALU_DEP_4)
	v_fmac_f32_e32 v32, v56, v90
	v_fmac_f32_e32 v25, v53, v90
	v_fmac_f32_e32 v31, 0x80000000, v90
	v_fmac_f32_e32 v26, 0x80000000, v90
	v_dual_fmac_f32 v29, 0x80000000, v90 :: v_dual_fmac_f32 v28, 0, v91
	v_fmac_f32_e32 v27, v49, v91
	v_fmac_f32_e32 v30, 0, v91
	v_fmac_f32_e32 v25, 0, v91
	v_fmac_f32_e32 v26, v52, v91
	v_fmac_f32_e32 v29, v50, v91
	v_fmac_f32_e32 v32, 0, v91
	v_dual_fmac_f32 v31, v51, v91 :: v_dual_fmac_f32 v28, v50, v92
	v_fmac_f32_e32 v27, 0x80000000, v92
	v_fmac_f32_e32 v30, v51, v92
	s_delay_alu instid0(VALU_DEP_4)
	v_fmac_f32_e32 v32, v52, v92
	v_fmac_f32_e32 v25, v49, v92
	v_fmac_f32_e32 v31, 0x80000000, v92
	v_fmac_f32_e32 v26, 0x80000000, v92
	s_waitcnt vmcnt(6)
	v_dual_fmac_f32 v29, 0x80000000, v92 :: v_dual_fmac_f32 v28, 0, v93
	v_fmac_f32_e32 v27, v45, v93
	v_fmac_f32_e32 v30, 0, v93
	v_fmac_f32_e32 v25, 0, v93
	v_fmac_f32_e32 v26, v48, v93
	v_fmac_f32_e32 v29, v46, v93
	v_fmac_f32_e32 v32, 0, v93
	v_dual_fmac_f32 v31, v47, v93 :: v_dual_fmac_f32 v28, v46, v94
	v_fmac_f32_e32 v27, 0x80000000, v94
	v_fmac_f32_e32 v30, v47, v94
	s_delay_alu instid0(VALU_DEP_4)
	v_fmac_f32_e32 v32, v48, v94
	v_fmac_f32_e32 v25, v45, v94
	v_fmac_f32_e32 v31, 0x80000000, v94
	v_fmac_f32_e32 v26, 0x80000000, v94
	v_dual_fmac_f32 v29, 0x80000000, v94 :: v_dual_fmac_f32 v28, 0, v95
	v_fmac_f32_e32 v27, v41, v95
	v_fmac_f32_e32 v30, 0, v95
	v_fmac_f32_e32 v25, 0, v95
	v_fmac_f32_e32 v26, v44, v95
	v_fmac_f32_e32 v29, v42, v95
	v_fmac_f32_e32 v32, 0, v95
	v_dual_fmac_f32 v31, v43, v95 :: v_dual_fmac_f32 v28, v42, v96
	v_fmac_f32_e32 v27, 0x80000000, v96
	v_fmac_f32_e32 v30, v43, v96
	s_delay_alu instid0(VALU_DEP_4)
	v_fmac_f32_e32 v32, v44, v96
	;; [unrolled: 31-line block ×5, first 2 shown]
	v_fmac_f32_e32 v25, v73, v108
	v_fmac_f32_e32 v31, 0x80000000, v108
	;; [unrolled: 1-line block ×3, first 2 shown]
	s_waitcnt vmcnt(1)
	v_dual_fmac_f32 v29, 0x80000000, v108 :: v_dual_fmac_f32 v28, 0, v113
	v_fmac_f32_e32 v27, v109, v113
	v_fmac_f32_e32 v30, 0, v113
	;; [unrolled: 1-line block ×6, first 2 shown]
	v_dual_fmac_f32 v31, v111, v113 :: v_dual_fmac_f32 v28, v110, v114
	v_fmac_f32_e32 v27, 0x80000000, v114
	v_fmac_f32_e32 v30, v111, v114
	s_delay_alu instid0(VALU_DEP_4)
	v_fmac_f32_e32 v32, v112, v114
	v_fmac_f32_e32 v25, v109, v114
	;; [unrolled: 1-line block ×4, first 2 shown]
	v_dual_fmac_f32 v29, 0x80000000, v114 :: v_dual_fmac_f32 v28, 0, v115
	s_waitcnt vmcnt(0)
	v_fmac_f32_e32 v27, v117, v115
	v_fmac_f32_e32 v30, 0, v115
	;; [unrolled: 1-line block ×6, first 2 shown]
	v_dual_fmac_f32 v31, v119, v115 :: v_dual_fmac_f32 v28, v118, v116
	v_fmac_f32_e32 v27, 0x80000000, v116
	v_fmac_f32_e32 v30, v119, v116
	s_delay_alu instid0(VALU_DEP_4)
	v_fmac_f32_e32 v32, v120, v116
	v_fmac_f32_e32 v25, v117, v116
	;; [unrolled: 1-line block ×5, first 2 shown]
	s_and_not1_b32 exec_lo, exec_lo, s7
	s_cbranch_execnz .LBB132_41
; %bb.42:
	s_or_b32 exec_lo, exec_lo, s7
.LBB132_43:
	s_delay_alu instid0(SALU_CYCLE_1)
	s_or_b32 exec_lo, exec_lo, s2
.LBB132_44:
	s_delay_alu instid0(SALU_CYCLE_1)
	s_or_b32 exec_lo, exec_lo, s6
.LBB132_45:
	v_mbcnt_lo_u32_b32 v0, -1, 0
	s_delay_alu instid0(VALU_DEP_1) | instskip(SKIP_2) | instid1(VALU_DEP_3)
	v_xor_b32_e32 v1, 8, v0
	v_xor_b32_e32 v11, 4, v0
	;; [unrolled: 1-line block ×3, first 2 shown]
	v_cmp_gt_i32_e32 vcc_lo, 32, v1
	v_cndmask_b32_e32 v1, v0, v1, vcc_lo
	s_delay_alu instid0(VALU_DEP_4) | instskip(NEXT) | instid1(VALU_DEP_2)
	v_cmp_gt_i32_e32 vcc_lo, 32, v11
	v_lshlrev_b32_e32 v1, 2, v1
	ds_bpermute_b32 v4, v1, v29
	s_waitcnt lgkmcnt(0)
	v_add_f32_e32 v4, v29, v4
	ds_bpermute_b32 v2, v1, v27
	ds_bpermute_b32 v6, v1, v31
	;; [unrolled: 1-line block ×3, first 2 shown]
	v_cndmask_b32_e32 v11, v0, v11, vcc_lo
	ds_bpermute_b32 v3, v1, v25
	ds_bpermute_b32 v5, v1, v28
	;; [unrolled: 1-line block ×4, first 2 shown]
	v_cmp_gt_i32_e32 vcc_lo, 32, v19
	s_waitcnt lgkmcnt(6)
	v_add_f32_e32 v2, v27, v2
	s_waitcnt lgkmcnt(5)
	v_dual_add_f32 v6, v31, v6 :: v_dual_lshlrev_b32 v11, 2, v11
	s_waitcnt lgkmcnt(4)
	v_add_f32_e32 v10, v26, v10
	ds_bpermute_b32 v12, v11, v2
	ds_bpermute_b32 v14, v11, v4
	;; [unrolled: 1-line block ×4, first 2 shown]
	s_waitcnt lgkmcnt(7)
	v_add_f32_e32 v3, v25, v3
	s_waitcnt lgkmcnt(6)
	v_add_f32_e32 v5, v28, v5
	;; [unrolled: 2-line block ×3, first 2 shown]
	s_waitcnt lgkmcnt(3)
	v_dual_add_f32 v1, v32, v1 :: v_dual_add_f32 v2, v2, v12
	ds_bpermute_b32 v13, v11, v3
	s_waitcnt lgkmcnt(3)
	v_add_f32_e32 v4, v4, v14
	s_waitcnt lgkmcnt(1)
	v_add_f32_e32 v10, v10, v18
	ds_bpermute_b32 v17, v11, v7
	v_add_f32_e32 v6, v6, v16
	ds_bpermute_b32 v15, v11, v5
	ds_bpermute_b32 v11, v11, v1
	v_cndmask_b32_e32 v19, v0, v19, vcc_lo
	s_delay_alu instid0(VALU_DEP_1)
	v_lshlrev_b32_e32 v19, 2, v19
	s_waitcnt lgkmcnt(3)
	v_add_f32_e32 v3, v3, v13
	ds_bpermute_b32 v13, v19, v4
	s_waitcnt lgkmcnt(3)
	v_add_f32_e32 v7, v7, v17
	ds_bpermute_b32 v17, v19, v10
	s_waitcnt lgkmcnt(3)
	v_add_f32_e32 v5, v5, v15
	s_waitcnt lgkmcnt(2)
	v_add_f32_e32 v11, v1, v11
	ds_bpermute_b32 v1, v19, v2
	ds_bpermute_b32 v12, v19, v3
	;; [unrolled: 1-line block ×6, first 2 shown]
	v_xor_b32_e32 v19, 1, v0
	s_delay_alu instid0(VALU_DEP_1) | instskip(SKIP_3) | instid1(VALU_DEP_2)
	v_cmp_gt_i32_e32 vcc_lo, 32, v19
	v_cndmask_b32_e32 v0, v0, v19, vcc_lo
	v_cmp_eq_u32_e32 vcc_lo, 15, v24
	s_waitcnt lgkmcnt(5)
	v_dual_add_f32 v0, v2, v1 :: v_dual_lshlrev_b32 v19, 2, v0
	s_waitcnt lgkmcnt(4)
	v_dual_add_f32 v1, v3, v12 :: v_dual_add_f32 v2, v4, v13
	s_waitcnt lgkmcnt(3)
	v_add_f32_e32 v4, v6, v15
	s_waitcnt lgkmcnt(2)
	v_dual_add_f32 v6, v10, v17 :: v_dual_add_f32 v3, v5, v14
	s_waitcnt lgkmcnt(1)
	v_add_f32_e32 v5, v7, v16
	s_waitcnt lgkmcnt(0)
	v_add_f32_e32 v7, v11, v18
	ds_bpermute_b32 v10, v19, v0
	ds_bpermute_b32 v11, v19, v1
	;; [unrolled: 1-line block ×8, first 2 shown]
	s_and_b32 exec_lo, exec_lo, vcc_lo
	s_cbranch_execz .LBB132_13
; %bb.46:
	s_load_b64 s[2:3], s[0:1], 0x58
	s_waitcnt lgkmcnt(0)
	v_add_f32_e32 v10, v0, v10
	v_dual_add_f32 v0, v1, v11 :: v_dual_add_f32 v1, v3, v13
	v_dual_add_f32 v11, v2, v12 :: v_dual_add_f32 v2, v5, v15
	v_dual_add_f32 v3, v7, v17 :: v_dual_add_f32 v12, v4, v14
	v_add_f32_e32 v13, v6, v16
	s_delay_alu instid0(VALU_DEP_4)
	v_mul_f32_e64 v4, v0, -v23
	v_mul_f32_e64 v6, v1, -v23
	v_mul_f32_e32 v5, v0, v22
	v_mul_f32_e64 v0, v2, -v23
	v_mul_f32_e32 v7, v1, v22
	v_mul_f32_e32 v1, v2, v22
	v_mul_f32_e64 v2, v3, -v23
	v_mul_f32_e32 v3, v3, v22
	v_cmp_eq_f32_e32 vcc_lo, 0, v20
	v_cmp_eq_f32_e64 s0, 0, v21
	v_lshlrev_b64 v[8:9], 5, v[8:9]
	v_fmac_f32_e32 v2, v22, v13
	v_dual_fmac_f32 v6, v22, v11 :: v_dual_fmac_f32 v5, v23, v10
	v_fmac_f32_e32 v0, v22, v12
	v_dual_fmac_f32 v4, v22, v10 :: v_dual_fmac_f32 v7, v23, v11
	v_fmac_f32_e32 v1, v23, v12
	v_fmac_f32_e32 v3, v23, v13
	s_and_b32 s0, vcc_lo, s0
	s_delay_alu instid0(SALU_CYCLE_1) | instskip(NEXT) | instid1(SALU_CYCLE_1)
	s_and_saveexec_b32 s1, s0
	s_xor_b32 s0, exec_lo, s1
; %bb.47:
	v_add_co_u32 v8, vcc_lo, s2, v8
	v_add_co_ci_u32_e32 v9, vcc_lo, s3, v9, vcc_lo
                                        ; implicit-def: $vgpr20
                                        ; implicit-def: $vgpr21
	s_clause 0x1
	global_store_b128 v[8:9], v[4:7], off
	global_store_b128 v[8:9], v[0:3], off offset:16
                                        ; implicit-def: $vgpr4
                                        ; implicit-def: $vgpr8_vgpr9
                                        ; implicit-def: $vgpr0
; %bb.48:
	s_and_not1_saveexec_b32 s0, s0
	s_cbranch_execz .LBB132_13
; %bb.49:
	v_add_co_u32 v16, vcc_lo, s2, v8
	v_add_co_ci_u32_e32 v17, vcc_lo, s3, v9, vcc_lo
	s_clause 0x1
	global_load_b128 v[8:11], v[16:17], off
	global_load_b128 v[12:15], v[16:17], off offset:16
	s_waitcnt vmcnt(1)
	v_dual_fmac_f32 v4, v20, v8 :: v_dual_fmac_f32 v7, v21, v10
	v_dual_fmac_f32 v5, v21, v8 :: v_dual_fmac_f32 v6, v20, v10
	s_waitcnt vmcnt(0)
	v_dual_fmac_f32 v0, v20, v12 :: v_dual_fmac_f32 v3, v21, v14
	v_dual_fmac_f32 v1, v21, v12 :: v_dual_fmac_f32 v2, v20, v14
	v_fma_f32 v4, -v21, v9, v4
	v_fmac_f32_e32 v5, v20, v9
	v_fma_f32 v6, -v21, v11, v6
	v_fmac_f32_e32 v7, v20, v11
	;; [unrolled: 2-line block ×4, first 2 shown]
	s_clause 0x1
	global_store_b128 v[16:17], v[4:7], off
	global_store_b128 v[16:17], v[0:3], off offset:16
	s_nop 0
	s_sendmsg sendmsg(MSG_DEALLOC_VGPRS)
	s_endpgm
	.section	.rodata,"a",@progbits
	.p2align	6, 0x0
	.amdhsa_kernel _ZN9rocsparseL18bsrxmvn_4x4_kernelILj128ELj16E21rocsparse_complex_numIfEllfS2_S2_EEvT3_20rocsparse_direction_NS_24const_host_device_scalarIT1_EES3_PKS3_PKT2_SC_S9_PKT4_PKT5_S7_PT6_21rocsparse_index_base_b
		.amdhsa_group_segment_fixed_size 0
		.amdhsa_private_segment_fixed_size 0
		.amdhsa_kernarg_size 104
		.amdhsa_user_sgpr_count 15
		.amdhsa_user_sgpr_dispatch_ptr 0
		.amdhsa_user_sgpr_queue_ptr 0
		.amdhsa_user_sgpr_kernarg_segment_ptr 1
		.amdhsa_user_sgpr_dispatch_id 0
		.amdhsa_user_sgpr_private_segment_size 0
		.amdhsa_wavefront_size32 1
		.amdhsa_uses_dynamic_stack 0
		.amdhsa_enable_private_segment 0
		.amdhsa_system_sgpr_workgroup_id_x 1
		.amdhsa_system_sgpr_workgroup_id_y 0
		.amdhsa_system_sgpr_workgroup_id_z 0
		.amdhsa_system_sgpr_workgroup_info 0
		.amdhsa_system_vgpr_workitem_id 0
		.amdhsa_next_free_vgpr 125
		.amdhsa_next_free_sgpr 16
		.amdhsa_reserve_vcc 1
		.amdhsa_float_round_mode_32 0
		.amdhsa_float_round_mode_16_64 0
		.amdhsa_float_denorm_mode_32 3
		.amdhsa_float_denorm_mode_16_64 3
		.amdhsa_dx10_clamp 1
		.amdhsa_ieee_mode 1
		.amdhsa_fp16_overflow 0
		.amdhsa_workgroup_processor_mode 1
		.amdhsa_memory_ordered 1
		.amdhsa_forward_progress 0
		.amdhsa_shared_vgpr_count 0
		.amdhsa_exception_fp_ieee_invalid_op 0
		.amdhsa_exception_fp_denorm_src 0
		.amdhsa_exception_fp_ieee_div_zero 0
		.amdhsa_exception_fp_ieee_overflow 0
		.amdhsa_exception_fp_ieee_underflow 0
		.amdhsa_exception_fp_ieee_inexact 0
		.amdhsa_exception_int_div_zero 0
	.end_amdhsa_kernel
	.section	.text._ZN9rocsparseL18bsrxmvn_4x4_kernelILj128ELj16E21rocsparse_complex_numIfEllfS2_S2_EEvT3_20rocsparse_direction_NS_24const_host_device_scalarIT1_EES3_PKS3_PKT2_SC_S9_PKT4_PKT5_S7_PT6_21rocsparse_index_base_b,"axG",@progbits,_ZN9rocsparseL18bsrxmvn_4x4_kernelILj128ELj16E21rocsparse_complex_numIfEllfS2_S2_EEvT3_20rocsparse_direction_NS_24const_host_device_scalarIT1_EES3_PKS3_PKT2_SC_S9_PKT4_PKT5_S7_PT6_21rocsparse_index_base_b,comdat
.Lfunc_end132:
	.size	_ZN9rocsparseL18bsrxmvn_4x4_kernelILj128ELj16E21rocsparse_complex_numIfEllfS2_S2_EEvT3_20rocsparse_direction_NS_24const_host_device_scalarIT1_EES3_PKS3_PKT2_SC_S9_PKT4_PKT5_S7_PT6_21rocsparse_index_base_b, .Lfunc_end132-_ZN9rocsparseL18bsrxmvn_4x4_kernelILj128ELj16E21rocsparse_complex_numIfEllfS2_S2_EEvT3_20rocsparse_direction_NS_24const_host_device_scalarIT1_EES3_PKS3_PKT2_SC_S9_PKT4_PKT5_S7_PT6_21rocsparse_index_base_b
                                        ; -- End function
	.section	.AMDGPU.csdata,"",@progbits
; Kernel info:
; codeLenInByte = 7276
; NumSgprs: 18
; NumVgprs: 125
; ScratchSize: 0
; MemoryBound: 0
; FloatMode: 240
; IeeeMode: 1
; LDSByteSize: 0 bytes/workgroup (compile time only)
; SGPRBlocks: 2
; VGPRBlocks: 15
; NumSGPRsForWavesPerEU: 18
; NumVGPRsForWavesPerEU: 125
; Occupancy: 10
; WaveLimiterHint : 1
; COMPUTE_PGM_RSRC2:SCRATCH_EN: 0
; COMPUTE_PGM_RSRC2:USER_SGPR: 15
; COMPUTE_PGM_RSRC2:TRAP_HANDLER: 0
; COMPUTE_PGM_RSRC2:TGID_X_EN: 1
; COMPUTE_PGM_RSRC2:TGID_Y_EN: 0
; COMPUTE_PGM_RSRC2:TGID_Z_EN: 0
; COMPUTE_PGM_RSRC2:TIDIG_COMP_CNT: 0
	.section	.text._ZN9rocsparseL18bsrxmvn_4x4_kernelILj128ELj32E21rocsparse_complex_numIfEllfS2_S2_EEvT3_20rocsparse_direction_NS_24const_host_device_scalarIT1_EES3_PKS3_PKT2_SC_S9_PKT4_PKT5_S7_PT6_21rocsparse_index_base_b,"axG",@progbits,_ZN9rocsparseL18bsrxmvn_4x4_kernelILj128ELj32E21rocsparse_complex_numIfEllfS2_S2_EEvT3_20rocsparse_direction_NS_24const_host_device_scalarIT1_EES3_PKS3_PKT2_SC_S9_PKT4_PKT5_S7_PT6_21rocsparse_index_base_b,comdat
	.globl	_ZN9rocsparseL18bsrxmvn_4x4_kernelILj128ELj32E21rocsparse_complex_numIfEllfS2_S2_EEvT3_20rocsparse_direction_NS_24const_host_device_scalarIT1_EES3_PKS3_PKT2_SC_S9_PKT4_PKT5_S7_PT6_21rocsparse_index_base_b ; -- Begin function _ZN9rocsparseL18bsrxmvn_4x4_kernelILj128ELj32E21rocsparse_complex_numIfEllfS2_S2_EEvT3_20rocsparse_direction_NS_24const_host_device_scalarIT1_EES3_PKS3_PKT2_SC_S9_PKT4_PKT5_S7_PT6_21rocsparse_index_base_b
	.p2align	8
	.type	_ZN9rocsparseL18bsrxmvn_4x4_kernelILj128ELj32E21rocsparse_complex_numIfEllfS2_S2_EEvT3_20rocsparse_direction_NS_24const_host_device_scalarIT1_EES3_PKS3_PKT2_SC_S9_PKT4_PKT5_S7_PT6_21rocsparse_index_base_b,@function
_ZN9rocsparseL18bsrxmvn_4x4_kernelILj128ELj32E21rocsparse_complex_numIfEllfS2_S2_EEvT3_20rocsparse_direction_NS_24const_host_device_scalarIT1_EES3_PKS3_PKT2_SC_S9_PKT4_PKT5_S7_PT6_21rocsparse_index_base_b: ; @_ZN9rocsparseL18bsrxmvn_4x4_kernelILj128ELj32E21rocsparse_complex_numIfEllfS2_S2_EEvT3_20rocsparse_direction_NS_24const_host_device_scalarIT1_EES3_PKS3_PKT2_SC_S9_PKT4_PKT5_S7_PT6_21rocsparse_index_base_b
; %bb.0:
	s_clause 0x2
	s_load_b64 s[12:13], s[0:1], 0x60
	s_load_b128 s[4:7], s[0:1], 0x10
	s_load_b64 s[2:3], s[0:1], 0x50
	s_waitcnt lgkmcnt(0)
	s_bitcmp1_b32 s13, 0
	v_mov_b32_e32 v22, s4
	s_cselect_b32 s8, -1, 0
	s_delay_alu instid0(SALU_CYCLE_1)
	s_and_b32 vcc_lo, exec_lo, s8
	s_xor_b32 s8, s8, -1
	s_cbranch_vccz .LBB133_14
; %bb.1:
	v_cndmask_b32_e64 v1, 0, 1, s8
	v_mov_b32_e32 v23, s5
	s_and_not1_b32 vcc_lo, exec_lo, s8
	s_cbranch_vccz .LBB133_15
.LBB133_2:
	s_delay_alu instid0(VALU_DEP_2)
	v_cmp_ne_u32_e32 vcc_lo, 1, v1
	v_mov_b32_e32 v20, s2
	s_cbranch_vccz .LBB133_16
.LBB133_3:
	v_cmp_ne_u32_e32 vcc_lo, 1, v1
	v_mov_b32_e32 v21, s3
	s_cbranch_vccnz .LBB133_5
.LBB133_4:
	v_dual_mov_b32 v1, s2 :: v_dual_mov_b32 v2, s3
	flat_load_b32 v21, v[1:2] offset:4
.LBB133_5:
	s_waitcnt vmcnt(0) lgkmcnt(0)
	v_cmp_eq_f32_e32 vcc_lo, 0, v22
	v_cmp_eq_f32_e64 s2, 0, v23
	s_delay_alu instid0(VALU_DEP_1)
	s_and_b32 s4, vcc_lo, s2
	s_mov_b32 s2, -1
	s_and_saveexec_b32 s3, s4
; %bb.6:
	v_cmp_neq_f32_e32 vcc_lo, 1.0, v20
	v_cmp_neq_f32_e64 s2, 0, v21
	s_delay_alu instid0(VALU_DEP_1) | instskip(NEXT) | instid1(SALU_CYCLE_1)
	s_or_b32 s2, vcc_lo, s2
	s_or_not1_b32 s2, s2, exec_lo
; %bb.7:
	s_or_b32 exec_lo, exec_lo, s3
	s_and_saveexec_b32 s3, s2
	s_cbranch_execz .LBB133_13
; %bb.8:
	s_load_b64 s[4:5], s[0:1], 0x20
	v_lshrrev_b32_e32 v1, 5, v0
	v_mov_b32_e32 v2, 0
	s_mov_b32 s8, 0
	s_delay_alu instid0(VALU_DEP_2)
	v_lshl_or_b32 v1, s15, 2, v1
	s_waitcnt lgkmcnt(0)
	s_cmp_lg_u64 s[4:5], 0
	s_cbranch_scc0 .LBB133_17
; %bb.9:
	s_delay_alu instid0(VALU_DEP_1) | instskip(SKIP_2) | instid1(SALU_CYCLE_1)
	v_cmp_gt_i64_e32 vcc_lo, s[6:7], v[1:2]
	s_mov_b32 s6, 0
                                        ; implicit-def: $vgpr8_vgpr9
	s_and_saveexec_b32 s2, vcc_lo
	s_xor_b32 s7, exec_lo, s2
                                        ; implicit-def: $sgpr2_sgpr3
	s_cbranch_execz .LBB133_11
; %bb.10:
	v_lshlrev_b64 v[3:4], 3, v[1:2]
	s_mov_b32 s8, exec_lo
	s_mov_b32 s3, 0
	s_delay_alu instid0(VALU_DEP_1) | instskip(NEXT) | instid1(VALU_DEP_2)
	v_add_co_u32 v3, vcc_lo, s4, v3
	v_add_co_ci_u32_e32 v4, vcc_lo, s5, v4, vcc_lo
	global_load_b64 v[3:4], v[3:4], off
	s_waitcnt vmcnt(0)
	v_sub_co_u32 v8, vcc_lo, v3, s12
	v_subrev_co_ci_u32_e32 v9, vcc_lo, 0, v4, vcc_lo
.LBB133_11:
	s_or_b32 exec_lo, exec_lo, s7
	s_delay_alu instid0(SALU_CYCLE_1)
	s_and_b32 vcc_lo, exec_lo, s6
	s_cbranch_vccnz .LBB133_18
.LBB133_12:
	s_and_b32 exec_lo, exec_lo, s8
	s_cbranch_execnz .LBB133_21
.LBB133_13:
	s_nop 0
	s_sendmsg sendmsg(MSG_DEALLOC_VGPRS)
	s_endpgm
.LBB133_14:
	v_dual_mov_b32 v1, s4 :: v_dual_mov_b32 v2, s5
	flat_load_b32 v22, v[1:2]
	v_cndmask_b32_e64 v1, 0, 1, s8
	v_mov_b32_e32 v23, s5
	s_and_not1_b32 vcc_lo, exec_lo, s8
	s_cbranch_vccnz .LBB133_2
.LBB133_15:
	v_dual_mov_b32 v2, s4 :: v_dual_mov_b32 v3, s5
	flat_load_b32 v23, v[2:3] offset:4
	v_cmp_ne_u32_e32 vcc_lo, 1, v1
	v_mov_b32_e32 v20, s2
	s_cbranch_vccnz .LBB133_3
.LBB133_16:
	v_dual_mov_b32 v2, s2 :: v_dual_mov_b32 v3, s3
	flat_load_b32 v20, v[2:3]
	v_cmp_ne_u32_e32 vcc_lo, 1, v1
	v_mov_b32_e32 v21, s3
	s_cbranch_vccz .LBB133_4
	s_branch .LBB133_5
.LBB133_17:
                                        ; implicit-def: $vgpr8_vgpr9
                                        ; implicit-def: $sgpr2_sgpr3
	s_cbranch_execz .LBB133_12
.LBB133_18:
	s_load_b64 s[2:3], s[0:1], 0x0
	s_mov_b32 s4, exec_lo
                                        ; implicit-def: $vgpr8_vgpr9
	s_waitcnt lgkmcnt(0)
	v_cmpx_gt_i64_e64 s[2:3], v[1:2]
                                        ; implicit-def: $sgpr2_sgpr3
; %bb.19:
	v_dual_mov_b32 v9, v2 :: v_dual_mov_b32 v8, v1
	s_mov_b32 s3, 0
	s_or_b32 s8, s8, exec_lo
; %bb.20:
	s_or_b32 exec_lo, exec_lo, s4
	s_delay_alu instid0(SALU_CYCLE_1)
	s_and_b32 exec_lo, exec_lo, s8
	s_cbranch_execz .LBB133_13
.LBB133_21:
	s_load_b256 s[4:11], s[0:1], 0x28
	v_lshlrev_b64 v[1:2], 3, v[8:9]
	v_dual_mov_b32 v25, 0 :: v_dual_and_b32 v24, 31, v0
	s_waitcnt lgkmcnt(0)
	s_delay_alu instid0(VALU_DEP_2) | instskip(NEXT) | instid1(VALU_DEP_3)
	v_add_co_u32 v3, vcc_lo, s4, v1
	v_add_co_ci_u32_e32 v4, vcc_lo, s5, v2, vcc_lo
	v_add_co_u32 v1, vcc_lo, s6, v1
	v_add_co_ci_u32_e32 v2, vcc_lo, s7, v2, vcc_lo
	s_delay_alu instid0(VALU_DEP_4)
	v_add_co_u32 v5, vcc_lo, v3, 8
	global_load_b64 v[6:7], v[3:4], off
	v_add_co_ci_u32_e32 v10, vcc_lo, 0, v4, vcc_lo
	s_cmp_eq_u64 s[6:7], 0
	s_clause 0x1
	s_load_b32 s6, s[0:1], 0x8
	s_load_b64 s[4:5], s[0:1], 0x48
	s_cselect_b32 vcc_lo, -1, 0
	v_dual_cndmask_b32 v2, v2, v10 :: v_dual_cndmask_b32 v1, v1, v5
	global_load_b64 v[2:3], v[1:2], off
	s_waitcnt lgkmcnt(0)
	s_cmp_eq_u32 s6, 1
	s_waitcnt vmcnt(1)
	v_sub_co_u32 v0, vcc_lo, v6, s12
	v_subrev_co_ci_u32_e32 v1, vcc_lo, s3, v7, vcc_lo
	s_delay_alu instid0(VALU_DEP_2) | instskip(NEXT) | instid1(VALU_DEP_2)
	v_add_co_u32 v0, vcc_lo, v0, v24
	v_add_co_ci_u32_e32 v1, vcc_lo, 0, v1, vcc_lo
	s_delay_alu instid0(VALU_DEP_1) | instskip(SKIP_3) | instid1(VALU_DEP_3)
	v_lshlrev_b64 v[4:5], 6, v[0:1]
	s_waitcnt vmcnt(0)
	v_sub_co_u32 v2, vcc_lo, v2, s12
	v_subrev_co_ci_u32_e32 v3, vcc_lo, s3, v3, vcc_lo
	v_add_co_u32 v4, vcc_lo, s10, v4
	s_delay_alu instid0(VALU_DEP_4) | instskip(NEXT) | instid1(VALU_DEP_3)
	v_add_co_ci_u32_e32 v5, vcc_lo, s11, v5, vcc_lo
	v_cmp_lt_i64_e64 s2, v[0:1], v[2:3]
	s_cbranch_scc1 .LBB133_33
; %bb.22:
	v_dual_mov_b32 v27, 0 :: v_dual_mov_b32 v28, 0
	v_dual_mov_b32 v29, 0 :: v_dual_mov_b32 v30, 0
	;; [unrolled: 1-line block ×3, first 2 shown]
	v_mov_b32_e32 v26, 0
	s_mov_b32 s6, 0
	s_and_saveexec_b32 s7, s2
	s_cbranch_execz .LBB133_32
; %bb.23:
	v_or_b32_e32 v10, 32, v24
	v_not_b32_e32 v13, v6
	v_not_b32_e32 v12, v7
	v_mov_b32_e32 v28, 0
	v_dual_mov_b32 v26, 0 :: v_dual_mov_b32 v31, 0
	v_sub_co_u32 v10, s10, v10, s12
	s_delay_alu instid0(VALU_DEP_1) | instskip(SKIP_1) | instid1(VALU_DEP_3)
	v_sub_co_ci_u32_e64 v11, null, 0, s3, s10
	v_sub_co_u32 v14, s10, s12, v24
	v_add_co_u32 v10, vcc_lo, v10, v6
	s_delay_alu instid0(VALU_DEP_3) | instskip(SKIP_2) | instid1(VALU_DEP_3)
	v_add_co_ci_u32_e32 v11, vcc_lo, v11, v7, vcc_lo
	v_sub_co_ci_u32_e64 v15, null, s3, 0, s10
	v_dual_mov_b32 v32, 0 :: v_dual_mov_b32 v27, 0
	v_cmp_gt_i64_e32 vcc_lo, v[10:11], v[2:3]
	v_dual_mov_b32 v30, 0 :: v_dual_mov_b32 v25, 0
	s_mov_b32 s11, 0
	s_mov_b32 s10, exec_lo
	v_mov_b32_e32 v29, 0
	v_dual_cndmask_b32 v11, v3, v11 :: v_dual_cndmask_b32 v10, v2, v10
	v_add_co_u32 v13, vcc_lo, v14, v13
	v_add_co_ci_u32_e32 v12, vcc_lo, v15, v12, vcc_lo
	s_delay_alu instid0(VALU_DEP_2) | instskip(NEXT) | instid1(VALU_DEP_2)
	v_add_co_u32 v14, vcc_lo, v13, v10
	v_add_co_ci_u32_e32 v15, vcc_lo, v12, v11, vcc_lo
	v_mov_b32_e32 v13, v1
	s_delay_alu instid0(VALU_DEP_3) | instskip(SKIP_1) | instid1(VALU_DEP_2)
	v_lshrrev_b32_e32 v10, 5, v14
	v_mov_b32_e32 v12, v0
	v_add_nc_u32_e32 v10, 1, v10
	s_delay_alu instid0(VALU_DEP_1) | instskip(SKIP_1) | instid1(VALU_DEP_2)
	v_dual_mov_b32 v11, v5 :: v_dual_and_b32 v16, 3, v10
	v_mov_b32_e32 v10, v4
	v_cmpx_ne_u32_e32 0, v16
	s_cbranch_execz .LBB133_27
; %bb.24:
	v_lshlrev_b64 v[10:11], 3, v[0:1]
	v_dual_mov_b32 v17, 0 :: v_dual_lshlrev_b32 v16, 3, v16
	v_dual_mov_b32 v13, v1 :: v_dual_mov_b32 v12, v0
	s_delay_alu instid0(VALU_DEP_2) | instskip(NEXT) | instid1(VALU_DEP_4)
	v_mov_b32_e32 v25, v17
	v_add_co_u32 v18, vcc_lo, s8, v10
	v_add_co_ci_u32_e32 v19, vcc_lo, s9, v11, vcc_lo
	v_dual_mov_b32 v11, v5 :: v_dual_mov_b32 v10, v4
	v_mov_b32_e32 v27, v17
	v_mov_b32_e32 v28, v17
	;; [unrolled: 1-line block ×7, first 2 shown]
.LBB133_25:                             ; =>This Inner Loop Header: Depth=1
	global_load_b64 v[49:50], v[18:19], off
	s_clause 0x3
	global_load_b128 v[33:36], v[10:11], off offset:48
	global_load_b128 v[37:40], v[10:11], off offset:32
	;; [unrolled: 1-line block ×3, first 2 shown]
	global_load_b128 v[45:48], v[10:11], off
	s_waitcnt vmcnt(4)
	v_sub_co_u32 v49, vcc_lo, v49, s12
	v_subrev_co_ci_u32_e32 v50, vcc_lo, s3, v50, vcc_lo
	s_delay_alu instid0(VALU_DEP_1) | instskip(NEXT) | instid1(VALU_DEP_1)
	v_lshlrev_b64 v[49:50], 5, v[49:50]
	v_add_co_u32 v53, vcc_lo, s4, v49
	s_delay_alu instid0(VALU_DEP_2)
	v_add_co_ci_u32_e32 v54, vcc_lo, s5, v50, vcc_lo
	v_add_co_u32 v10, vcc_lo, 0x800, v10
	v_add_co_ci_u32_e32 v11, vcc_lo, 0, v11, vcc_lo
	s_clause 0x1
	global_load_b128 v[49:52], v[53:54], off
	global_load_b128 v[53:56], v[53:54], off offset:16
	v_add_co_u32 v12, vcc_lo, v12, 32
	v_add_co_ci_u32_e32 v13, vcc_lo, 0, v13, vcc_lo
	v_add_co_u32 v16, vcc_lo, v16, -8
	v_add_co_ci_u32_e32 v17, vcc_lo, -1, v17, vcc_lo
	v_add_co_u32 v18, vcc_lo, 0x100, v18
	v_add_co_ci_u32_e32 v19, vcc_lo, 0, v19, vcc_lo
	s_delay_alu instid0(VALU_DEP_3) | instskip(SKIP_3) | instid1(VALU_DEP_1)
	v_cmp_eq_u64_e32 vcc_lo, 0, v[16:17]
	s_or_b32 s11, vcc_lo, s11
	s_waitcnt vmcnt(1)
	v_fmac_f32_e32 v26, v33, v49
	v_dual_fmac_f32 v27, v45, v49 :: v_dual_fmac_f32 v26, 0x80000000, v50
	s_delay_alu instid0(VALU_DEP_1) | instskip(NEXT) | instid1(VALU_DEP_1)
	v_dual_fmac_f32 v28, 0, v49 :: v_dual_fmac_f32 v27, 0x80000000, v50
	v_dual_fmac_f32 v25, 0, v49 :: v_dual_fmac_f32 v28, v41, v50
	s_delay_alu instid0(VALU_DEP_1) | instskip(SKIP_1) | instid1(VALU_DEP_4)
	v_dual_fmac_f32 v30, 0, v49 :: v_dual_fmac_f32 v25, v45, v50
	v_fmac_f32_e32 v29, v41, v49
	v_fmac_f32_e32 v27, v46, v51
	s_delay_alu instid0(VALU_DEP_4) | instskip(NEXT) | instid1(VALU_DEP_4)
	v_fmac_f32_e32 v28, 0, v51
	v_fmac_f32_e32 v30, v37, v50
	;; [unrolled: 1-line block ×3, first 2 shown]
	v_dual_fmac_f32 v29, 0x80000000, v50 :: v_dual_fmac_f32 v26, v34, v51
	s_delay_alu instid0(VALU_DEP_3) | instskip(NEXT) | instid1(VALU_DEP_3)
	v_dual_fmac_f32 v27, 0x80000000, v52 :: v_dual_fmac_f32 v30, 0, v51
	v_dual_fmac_f32 v32, 0, v49 :: v_dual_fmac_f32 v31, 0x80000000, v50
	v_fmac_f32_e32 v25, 0, v51
	s_delay_alu instid0(VALU_DEP_4) | instskip(NEXT) | instid1(VALU_DEP_3)
	v_dual_fmac_f32 v29, v42, v51 :: v_dual_fmac_f32 v26, 0x80000000, v52
	v_fmac_f32_e32 v32, v33, v50
	s_waitcnt vmcnt(0)
	v_dual_fmac_f32 v28, v42, v52 :: v_dual_fmac_f32 v27, v47, v53
	v_fmac_f32_e32 v25, v46, v52
	v_fmac_f32_e32 v30, v38, v52
	;; [unrolled: 1-line block ×3, first 2 shown]
	s_delay_alu instid0(VALU_DEP_4) | instskip(NEXT) | instid1(VALU_DEP_4)
	v_dual_fmac_f32 v31, v38, v51 :: v_dual_fmac_f32 v28, 0, v53
	v_fmac_f32_e32 v25, 0, v53
	s_delay_alu instid0(VALU_DEP_4) | instskip(NEXT) | instid1(VALU_DEP_4)
	v_dual_fmac_f32 v29, 0x80000000, v52 :: v_dual_fmac_f32 v30, 0, v53
	v_fmac_f32_e32 v32, v34, v52
	s_delay_alu instid0(VALU_DEP_4) | instskip(NEXT) | instid1(VALU_DEP_3)
	v_dual_fmac_f32 v31, 0x80000000, v52 :: v_dual_fmac_f32 v26, v35, v53
	v_fmac_f32_e32 v29, v43, v53
	s_delay_alu instid0(VALU_DEP_3) | instskip(SKIP_1) | instid1(VALU_DEP_4)
	v_dual_fmac_f32 v27, 0x80000000, v54 :: v_dual_fmac_f32 v32, 0, v53
	v_fmac_f32_e32 v28, v43, v54
	v_dual_fmac_f32 v31, v39, v53 :: v_dual_fmac_f32 v26, 0x80000000, v54
	s_delay_alu instid0(VALU_DEP_3) | instskip(NEXT) | instid1(VALU_DEP_3)
	v_fmac_f32_e32 v27, v48, v55
	v_dual_fmac_f32 v25, v47, v54 :: v_dual_fmac_f32 v28, 0, v55
	v_fmac_f32_e32 v30, v39, v54
	s_delay_alu instid0(VALU_DEP_4) | instskip(NEXT) | instid1(VALU_DEP_3)
	v_dual_fmac_f32 v31, 0x80000000, v54 :: v_dual_fmac_f32 v26, v36, v55
	v_fmac_f32_e32 v25, 0, v55
	s_delay_alu instid0(VALU_DEP_3) | instskip(NEXT) | instid1(VALU_DEP_3)
	v_dual_fmac_f32 v29, 0x80000000, v54 :: v_dual_fmac_f32 v30, 0, v55
	v_dual_fmac_f32 v32, v35, v54 :: v_dual_fmac_f32 v31, v40, v55
	s_delay_alu instid0(VALU_DEP_2) | instskip(NEXT) | instid1(VALU_DEP_2)
	v_dual_fmac_f32 v26, 0x80000000, v56 :: v_dual_fmac_f32 v29, v44, v55
	v_dual_fmac_f32 v27, 0x80000000, v56 :: v_dual_fmac_f32 v32, 0, v55
	v_fmac_f32_e32 v25, v48, v56
	v_fmac_f32_e32 v28, v44, v56
	s_delay_alu instid0(VALU_DEP_4)
	v_fmac_f32_e32 v29, 0x80000000, v56
	v_fmac_f32_e32 v31, 0x80000000, v56
	;; [unrolled: 1-line block ×4, first 2 shown]
	s_and_not1_b32 exec_lo, exec_lo, s11
	s_cbranch_execnz .LBB133_25
; %bb.26:
	s_or_b32 exec_lo, exec_lo, s11
.LBB133_27:
	s_delay_alu instid0(SALU_CYCLE_1) | instskip(NEXT) | instid1(SALU_CYCLE_1)
	s_or_b32 exec_lo, exec_lo, s10
	s_mov_b32 s10, exec_lo
	v_cmpx_lt_u64_e32 0x5f, v[14:15]
	s_cbranch_execz .LBB133_31
; %bb.28:
	v_lshlrev_b64 v[14:15], 3, v[12:13]
	s_mov_b32 s11, 0
	s_delay_alu instid0(VALU_DEP_1) | instskip(NEXT) | instid1(VALU_DEP_2)
	v_add_co_u32 v14, vcc_lo, v14, s8
	v_add_co_ci_u32_e32 v15, vcc_lo, s9, v15, vcc_lo
	s_delay_alu instid0(VALU_DEP_2) | instskip(NEXT) | instid1(VALU_DEP_2)
	v_add_co_u32 v14, vcc_lo, 0x200, v14
	v_add_co_ci_u32_e32 v15, vcc_lo, 0, v15, vcc_lo
.LBB133_29:                             ; =>This Inner Loop Header: Depth=1
	s_clause 0x3
	global_load_b64 v[93:94], v[14:15], off offset:-512
	global_load_b64 v[95:96], v[14:15], off offset:-256
	global_load_b64 v[97:98], v[14:15], off
	global_load_b64 v[99:100], v[14:15], off offset:256
	s_clause 0x3
	global_load_b128 v[16:19], v[10:11], off offset:48
	global_load_b128 v[33:36], v[10:11], off offset:32
	;; [unrolled: 1-line block ×3, first 2 shown]
	global_load_b128 v[41:44], v[10:11], off
	v_add_co_u32 v89, vcc_lo, 0x1000, v10
	v_add_co_ci_u32_e32 v90, vcc_lo, 0, v11, vcc_lo
	s_clause 0xb
	global_load_b128 v[45:48], v[10:11], off offset:2096
	global_load_b128 v[49:52], v[10:11], off offset:2080
	;; [unrolled: 1-line block ×6, first 2 shown]
	global_load_b128 v[69:72], v[89:90], off
	global_load_b128 v[73:76], v[89:90], off offset:16
	global_load_b128 v[77:80], v[89:90], off offset:2096
	;; [unrolled: 1-line block ×5, first 2 shown]
	s_waitcnt vmcnt(19)
	v_sub_co_u32 v93, vcc_lo, v93, s12
	v_subrev_co_ci_u32_e32 v94, vcc_lo, s3, v94, vcc_lo
	s_waitcnt vmcnt(18)
	v_sub_co_u32 v95, vcc_lo, v95, s12
	v_subrev_co_ci_u32_e32 v96, vcc_lo, s3, v96, vcc_lo
	s_waitcnt vmcnt(17)
	v_sub_co_u32 v97, vcc_lo, v97, s12
	v_lshlrev_b64 v[93:94], 5, v[93:94]
	v_subrev_co_ci_u32_e32 v98, vcc_lo, s3, v98, vcc_lo
	s_waitcnt vmcnt(16)
	v_sub_co_u32 v99, vcc_lo, v99, s12
	v_lshlrev_b64 v[95:96], 5, v[95:96]
	v_subrev_co_ci_u32_e32 v100, vcc_lo, s3, v100, vcc_lo
	v_lshlrev_b64 v[97:98], 5, v[97:98]
	v_add_co_u32 v101, vcc_lo, s4, v93
	v_add_co_ci_u32_e32 v102, vcc_lo, s5, v94, vcc_lo
	s_delay_alu instid0(VALU_DEP_4)
	v_lshlrev_b64 v[99:100], 5, v[99:100]
	v_add_co_u32 v105, vcc_lo, s4, v95
	v_add_co_ci_u32_e32 v106, vcc_lo, s5, v96, vcc_lo
	v_add_co_u32 v113, vcc_lo, s4, v97
	v_add_co_ci_u32_e32 v114, vcc_lo, s5, v98, vcc_lo
	;; [unrolled: 2-line block ×3, first 2 shown]
	s_clause 0x7
	global_load_b128 v[93:96], v[101:102], off
	global_load_b128 v[97:100], v[101:102], off offset:16
	global_load_b128 v[101:104], v[105:106], off
	global_load_b128 v[105:108], v[105:106], off offset:16
	;; [unrolled: 2-line block ×4, first 2 shown]
	v_add_co_u32 v12, vcc_lo, 0x80, v12
	v_add_co_ci_u32_e32 v13, vcc_lo, 0, v13, vcc_lo
	v_add_co_u32 v14, vcc_lo, 0x400, v14
	v_add_co_ci_u32_e32 v15, vcc_lo, 0, v15, vcc_lo
	;; [unrolled: 2-line block ×3, first 2 shown]
	v_cmp_ge_i64_e32 vcc_lo, v[12:13], v[2:3]
	s_or_b32 s11, vcc_lo, s11
	s_waitcnt vmcnt(7)
	v_fmac_f32_e32 v32, 0, v93
	s_delay_alu instid0(VALU_DEP_1) | instskip(NEXT) | instid1(VALU_DEP_1)
	v_dual_fmac_f32 v29, v37, v93 :: v_dual_fmac_f32 v32, v16, v94
	v_dual_fmac_f32 v26, v16, v93 :: v_dual_fmac_f32 v29, 0x80000000, v94
	s_delay_alu instid0(VALU_DEP_1) | instskip(NEXT) | instid1(VALU_DEP_1)
	v_dual_fmac_f32 v27, v41, v93 :: v_dual_fmac_f32 v26, 0x80000000, v94
	v_dual_fmac_f32 v28, 0, v93 :: v_dual_fmac_f32 v27, 0x80000000, v94
	;; [unrolled: 3-line block ×3, first 2 shown]
	v_fmac_f32_e32 v31, v33, v93
	s_delay_alu instid0(VALU_DEP_4) | instskip(NEXT) | instid1(VALU_DEP_4)
	v_fmac_f32_e32 v27, v42, v95
	v_fmac_f32_e32 v28, 0, v95
	s_delay_alu instid0(VALU_DEP_4) | instskip(NEXT) | instid1(VALU_DEP_4)
	v_dual_fmac_f32 v30, v33, v94 :: v_dual_fmac_f32 v25, 0, v95
	v_fmac_f32_e32 v31, 0x80000000, v94
	s_delay_alu instid0(VALU_DEP_4) | instskip(NEXT) | instid1(VALU_DEP_4)
	v_fmac_f32_e32 v27, 0x80000000, v96
	v_fmac_f32_e32 v28, v38, v96
	s_delay_alu instid0(VALU_DEP_4)
	v_dual_fmac_f32 v26, v17, v95 :: v_dual_fmac_f32 v25, v42, v96
	v_fmac_f32_e32 v29, v38, v95
	v_fmac_f32_e32 v30, 0, v95
	s_waitcnt vmcnt(6)
	v_fmac_f32_e32 v28, 0, v97
	v_fmac_f32_e32 v26, 0x80000000, v96
	v_dual_fmac_f32 v32, 0, v95 :: v_dual_fmac_f32 v29, 0x80000000, v96
	v_fmac_f32_e32 v31, v34, v95
	s_delay_alu instid0(VALU_DEP_4) | instskip(NEXT) | instid1(VALU_DEP_3)
	v_dual_fmac_f32 v25, 0, v97 :: v_dual_fmac_f32 v28, v39, v98
	v_fmac_f32_e32 v32, v17, v96
	v_dual_fmac_f32 v30, v34, v96 :: v_dual_fmac_f32 v27, v43, v97
	s_delay_alu instid0(VALU_DEP_4) | instskip(NEXT) | instid1(VALU_DEP_4)
	v_dual_fmac_f32 v31, 0x80000000, v96 :: v_dual_fmac_f32 v26, v18, v97
	v_fmac_f32_e32 v25, v43, v98
	v_fmac_f32_e32 v29, v39, v97
	s_delay_alu instid0(VALU_DEP_4) | instskip(NEXT) | instid1(VALU_DEP_4)
	v_dual_fmac_f32 v30, 0, v97 :: v_dual_fmac_f32 v27, 0x80000000, v98
	v_fmac_f32_e32 v26, 0x80000000, v98
	s_delay_alu instid0(VALU_DEP_3) | instskip(SKIP_1) | instid1(VALU_DEP_4)
	v_dual_fmac_f32 v32, 0, v97 :: v_dual_fmac_f32 v29, 0x80000000, v98
	v_fmac_f32_e32 v31, v35, v97
	v_dual_fmac_f32 v30, v35, v98 :: v_dual_fmac_f32 v27, v44, v99
	s_delay_alu instid0(VALU_DEP_3) | instskip(NEXT) | instid1(VALU_DEP_3)
	v_fmac_f32_e32 v32, v18, v98
	v_dual_fmac_f32 v28, 0, v99 :: v_dual_fmac_f32 v31, 0x80000000, v98
	v_fmac_f32_e32 v25, 0, v99
	s_delay_alu instid0(VALU_DEP_4) | instskip(NEXT) | instid1(VALU_DEP_3)
	v_dual_fmac_f32 v30, 0, v99 :: v_dual_fmac_f32 v27, 0x80000000, v100
	v_fmac_f32_e32 v28, v40, v100
	s_delay_alu instid0(VALU_DEP_3) | instskip(SKIP_3) | instid1(VALU_DEP_3)
	v_dual_fmac_f32 v26, v19, v99 :: v_dual_fmac_f32 v25, v44, v100
	v_fmac_f32_e32 v29, v40, v99
	s_waitcnt vmcnt(5)
	v_dual_fmac_f32 v30, v36, v100 :: v_dual_fmac_f32 v27, v57, v101
	v_fmac_f32_e32 v26, 0x80000000, v100
	s_delay_alu instid0(VALU_DEP_3) | instskip(SKIP_1) | instid1(VALU_DEP_2)
	v_dual_fmac_f32 v32, 0, v99 :: v_dual_fmac_f32 v29, 0x80000000, v100
	v_dual_fmac_f32 v31, v36, v99 :: v_dual_fmac_f32 v28, 0, v101
	;; [unrolled: 1-line block ×4, first 2 shown]
	s_delay_alu instid0(VALU_DEP_3) | instskip(SKIP_3) | instid1(VALU_DEP_4)
	v_dual_fmac_f32 v31, 0x80000000, v100 :: v_dual_fmac_f32 v26, v45, v101
	v_fmac_f32_e32 v29, v53, v101
	v_fmac_f32_e32 v28, v53, v102
	v_dual_fmac_f32 v32, 0, v101 :: v_dual_fmac_f32 v25, v57, v102
	v_fmac_f32_e32 v31, v49, v101
	v_dual_fmac_f32 v30, v49, v102 :: v_dual_fmac_f32 v27, v58, v103
	v_fmac_f32_e32 v26, 0x80000000, v102
	v_fmac_f32_e32 v29, 0x80000000, v102
	v_dual_fmac_f32 v32, v45, v102 :: v_dual_fmac_f32 v25, 0, v103
	v_dual_fmac_f32 v28, 0, v103 :: v_dual_fmac_f32 v31, 0x80000000, v102
	v_fmac_f32_e32 v30, 0, v103
	v_dual_fmac_f32 v26, v46, v103 :: v_dual_fmac_f32 v27, 0x80000000, v104
	v_fmac_f32_e32 v29, v54, v103
	v_dual_fmac_f32 v32, 0, v103 :: v_dual_fmac_f32 v25, v58, v104
	s_waitcnt vmcnt(4)
	s_delay_alu instid0(VALU_DEP_3) | instskip(SKIP_2) | instid1(VALU_DEP_3)
	v_dual_fmac_f32 v28, v54, v104 :: v_dual_fmac_f32 v27, v59, v105
	v_fmac_f32_e32 v30, v50, v104
	v_dual_fmac_f32 v31, v50, v103 :: v_dual_fmac_f32 v26, 0x80000000, v104
	v_fmac_f32_e32 v28, 0, v105
	v_fmac_f32_e32 v25, 0, v105
	s_delay_alu instid0(VALU_DEP_4) | instskip(SKIP_1) | instid1(VALU_DEP_4)
	v_dual_fmac_f32 v29, 0x80000000, v104 :: v_dual_fmac_f32 v30, 0, v105
	v_dual_fmac_f32 v32, v46, v104 :: v_dual_fmac_f32 v27, 0x80000000, v106
	v_fmac_f32_e32 v28, v55, v106
	s_delay_alu instid0(VALU_DEP_3) | instskip(SKIP_1) | instid1(VALU_DEP_4)
	v_fmac_f32_e32 v29, v55, v105
	v_dual_fmac_f32 v31, 0x80000000, v104 :: v_dual_fmac_f32 v26, v47, v105
	v_dual_fmac_f32 v32, 0, v105 :: v_dual_fmac_f32 v27, v60, v107
	s_delay_alu instid0(VALU_DEP_4) | instskip(SKIP_1) | instid1(VALU_DEP_4)
	v_dual_fmac_f32 v25, v59, v106 :: v_dual_fmac_f32 v28, 0, v107
	v_fmac_f32_e32 v30, v51, v106
	v_dual_fmac_f32 v31, v51, v105 :: v_dual_fmac_f32 v26, 0x80000000, v106
	s_delay_alu instid0(VALU_DEP_3) | instskip(NEXT) | instid1(VALU_DEP_3)
	v_fmac_f32_e32 v25, 0, v107
	v_dual_fmac_f32 v29, 0x80000000, v106 :: v_dual_fmac_f32 v30, 0, v107
	v_dual_fmac_f32 v32, v47, v106 :: v_dual_fmac_f32 v27, 0x80000000, v108
	v_fmac_f32_e32 v28, v56, v108
	s_delay_alu instid0(VALU_DEP_3)
	v_fmac_f32_e32 v29, v56, v107
	v_dual_fmac_f32 v31, 0x80000000, v106 :: v_dual_fmac_f32 v26, v48, v107
	s_waitcnt vmcnt(3)
	v_dual_fmac_f32 v32, 0, v107 :: v_dual_fmac_f32 v27, v69, v109
	v_dual_fmac_f32 v25, v60, v108 :: v_dual_fmac_f32 v28, 0, v109
	v_fmac_f32_e32 v30, v52, v108
	v_dual_fmac_f32 v31, v52, v107 :: v_dual_fmac_f32 v26, 0x80000000, v108
	s_delay_alu instid0(VALU_DEP_3) | instskip(NEXT) | instid1(VALU_DEP_3)
	v_fmac_f32_e32 v25, 0, v109
	v_dual_fmac_f32 v29, 0x80000000, v108 :: v_dual_fmac_f32 v30, 0, v109
	v_dual_fmac_f32 v32, v48, v108 :: v_dual_fmac_f32 v27, 0x80000000, v110
	v_fmac_f32_e32 v28, v73, v110
	s_delay_alu instid0(VALU_DEP_3) | instskip(SKIP_1) | instid1(VALU_DEP_4)
	v_fmac_f32_e32 v29, v73, v109
	v_dual_fmac_f32 v31, 0x80000000, v108 :: v_dual_fmac_f32 v26, v61, v109
	v_dual_fmac_f32 v32, 0, v109 :: v_dual_fmac_f32 v27, v70, v111
	s_delay_alu instid0(VALU_DEP_4) | instskip(SKIP_1) | instid1(VALU_DEP_4)
	v_dual_fmac_f32 v25, v69, v110 :: v_dual_fmac_f32 v28, 0, v111
	v_fmac_f32_e32 v30, v65, v110
	v_dual_fmac_f32 v31, v65, v109 :: v_dual_fmac_f32 v26, 0x80000000, v110
	s_delay_alu instid0(VALU_DEP_3) | instskip(NEXT) | instid1(VALU_DEP_3)
	v_fmac_f32_e32 v25, 0, v111
	v_dual_fmac_f32 v29, 0x80000000, v110 :: v_dual_fmac_f32 v30, 0, v111
	v_dual_fmac_f32 v32, v61, v110 :: v_dual_fmac_f32 v27, 0x80000000, v112
	v_fmac_f32_e32 v28, v74, v112
	s_delay_alu instid0(VALU_DEP_3)
	v_fmac_f32_e32 v29, v74, v111
	v_dual_fmac_f32 v31, 0x80000000, v110 :: v_dual_fmac_f32 v26, v62, v111
	s_waitcnt vmcnt(2)
	v_dual_fmac_f32 v32, 0, v111 :: v_dual_fmac_f32 v27, v71, v113
	v_dual_fmac_f32 v25, v70, v112 :: v_dual_fmac_f32 v28, 0, v113
	v_fmac_f32_e32 v30, v66, v112
	v_dual_fmac_f32 v31, v66, v111 :: v_dual_fmac_f32 v26, 0x80000000, v112
	s_delay_alu instid0(VALU_DEP_3) | instskip(NEXT) | instid1(VALU_DEP_3)
	v_fmac_f32_e32 v25, 0, v113
	v_dual_fmac_f32 v29, 0x80000000, v112 :: v_dual_fmac_f32 v30, 0, v113
	v_dual_fmac_f32 v32, v62, v112 :: v_dual_fmac_f32 v27, 0x80000000, v114
	v_fmac_f32_e32 v28, v75, v114
	s_delay_alu instid0(VALU_DEP_3) | instskip(SKIP_1) | instid1(VALU_DEP_4)
	v_fmac_f32_e32 v29, v75, v113
	v_dual_fmac_f32 v31, 0x80000000, v112 :: v_dual_fmac_f32 v26, v63, v113
	v_dual_fmac_f32 v32, 0, v113 :: v_dual_fmac_f32 v27, v72, v115
	s_delay_alu instid0(VALU_DEP_4) | instskip(SKIP_1) | instid1(VALU_DEP_4)
	v_dual_fmac_f32 v25, v71, v114 :: v_dual_fmac_f32 v28, 0, v115
	v_fmac_f32_e32 v30, v67, v114
	v_dual_fmac_f32 v31, v67, v113 :: v_dual_fmac_f32 v26, 0x80000000, v114
	s_delay_alu instid0(VALU_DEP_3) | instskip(NEXT) | instid1(VALU_DEP_3)
	v_fmac_f32_e32 v25, 0, v115
	v_dual_fmac_f32 v29, 0x80000000, v114 :: v_dual_fmac_f32 v30, 0, v115
	v_dual_fmac_f32 v32, v63, v114 :: v_dual_fmac_f32 v27, 0x80000000, v116
	v_fmac_f32_e32 v28, v76, v116
	s_delay_alu instid0(VALU_DEP_3)
	v_fmac_f32_e32 v29, v76, v115
	v_dual_fmac_f32 v31, 0x80000000, v114 :: v_dual_fmac_f32 v26, v64, v115
	s_waitcnt vmcnt(1)
	v_dual_fmac_f32 v32, 0, v115 :: v_dual_fmac_f32 v27, v89, v117
	v_dual_fmac_f32 v25, v72, v116 :: v_dual_fmac_f32 v28, 0, v117
	v_fmac_f32_e32 v30, v68, v116
	v_dual_fmac_f32 v31, v68, v115 :: v_dual_fmac_f32 v26, 0x80000000, v116
	s_delay_alu instid0(VALU_DEP_3) | instskip(NEXT) | instid1(VALU_DEP_3)
	v_fmac_f32_e32 v25, 0, v117
	v_dual_fmac_f32 v29, 0x80000000, v116 :: v_dual_fmac_f32 v30, 0, v117
	v_dual_fmac_f32 v32, v64, v116 :: v_dual_fmac_f32 v27, 0x80000000, v118
	v_fmac_f32_e32 v28, v85, v118
	s_delay_alu instid0(VALU_DEP_3) | instskip(SKIP_1) | instid1(VALU_DEP_4)
	v_fmac_f32_e32 v29, v85, v117
	v_dual_fmac_f32 v31, 0x80000000, v116 :: v_dual_fmac_f32 v26, v77, v117
	v_dual_fmac_f32 v32, 0, v117 :: v_dual_fmac_f32 v27, v90, v119
	s_delay_alu instid0(VALU_DEP_4) | instskip(SKIP_1) | instid1(VALU_DEP_4)
	v_dual_fmac_f32 v25, v89, v118 :: v_dual_fmac_f32 v28, 0, v119
	v_fmac_f32_e32 v30, v81, v118
	v_dual_fmac_f32 v31, v81, v117 :: v_dual_fmac_f32 v26, 0x80000000, v118
	s_delay_alu instid0(VALU_DEP_3) | instskip(NEXT) | instid1(VALU_DEP_3)
	v_fmac_f32_e32 v25, 0, v119
	v_dual_fmac_f32 v29, 0x80000000, v118 :: v_dual_fmac_f32 v30, 0, v119
	v_dual_fmac_f32 v32, v77, v118 :: v_dual_fmac_f32 v27, 0x80000000, v120
	v_fmac_f32_e32 v28, v86, v120
	s_delay_alu instid0(VALU_DEP_3)
	v_fmac_f32_e32 v29, v86, v119
	v_dual_fmac_f32 v31, 0x80000000, v118 :: v_dual_fmac_f32 v26, v78, v119
	s_waitcnt vmcnt(0)
	v_dual_fmac_f32 v32, 0, v119 :: v_dual_fmac_f32 v27, v91, v121
	v_dual_fmac_f32 v25, v90, v120 :: v_dual_fmac_f32 v28, 0, v121
	v_fmac_f32_e32 v30, v82, v120
	v_dual_fmac_f32 v31, v82, v119 :: v_dual_fmac_f32 v26, 0x80000000, v120
	s_delay_alu instid0(VALU_DEP_3) | instskip(NEXT) | instid1(VALU_DEP_3)
	v_fmac_f32_e32 v25, 0, v121
	v_dual_fmac_f32 v29, 0x80000000, v120 :: v_dual_fmac_f32 v30, 0, v121
	v_fmac_f32_e32 v32, v78, v120
	s_delay_alu instid0(VALU_DEP_4) | instskip(NEXT) | instid1(VALU_DEP_3)
	v_dual_fmac_f32 v31, 0x80000000, v120 :: v_dual_fmac_f32 v26, v79, v121
	v_fmac_f32_e32 v29, v87, v121
	s_delay_alu instid0(VALU_DEP_3) | instskip(SKIP_1) | instid1(VALU_DEP_4)
	v_dual_fmac_f32 v27, 0x80000000, v122 :: v_dual_fmac_f32 v32, 0, v121
	v_fmac_f32_e32 v28, v87, v122
	v_dual_fmac_f32 v31, v83, v121 :: v_dual_fmac_f32 v26, 0x80000000, v122
	s_delay_alu instid0(VALU_DEP_3) | instskip(NEXT) | instid1(VALU_DEP_3)
	v_fmac_f32_e32 v27, v92, v123
	v_dual_fmac_f32 v25, v91, v122 :: v_dual_fmac_f32 v28, 0, v123
	v_fmac_f32_e32 v30, v83, v122
	s_delay_alu instid0(VALU_DEP_4) | instskip(NEXT) | instid1(VALU_DEP_3)
	v_dual_fmac_f32 v31, 0x80000000, v122 :: v_dual_fmac_f32 v26, v80, v123
	v_fmac_f32_e32 v25, 0, v123
	s_delay_alu instid0(VALU_DEP_3) | instskip(NEXT) | instid1(VALU_DEP_3)
	v_dual_fmac_f32 v29, 0x80000000, v122 :: v_dual_fmac_f32 v30, 0, v123
	v_dual_fmac_f32 v32, v79, v122 :: v_dual_fmac_f32 v31, v84, v123
	s_delay_alu instid0(VALU_DEP_2) | instskip(NEXT) | instid1(VALU_DEP_2)
	v_dual_fmac_f32 v26, 0x80000000, v124 :: v_dual_fmac_f32 v29, v88, v123
	v_dual_fmac_f32 v27, 0x80000000, v124 :: v_dual_fmac_f32 v32, 0, v123
	v_fmac_f32_e32 v25, v92, v124
	v_fmac_f32_e32 v28, v88, v124
	s_delay_alu instid0(VALU_DEP_4)
	v_fmac_f32_e32 v29, 0x80000000, v124
	v_fmac_f32_e32 v31, 0x80000000, v124
	;; [unrolled: 1-line block ×4, first 2 shown]
	s_and_not1_b32 exec_lo, exec_lo, s11
	s_cbranch_execnz .LBB133_29
; %bb.30:
	s_or_b32 exec_lo, exec_lo, s11
.LBB133_31:
	s_delay_alu instid0(SALU_CYCLE_1)
	s_or_b32 exec_lo, exec_lo, s10
.LBB133_32:
	s_delay_alu instid0(SALU_CYCLE_1) | instskip(NEXT) | instid1(SALU_CYCLE_1)
	s_or_b32 exec_lo, exec_lo, s7
	s_and_not1_b32 vcc_lo, exec_lo, s6
	s_cbranch_vccz .LBB133_34
	s_branch .LBB133_45
.LBB133_33:
                                        ; implicit-def: $vgpr25
                                        ; implicit-def: $vgpr27
                                        ; implicit-def: $vgpr28
                                        ; implicit-def: $vgpr29
                                        ; implicit-def: $vgpr30
                                        ; implicit-def: $vgpr31
                                        ; implicit-def: $vgpr32
                                        ; implicit-def: $vgpr26
.LBB133_34:
	v_dual_mov_b32 v25, 0 :: v_dual_mov_b32 v28, 0
	v_dual_mov_b32 v27, 0 :: v_dual_mov_b32 v30, 0
	;; [unrolled: 1-line block ×4, first 2 shown]
	s_and_saveexec_b32 s6, s2
	s_cbranch_execz .LBB133_44
; %bb.35:
	v_or_b32_e32 v10, 32, v24
	v_dual_mov_b32 v26, 0 :: v_dual_mov_b32 v29, 0
	v_dual_mov_b32 v32, 0 :: v_dual_mov_b32 v27, 0
	s_delay_alu instid0(VALU_DEP_3) | instskip(NEXT) | instid1(VALU_DEP_1)
	v_sub_co_u32 v10, s2, v10, s12
	v_sub_co_ci_u32_e64 v11, null, 0, s3, s2
	v_sub_co_u32 v12, s2, s12, v24
	s_delay_alu instid0(VALU_DEP_3) | instskip(NEXT) | instid1(VALU_DEP_3)
	v_add_co_u32 v10, vcc_lo, v10, v6
	v_add_co_ci_u32_e32 v11, vcc_lo, v11, v7, vcc_lo
	v_not_b32_e32 v6, v6
	v_not_b32_e32 v7, v7
	v_sub_co_ci_u32_e64 v13, null, s3, 0, s2
	s_delay_alu instid0(VALU_DEP_4)
	v_cmp_gt_i64_e32 vcc_lo, v[10:11], v[2:3]
	v_mov_b32_e32 v30, 0
	v_mov_b32_e32 v28, 0
	s_mov_b32 s7, 0
	s_mov_b32 s2, exec_lo
	v_mov_b32_e32 v31, 0
	v_dual_cndmask_b32 v11, v3, v11 :: v_dual_cndmask_b32 v10, v2, v10
	v_add_co_u32 v6, vcc_lo, v12, v6
	v_add_co_ci_u32_e32 v7, vcc_lo, v13, v7, vcc_lo
	v_mov_b32_e32 v25, 0
	s_delay_alu instid0(VALU_DEP_3) | instskip(NEXT) | instid1(VALU_DEP_3)
	v_add_co_u32 v6, vcc_lo, v6, v10
	v_add_co_ci_u32_e32 v7, vcc_lo, v7, v11, vcc_lo
	s_delay_alu instid0(VALU_DEP_2) | instskip(NEXT) | instid1(VALU_DEP_1)
	v_lshrrev_b32_e32 v10, 5, v6
	v_add_nc_u32_e32 v10, 1, v10
	s_delay_alu instid0(VALU_DEP_1) | instskip(NEXT) | instid1(VALU_DEP_1)
	v_and_b32_e32 v10, 3, v10
	v_cmpx_ne_u32_e32 0, v10
	s_cbranch_execz .LBB133_39
; %bb.36:
	v_lshlrev_b64 v[12:13], 3, v[0:1]
	v_dual_mov_b32 v11, 0 :: v_dual_lshlrev_b32 v10, 3, v10
	s_delay_alu instid0(VALU_DEP_1) | instskip(NEXT) | instid1(VALU_DEP_3)
	v_mov_b32_e32 v25, v11
	v_add_co_u32 v12, vcc_lo, s8, v12
	s_delay_alu instid0(VALU_DEP_4)
	v_add_co_ci_u32_e32 v13, vcc_lo, s9, v13, vcc_lo
	v_mov_b32_e32 v27, v11
	v_mov_b32_e32 v28, v11
	;; [unrolled: 1-line block ×7, first 2 shown]
.LBB133_37:                             ; =>This Inner Loop Header: Depth=1
	global_load_b64 v[18:19], v[12:13], off
	s_clause 0x1
	global_load_b128 v[14:17], v[4:5], off offset:16
	global_load_b128 v[33:36], v[4:5], off
	s_waitcnt vmcnt(2)
	v_sub_co_u32 v18, vcc_lo, v18, s12
	v_subrev_co_ci_u32_e32 v19, vcc_lo, s3, v19, vcc_lo
	s_delay_alu instid0(VALU_DEP_1) | instskip(NEXT) | instid1(VALU_DEP_1)
	v_lshlrev_b64 v[18:19], 5, v[18:19]
	v_add_co_u32 v18, vcc_lo, s4, v18
	s_delay_alu instid0(VALU_DEP_2)
	v_add_co_ci_u32_e32 v19, vcc_lo, s5, v19, vcc_lo
	s_clause 0x1
	global_load_b128 v[37:40], v[18:19], off
	global_load_b128 v[41:44], v[18:19], off offset:16
	s_clause 0x1
	global_load_b128 v[45:48], v[4:5], off offset:32
	global_load_b128 v[49:52], v[4:5], off offset:48
	v_add_co_u32 v4, vcc_lo, 0x800, v4
	v_add_co_ci_u32_e32 v5, vcc_lo, 0, v5, vcc_lo
	v_add_co_u32 v0, vcc_lo, v0, 32
	v_add_co_ci_u32_e32 v1, vcc_lo, 0, v1, vcc_lo
	v_add_co_u32 v10, vcc_lo, v10, -8
	v_add_co_ci_u32_e32 v11, vcc_lo, -1, v11, vcc_lo
	v_add_co_u32 v12, vcc_lo, 0x100, v12
	v_add_co_ci_u32_e32 v13, vcc_lo, 0, v13, vcc_lo
	s_delay_alu instid0(VALU_DEP_3)
	v_cmp_eq_u64_e32 vcc_lo, 0, v[10:11]
	s_or_b32 s7, vcc_lo, s7
	s_waitcnt vmcnt(3)
	v_fmac_f32_e32 v28, 0, v37
	v_fmac_f32_e32 v27, v33, v37
	;; [unrolled: 1-line block ×7, first 2 shown]
	v_dual_fmac_f32 v31, v35, v37 :: v_dual_fmac_f32 v28, v34, v38
	v_fmac_f32_e32 v27, 0x80000000, v38
	v_fmac_f32_e32 v30, v35, v38
	s_delay_alu instid0(VALU_DEP_4)
	v_fmac_f32_e32 v32, v36, v38
	v_fmac_f32_e32 v25, v33, v38
	;; [unrolled: 1-line block ×4, first 2 shown]
	v_dual_fmac_f32 v29, 0x80000000, v38 :: v_dual_fmac_f32 v28, 0, v39
	v_fmac_f32_e32 v27, v14, v39
	v_fmac_f32_e32 v30, 0, v39
	v_fmac_f32_e32 v25, 0, v39
	v_fmac_f32_e32 v26, v17, v39
	v_fmac_f32_e32 v29, v15, v39
	v_fmac_f32_e32 v32, 0, v39
	v_dual_fmac_f32 v31, v16, v39 :: v_dual_fmac_f32 v28, v15, v40
	v_fmac_f32_e32 v27, 0x80000000, v40
	v_fmac_f32_e32 v30, v16, v40
	s_delay_alu instid0(VALU_DEP_4)
	v_fmac_f32_e32 v32, v17, v40
	v_fmac_f32_e32 v25, v14, v40
	v_fmac_f32_e32 v31, 0x80000000, v40
	v_fmac_f32_e32 v26, 0x80000000, v40
	s_waitcnt vmcnt(2)
	v_dual_fmac_f32 v29, 0x80000000, v40 :: v_dual_fmac_f32 v28, 0, v41
	s_waitcnt vmcnt(1)
	v_fmac_f32_e32 v27, v45, v41
	v_fmac_f32_e32 v30, 0, v41
	;; [unrolled: 1-line block ×6, first 2 shown]
	v_dual_fmac_f32 v31, v47, v41 :: v_dual_fmac_f32 v28, v46, v42
	v_fmac_f32_e32 v27, 0x80000000, v42
	v_fmac_f32_e32 v30, v47, v42
	s_delay_alu instid0(VALU_DEP_4)
	v_fmac_f32_e32 v32, v48, v42
	v_fmac_f32_e32 v25, v45, v42
	;; [unrolled: 1-line block ×4, first 2 shown]
	v_dual_fmac_f32 v29, 0x80000000, v42 :: v_dual_fmac_f32 v28, 0, v43
	s_waitcnt vmcnt(0)
	v_fmac_f32_e32 v27, v49, v43
	v_fmac_f32_e32 v30, 0, v43
	;; [unrolled: 1-line block ×6, first 2 shown]
	v_dual_fmac_f32 v31, v51, v43 :: v_dual_fmac_f32 v28, v50, v44
	v_fmac_f32_e32 v27, 0x80000000, v44
	v_fmac_f32_e32 v30, v51, v44
	s_delay_alu instid0(VALU_DEP_4)
	v_fmac_f32_e32 v32, v52, v44
	v_fmac_f32_e32 v25, v49, v44
	;; [unrolled: 1-line block ×5, first 2 shown]
	s_and_not1_b32 exec_lo, exec_lo, s7
	s_cbranch_execnz .LBB133_37
; %bb.38:
	s_or_b32 exec_lo, exec_lo, s7
.LBB133_39:
	s_delay_alu instid0(SALU_CYCLE_1) | instskip(NEXT) | instid1(SALU_CYCLE_1)
	s_or_b32 exec_lo, exec_lo, s2
	s_mov_b32 s2, exec_lo
	v_cmpx_lt_u64_e32 0x5f, v[6:7]
	s_cbranch_execz .LBB133_43
; %bb.40:
	v_lshlrev_b64 v[6:7], 3, v[0:1]
	s_mov_b32 s7, 0
	s_delay_alu instid0(VALU_DEP_1) | instskip(NEXT) | instid1(VALU_DEP_2)
	v_add_co_u32 v6, vcc_lo, v6, s8
	v_add_co_ci_u32_e32 v7, vcc_lo, s9, v7, vcc_lo
	s_delay_alu instid0(VALU_DEP_2) | instskip(NEXT) | instid1(VALU_DEP_2)
	v_add_co_u32 v6, vcc_lo, 0x200, v6
	v_add_co_ci_u32_e32 v7, vcc_lo, 0, v7, vcc_lo
.LBB133_41:                             ; =>This Inner Loop Header: Depth=1
	s_clause 0x3
	global_load_b64 v[10:11], v[6:7], off offset:-512
	global_load_b64 v[81:82], v[6:7], off offset:-256
	global_load_b64 v[83:84], v[6:7], off
	global_load_b64 v[85:86], v[6:7], off offset:256
	s_clause 0x3
	global_load_b128 v[12:15], v[4:5], off offset:48
	global_load_b128 v[16:19], v[4:5], off offset:32
	;; [unrolled: 1-line block ×3, first 2 shown]
	global_load_b128 v[37:40], v[4:5], off
	v_add_co_u32 v117, vcc_lo, 0x1000, v4
	v_add_co_ci_u32_e32 v118, vcc_lo, 0, v5, vcc_lo
	s_clause 0x9
	global_load_b128 v[41:44], v[4:5], off offset:2096
	global_load_b128 v[45:48], v[4:5], off offset:2080
	;; [unrolled: 1-line block ×6, first 2 shown]
	global_load_b128 v[65:68], v[117:118], off
	global_load_b128 v[69:72], v[117:118], off offset:16
	global_load_b128 v[73:76], v[117:118], off offset:2064
	;; [unrolled: 1-line block ×3, first 2 shown]
	s_waitcnt vmcnt(17)
	v_sub_co_u32 v10, vcc_lo, v10, s12
	v_subrev_co_ci_u32_e32 v11, vcc_lo, s3, v11, vcc_lo
	s_waitcnt vmcnt(16)
	v_sub_co_u32 v81, vcc_lo, v81, s12
	v_subrev_co_ci_u32_e32 v82, vcc_lo, s3, v82, vcc_lo
	s_waitcnt vmcnt(15)
	v_sub_co_u32 v83, vcc_lo, v83, s12
	v_lshlrev_b64 v[10:11], 5, v[10:11]
	v_subrev_co_ci_u32_e32 v84, vcc_lo, s3, v84, vcc_lo
	s_waitcnt vmcnt(14)
	v_sub_co_u32 v85, vcc_lo, v85, s12
	v_lshlrev_b64 v[81:82], 5, v[81:82]
	v_subrev_co_ci_u32_e32 v86, vcc_lo, s3, v86, vcc_lo
	v_lshlrev_b64 v[83:84], 5, v[83:84]
	v_add_co_u32 v10, vcc_lo, s4, v10
	v_add_co_ci_u32_e32 v11, vcc_lo, s5, v11, vcc_lo
	s_delay_alu instid0(VALU_DEP_4)
	v_lshlrev_b64 v[85:86], 5, v[85:86]
	v_add_co_u32 v93, vcc_lo, s4, v81
	v_add_co_ci_u32_e32 v94, vcc_lo, s5, v82, vcc_lo
	v_add_co_u32 v101, vcc_lo, s4, v83
	v_add_co_ci_u32_e32 v102, vcc_lo, s5, v84, vcc_lo
	;; [unrolled: 2-line block ×3, first 2 shown]
	s_clause 0x6
	global_load_b128 v[81:84], v[10:11], off
	global_load_b128 v[85:88], v[10:11], off offset:16
	global_load_b128 v[89:92], v[93:94], off
	global_load_b128 v[93:96], v[93:94], off offset:16
	;; [unrolled: 2-line block ×4, first 2 shown]
	global_load_b128 v[113:116], v[113:114], off offset:16
	global_load_b128 v[117:120], v[117:118], off offset:2096
	v_add_co_u32 v0, vcc_lo, 0x80, v0
	v_add_co_ci_u32_e32 v1, vcc_lo, 0, v1, vcc_lo
	v_add_co_u32 v6, vcc_lo, 0x400, v6
	v_add_co_ci_u32_e32 v7, vcc_lo, 0, v7, vcc_lo
	;; [unrolled: 2-line block ×3, first 2 shown]
	v_cmp_ge_i64_e32 vcc_lo, v[0:1], v[2:3]
	s_or_b32 s7, vcc_lo, s7
	s_waitcnt vmcnt(9)
	v_fmac_f32_e32 v30, 0, v81
	v_fmac_f32_e32 v25, 0, v81
	;; [unrolled: 1-line block ×7, first 2 shown]
	v_dual_fmac_f32 v28, 0, v81 :: v_dual_fmac_f32 v25, v37, v82
	v_dual_fmac_f32 v27, v37, v81 :: v_dual_fmac_f32 v32, v40, v82
	v_fmac_f32_e32 v29, 0x80000000, v82
	s_delay_alu instid0(VALU_DEP_3) | instskip(SKIP_1) | instid1(VALU_DEP_4)
	v_fmac_f32_e32 v28, v38, v82
	v_fmac_f32_e32 v26, 0x80000000, v82
	;; [unrolled: 1-line block ×3, first 2 shown]
	v_dual_fmac_f32 v31, 0x80000000, v82 :: v_dual_fmac_f32 v30, 0, v83
	v_fmac_f32_e32 v25, 0, v83
	v_fmac_f32_e32 v32, 0, v83
	;; [unrolled: 1-line block ×6, first 2 shown]
	v_dual_fmac_f32 v28, 0, v83 :: v_dual_fmac_f32 v25, v33, v84
	v_dual_fmac_f32 v27, v33, v83 :: v_dual_fmac_f32 v32, v36, v84
	v_fmac_f32_e32 v29, 0x80000000, v84
	s_delay_alu instid0(VALU_DEP_3) | instskip(SKIP_1) | instid1(VALU_DEP_4)
	v_fmac_f32_e32 v28, v34, v84
	v_fmac_f32_e32 v26, 0x80000000, v84
	v_fmac_f32_e32 v27, 0x80000000, v84
	s_waitcnt vmcnt(8)
	v_dual_fmac_f32 v31, 0x80000000, v84 :: v_dual_fmac_f32 v30, 0, v85
	v_fmac_f32_e32 v25, 0, v85
	v_fmac_f32_e32 v32, 0, v85
	v_fmac_f32_e32 v29, v17, v85
	v_fmac_f32_e32 v26, v19, v85
	v_fmac_f32_e32 v31, v18, v85
	v_fmac_f32_e32 v30, v18, v86
	v_dual_fmac_f32 v28, 0, v85 :: v_dual_fmac_f32 v25, v16, v86
	v_dual_fmac_f32 v27, v16, v85 :: v_dual_fmac_f32 v32, v19, v86
	v_fmac_f32_e32 v29, 0x80000000, v86
	s_delay_alu instid0(VALU_DEP_3) | instskip(SKIP_1) | instid1(VALU_DEP_4)
	v_fmac_f32_e32 v28, v17, v86
	v_fmac_f32_e32 v26, 0x80000000, v86
	;; [unrolled: 1-line block ×3, first 2 shown]
	v_dual_fmac_f32 v31, 0x80000000, v86 :: v_dual_fmac_f32 v30, 0, v87
	v_fmac_f32_e32 v25, 0, v87
	v_fmac_f32_e32 v32, 0, v87
	;; [unrolled: 1-line block ×6, first 2 shown]
	v_dual_fmac_f32 v28, 0, v87 :: v_dual_fmac_f32 v25, v12, v88
	v_dual_fmac_f32 v27, v12, v87 :: v_dual_fmac_f32 v32, v15, v88
	v_fmac_f32_e32 v29, 0x80000000, v88
	s_delay_alu instid0(VALU_DEP_3) | instskip(SKIP_1) | instid1(VALU_DEP_4)
	v_fmac_f32_e32 v28, v13, v88
	v_fmac_f32_e32 v26, 0x80000000, v88
	v_fmac_f32_e32 v27, 0x80000000, v88
	s_waitcnt vmcnt(7)
	v_dual_fmac_f32 v31, 0x80000000, v88 :: v_dual_fmac_f32 v30, 0, v89
	v_fmac_f32_e32 v25, 0, v89
	v_fmac_f32_e32 v28, 0, v89
	v_fmac_f32_e32 v27, v53, v89
	v_fmac_f32_e32 v26, v56, v89
	v_fmac_f32_e32 v29, v54, v89
	v_fmac_f32_e32 v32, 0, v89
	v_dual_fmac_f32 v31, v55, v89 :: v_dual_fmac_f32 v28, v54, v90
	v_fmac_f32_e32 v27, 0x80000000, v90
	v_fmac_f32_e32 v30, v55, v90
	s_delay_alu instid0(VALU_DEP_4)
	v_fmac_f32_e32 v32, v56, v90
	v_fmac_f32_e32 v25, v53, v90
	v_fmac_f32_e32 v31, 0x80000000, v90
	v_fmac_f32_e32 v26, 0x80000000, v90
	v_dual_fmac_f32 v29, 0x80000000, v90 :: v_dual_fmac_f32 v28, 0, v91
	v_fmac_f32_e32 v27, v49, v91
	v_fmac_f32_e32 v30, 0, v91
	v_fmac_f32_e32 v25, 0, v91
	v_fmac_f32_e32 v26, v52, v91
	v_fmac_f32_e32 v29, v50, v91
	v_fmac_f32_e32 v32, 0, v91
	v_dual_fmac_f32 v31, v51, v91 :: v_dual_fmac_f32 v28, v50, v92
	v_fmac_f32_e32 v27, 0x80000000, v92
	v_fmac_f32_e32 v30, v51, v92
	s_delay_alu instid0(VALU_DEP_4)
	v_fmac_f32_e32 v32, v52, v92
	v_fmac_f32_e32 v25, v49, v92
	v_fmac_f32_e32 v31, 0x80000000, v92
	v_fmac_f32_e32 v26, 0x80000000, v92
	s_waitcnt vmcnt(6)
	v_dual_fmac_f32 v29, 0x80000000, v92 :: v_dual_fmac_f32 v28, 0, v93
	v_fmac_f32_e32 v27, v45, v93
	v_fmac_f32_e32 v30, 0, v93
	v_fmac_f32_e32 v25, 0, v93
	v_fmac_f32_e32 v26, v48, v93
	v_fmac_f32_e32 v29, v46, v93
	v_fmac_f32_e32 v32, 0, v93
	v_dual_fmac_f32 v31, v47, v93 :: v_dual_fmac_f32 v28, v46, v94
	v_fmac_f32_e32 v27, 0x80000000, v94
	v_fmac_f32_e32 v30, v47, v94
	s_delay_alu instid0(VALU_DEP_4)
	v_fmac_f32_e32 v32, v48, v94
	v_fmac_f32_e32 v25, v45, v94
	v_fmac_f32_e32 v31, 0x80000000, v94
	v_fmac_f32_e32 v26, 0x80000000, v94
	v_dual_fmac_f32 v29, 0x80000000, v94 :: v_dual_fmac_f32 v28, 0, v95
	v_fmac_f32_e32 v27, v41, v95
	v_fmac_f32_e32 v30, 0, v95
	v_fmac_f32_e32 v25, 0, v95
	v_fmac_f32_e32 v26, v44, v95
	v_fmac_f32_e32 v29, v42, v95
	v_fmac_f32_e32 v32, 0, v95
	v_dual_fmac_f32 v31, v43, v95 :: v_dual_fmac_f32 v28, v42, v96
	v_fmac_f32_e32 v27, 0x80000000, v96
	v_fmac_f32_e32 v30, v43, v96
	s_delay_alu instid0(VALU_DEP_4)
	v_fmac_f32_e32 v32, v44, v96
	;; [unrolled: 31-line block ×5, first 2 shown]
	v_fmac_f32_e32 v25, v73, v108
	v_fmac_f32_e32 v31, 0x80000000, v108
	;; [unrolled: 1-line block ×3, first 2 shown]
	s_waitcnt vmcnt(1)
	v_dual_fmac_f32 v29, 0x80000000, v108 :: v_dual_fmac_f32 v28, 0, v113
	v_fmac_f32_e32 v27, v109, v113
	v_fmac_f32_e32 v30, 0, v113
	;; [unrolled: 1-line block ×6, first 2 shown]
	v_dual_fmac_f32 v31, v111, v113 :: v_dual_fmac_f32 v28, v110, v114
	v_fmac_f32_e32 v27, 0x80000000, v114
	v_fmac_f32_e32 v30, v111, v114
	s_delay_alu instid0(VALU_DEP_4)
	v_fmac_f32_e32 v32, v112, v114
	v_fmac_f32_e32 v25, v109, v114
	;; [unrolled: 1-line block ×4, first 2 shown]
	v_dual_fmac_f32 v29, 0x80000000, v114 :: v_dual_fmac_f32 v28, 0, v115
	s_waitcnt vmcnt(0)
	v_fmac_f32_e32 v27, v117, v115
	v_fmac_f32_e32 v30, 0, v115
	;; [unrolled: 1-line block ×6, first 2 shown]
	v_dual_fmac_f32 v31, v119, v115 :: v_dual_fmac_f32 v28, v118, v116
	v_fmac_f32_e32 v27, 0x80000000, v116
	v_fmac_f32_e32 v30, v119, v116
	s_delay_alu instid0(VALU_DEP_4)
	v_fmac_f32_e32 v32, v120, v116
	v_fmac_f32_e32 v25, v117, v116
	;; [unrolled: 1-line block ×5, first 2 shown]
	s_and_not1_b32 exec_lo, exec_lo, s7
	s_cbranch_execnz .LBB133_41
; %bb.42:
	s_or_b32 exec_lo, exec_lo, s7
.LBB133_43:
	s_delay_alu instid0(SALU_CYCLE_1)
	s_or_b32 exec_lo, exec_lo, s2
.LBB133_44:
	s_delay_alu instid0(SALU_CYCLE_1)
	s_or_b32 exec_lo, exec_lo, s6
.LBB133_45:
	v_mbcnt_lo_u32_b32 v0, -1, 0
	s_delay_alu instid0(VALU_DEP_1) | instskip(SKIP_2) | instid1(VALU_DEP_3)
	v_xor_b32_e32 v1, 16, v0
	v_xor_b32_e32 v11, 8, v0
	;; [unrolled: 1-line block ×3, first 2 shown]
	v_cmp_gt_i32_e32 vcc_lo, 32, v1
	v_cndmask_b32_e32 v1, v0, v1, vcc_lo
	s_delay_alu instid0(VALU_DEP_4) | instskip(NEXT) | instid1(VALU_DEP_2)
	v_cmp_gt_i32_e32 vcc_lo, 32, v11
	v_lshlrev_b32_e32 v1, 2, v1
	ds_bpermute_b32 v4, v1, v29
	s_waitcnt lgkmcnt(0)
	v_add_f32_e32 v4, v29, v4
	ds_bpermute_b32 v2, v1, v27
	ds_bpermute_b32 v6, v1, v31
	;; [unrolled: 1-line block ×3, first 2 shown]
	v_cndmask_b32_e32 v11, v0, v11, vcc_lo
	ds_bpermute_b32 v3, v1, v25
	ds_bpermute_b32 v5, v1, v28
	;; [unrolled: 1-line block ×4, first 2 shown]
	v_cmp_gt_i32_e32 vcc_lo, 32, v19
	s_waitcnt lgkmcnt(6)
	v_add_f32_e32 v2, v27, v2
	s_waitcnt lgkmcnt(5)
	v_dual_add_f32 v6, v31, v6 :: v_dual_lshlrev_b32 v11, 2, v11
	s_waitcnt lgkmcnt(4)
	v_add_f32_e32 v10, v26, v10
	ds_bpermute_b32 v12, v11, v2
	ds_bpermute_b32 v18, v11, v10
	s_waitcnt lgkmcnt(5)
	v_add_f32_e32 v3, v25, v3
	ds_bpermute_b32 v14, v11, v4
	ds_bpermute_b32 v16, v11, v6
	s_waitcnt lgkmcnt(4)
	v_add_f32_e32 v1, v32, v1
	v_add_f32_e32 v5, v28, v5
	;; [unrolled: 1-line block ×3, first 2 shown]
	s_waitcnt lgkmcnt(3)
	v_add_f32_e32 v2, v2, v12
	ds_bpermute_b32 v13, v11, v3
	s_waitcnt lgkmcnt(3)
	v_add_f32_e32 v10, v10, v18
	s_waitcnt lgkmcnt(2)
	v_add_f32_e32 v4, v4, v14
	v_cndmask_b32_e32 v19, v0, v19, vcc_lo
	ds_bpermute_b32 v17, v11, v7
	s_waitcnt lgkmcnt(2)
	v_add_f32_e32 v6, v6, v16
	ds_bpermute_b32 v15, v11, v5
	ds_bpermute_b32 v11, v11, v1
	v_lshlrev_b32_e32 v19, 2, v19
	s_waitcnt lgkmcnt(3)
	v_add_f32_e32 v3, v3, v13
	ds_bpermute_b32 v13, v19, v4
	s_waitcnt lgkmcnt(0)
	v_dual_add_f32 v4, v4, v13 :: v_dual_add_f32 v1, v1, v11
	ds_bpermute_b32 v11, v19, v2
	ds_bpermute_b32 v18, v19, v1
	s_waitcnt lgkmcnt(1)
	v_add_f32_e32 v2, v2, v11
	v_add_f32_e32 v5, v5, v15
	ds_bpermute_b32 v15, v19, v6
	v_add_f32_e32 v7, v7, v17
	ds_bpermute_b32 v17, v19, v10
	ds_bpermute_b32 v12, v19, v3
	;; [unrolled: 1-line block ×3, first 2 shown]
	s_waitcnt lgkmcnt(3)
	v_dual_add_f32 v11, v1, v18 :: v_dual_add_f32 v6, v6, v15
	ds_bpermute_b32 v16, v19, v7
	v_xor_b32_e32 v19, 2, v0
	s_waitcnt lgkmcnt(2)
	v_dual_add_f32 v10, v10, v17 :: v_dual_add_f32 v3, v3, v12
	s_delay_alu instid0(VALU_DEP_2) | instskip(SKIP_1) | instid1(VALU_DEP_1)
	v_cmp_gt_i32_e32 vcc_lo, 32, v19
	v_cndmask_b32_e32 v19, v0, v19, vcc_lo
	v_lshlrev_b32_e32 v19, 2, v19
	s_waitcnt lgkmcnt(0)
	v_add_f32_e32 v7, v7, v16
	ds_bpermute_b32 v15, v19, v6
	v_add_f32_e32 v5, v5, v14
	ds_bpermute_b32 v1, v19, v2
	ds_bpermute_b32 v12, v19, v3
	;; [unrolled: 1-line block ×7, first 2 shown]
	v_xor_b32_e32 v19, 1, v0
	s_delay_alu instid0(VALU_DEP_1) | instskip(SKIP_3) | instid1(VALU_DEP_2)
	v_cmp_gt_i32_e32 vcc_lo, 32, v19
	v_cndmask_b32_e32 v0, v0, v19, vcc_lo
	v_cmp_eq_u32_e32 vcc_lo, 31, v24
	s_waitcnt lgkmcnt(6)
	v_dual_add_f32 v0, v2, v1 :: v_dual_lshlrev_b32 v19, 2, v0
	s_waitcnt lgkmcnt(4)
	v_dual_add_f32 v1, v3, v12 :: v_dual_add_f32 v2, v4, v13
	s_waitcnt lgkmcnt(2)
	v_dual_add_f32 v4, v6, v15 :: v_dual_add_f32 v3, v5, v14
	;; [unrolled: 2-line block ×3, first 2 shown]
	s_waitcnt lgkmcnt(0)
	v_add_f32_e32 v7, v11, v18
	ds_bpermute_b32 v10, v19, v0
	ds_bpermute_b32 v11, v19, v1
	;; [unrolled: 1-line block ×8, first 2 shown]
	s_and_b32 exec_lo, exec_lo, vcc_lo
	s_cbranch_execz .LBB133_13
; %bb.46:
	s_load_b64 s[2:3], s[0:1], 0x58
	s_waitcnt lgkmcnt(0)
	v_add_f32_e32 v10, v0, v10
	v_dual_add_f32 v0, v1, v11 :: v_dual_add_f32 v1, v3, v13
	v_dual_add_f32 v11, v2, v12 :: v_dual_add_f32 v2, v5, v15
	;; [unrolled: 1-line block ×3, first 2 shown]
	v_add_f32_e32 v13, v6, v16
	s_delay_alu instid0(VALU_DEP_4)
	v_mul_f32_e64 v4, v0, -v23
	v_mul_f32_e64 v6, v1, -v23
	v_mul_f32_e32 v5, v0, v22
	v_mul_f32_e64 v0, v2, -v23
	v_mul_f32_e32 v7, v1, v22
	v_mul_f32_e32 v1, v2, v22
	v_mul_f32_e64 v2, v3, -v23
	v_mul_f32_e32 v3, v3, v22
	v_cmp_eq_f32_e32 vcc_lo, 0, v20
	v_cmp_eq_f32_e64 s0, 0, v21
	v_lshlrev_b64 v[8:9], 5, v[8:9]
	v_fmac_f32_e32 v2, v22, v13
	v_dual_fmac_f32 v6, v22, v11 :: v_dual_fmac_f32 v5, v23, v10
	v_fmac_f32_e32 v0, v22, v12
	v_dual_fmac_f32 v4, v22, v10 :: v_dual_fmac_f32 v7, v23, v11
	v_fmac_f32_e32 v1, v23, v12
	v_fmac_f32_e32 v3, v23, v13
	s_and_b32 s0, vcc_lo, s0
	s_delay_alu instid0(SALU_CYCLE_1) | instskip(NEXT) | instid1(SALU_CYCLE_1)
	s_and_saveexec_b32 s1, s0
	s_xor_b32 s0, exec_lo, s1
; %bb.47:
	v_add_co_u32 v8, vcc_lo, s2, v8
	v_add_co_ci_u32_e32 v9, vcc_lo, s3, v9, vcc_lo
                                        ; implicit-def: $vgpr20
                                        ; implicit-def: $vgpr21
	s_clause 0x1
	global_store_b128 v[8:9], v[4:7], off
	global_store_b128 v[8:9], v[0:3], off offset:16
                                        ; implicit-def: $vgpr4
                                        ; implicit-def: $vgpr8_vgpr9
                                        ; implicit-def: $vgpr0
; %bb.48:
	s_and_not1_saveexec_b32 s0, s0
	s_cbranch_execz .LBB133_13
; %bb.49:
	v_add_co_u32 v16, vcc_lo, s2, v8
	v_add_co_ci_u32_e32 v17, vcc_lo, s3, v9, vcc_lo
	s_clause 0x1
	global_load_b128 v[8:11], v[16:17], off
	global_load_b128 v[12:15], v[16:17], off offset:16
	s_waitcnt vmcnt(1)
	v_dual_fmac_f32 v4, v20, v8 :: v_dual_fmac_f32 v7, v21, v10
	v_dual_fmac_f32 v5, v21, v8 :: v_dual_fmac_f32 v6, v20, v10
	s_waitcnt vmcnt(0)
	v_dual_fmac_f32 v0, v20, v12 :: v_dual_fmac_f32 v3, v21, v14
	v_dual_fmac_f32 v1, v21, v12 :: v_dual_fmac_f32 v2, v20, v14
	v_fma_f32 v4, -v21, v9, v4
	v_fmac_f32_e32 v5, v20, v9
	v_fma_f32 v6, -v21, v11, v6
	v_fmac_f32_e32 v7, v20, v11
	;; [unrolled: 2-line block ×4, first 2 shown]
	s_clause 0x1
	global_store_b128 v[16:17], v[4:7], off
	global_store_b128 v[16:17], v[0:3], off offset:16
	s_nop 0
	s_sendmsg sendmsg(MSG_DEALLOC_VGPRS)
	s_endpgm
	.section	.rodata,"a",@progbits
	.p2align	6, 0x0
	.amdhsa_kernel _ZN9rocsparseL18bsrxmvn_4x4_kernelILj128ELj32E21rocsparse_complex_numIfEllfS2_S2_EEvT3_20rocsparse_direction_NS_24const_host_device_scalarIT1_EES3_PKS3_PKT2_SC_S9_PKT4_PKT5_S7_PT6_21rocsparse_index_base_b
		.amdhsa_group_segment_fixed_size 0
		.amdhsa_private_segment_fixed_size 0
		.amdhsa_kernarg_size 104
		.amdhsa_user_sgpr_count 15
		.amdhsa_user_sgpr_dispatch_ptr 0
		.amdhsa_user_sgpr_queue_ptr 0
		.amdhsa_user_sgpr_kernarg_segment_ptr 1
		.amdhsa_user_sgpr_dispatch_id 0
		.amdhsa_user_sgpr_private_segment_size 0
		.amdhsa_wavefront_size32 1
		.amdhsa_uses_dynamic_stack 0
		.amdhsa_enable_private_segment 0
		.amdhsa_system_sgpr_workgroup_id_x 1
		.amdhsa_system_sgpr_workgroup_id_y 0
		.amdhsa_system_sgpr_workgroup_id_z 0
		.amdhsa_system_sgpr_workgroup_info 0
		.amdhsa_system_vgpr_workitem_id 0
		.amdhsa_next_free_vgpr 125
		.amdhsa_next_free_sgpr 16
		.amdhsa_reserve_vcc 1
		.amdhsa_float_round_mode_32 0
		.amdhsa_float_round_mode_16_64 0
		.amdhsa_float_denorm_mode_32 3
		.amdhsa_float_denorm_mode_16_64 3
		.amdhsa_dx10_clamp 1
		.amdhsa_ieee_mode 1
		.amdhsa_fp16_overflow 0
		.amdhsa_workgroup_processor_mode 1
		.amdhsa_memory_ordered 1
		.amdhsa_forward_progress 0
		.amdhsa_shared_vgpr_count 0
		.amdhsa_exception_fp_ieee_invalid_op 0
		.amdhsa_exception_fp_denorm_src 0
		.amdhsa_exception_fp_ieee_div_zero 0
		.amdhsa_exception_fp_ieee_overflow 0
		.amdhsa_exception_fp_ieee_underflow 0
		.amdhsa_exception_fp_ieee_inexact 0
		.amdhsa_exception_int_div_zero 0
	.end_amdhsa_kernel
	.section	.text._ZN9rocsparseL18bsrxmvn_4x4_kernelILj128ELj32E21rocsparse_complex_numIfEllfS2_S2_EEvT3_20rocsparse_direction_NS_24const_host_device_scalarIT1_EES3_PKS3_PKT2_SC_S9_PKT4_PKT5_S7_PT6_21rocsparse_index_base_b,"axG",@progbits,_ZN9rocsparseL18bsrxmvn_4x4_kernelILj128ELj32E21rocsparse_complex_numIfEllfS2_S2_EEvT3_20rocsparse_direction_NS_24const_host_device_scalarIT1_EES3_PKS3_PKT2_SC_S9_PKT4_PKT5_S7_PT6_21rocsparse_index_base_b,comdat
.Lfunc_end133:
	.size	_ZN9rocsparseL18bsrxmvn_4x4_kernelILj128ELj32E21rocsparse_complex_numIfEllfS2_S2_EEvT3_20rocsparse_direction_NS_24const_host_device_scalarIT1_EES3_PKS3_PKT2_SC_S9_PKT4_PKT5_S7_PT6_21rocsparse_index_base_b, .Lfunc_end133-_ZN9rocsparseL18bsrxmvn_4x4_kernelILj128ELj32E21rocsparse_complex_numIfEllfS2_S2_EEvT3_20rocsparse_direction_NS_24const_host_device_scalarIT1_EES3_PKS3_PKT2_SC_S9_PKT4_PKT5_S7_PT6_21rocsparse_index_base_b
                                        ; -- End function
	.section	.AMDGPU.csdata,"",@progbits
; Kernel info:
; codeLenInByte = 7444
; NumSgprs: 18
; NumVgprs: 125
; ScratchSize: 0
; MemoryBound: 0
; FloatMode: 240
; IeeeMode: 1
; LDSByteSize: 0 bytes/workgroup (compile time only)
; SGPRBlocks: 2
; VGPRBlocks: 15
; NumSGPRsForWavesPerEU: 18
; NumVGPRsForWavesPerEU: 125
; Occupancy: 10
; WaveLimiterHint : 1
; COMPUTE_PGM_RSRC2:SCRATCH_EN: 0
; COMPUTE_PGM_RSRC2:USER_SGPR: 15
; COMPUTE_PGM_RSRC2:TRAP_HANDLER: 0
; COMPUTE_PGM_RSRC2:TGID_X_EN: 1
; COMPUTE_PGM_RSRC2:TGID_Y_EN: 0
; COMPUTE_PGM_RSRC2:TGID_Z_EN: 0
; COMPUTE_PGM_RSRC2:TIDIG_COMP_CNT: 0
	.section	.text._ZN9rocsparseL18bsrxmvn_4x4_kernelILj128ELj64E21rocsparse_complex_numIfEllfS2_S2_EEvT3_20rocsparse_direction_NS_24const_host_device_scalarIT1_EES3_PKS3_PKT2_SC_S9_PKT4_PKT5_S7_PT6_21rocsparse_index_base_b,"axG",@progbits,_ZN9rocsparseL18bsrxmvn_4x4_kernelILj128ELj64E21rocsparse_complex_numIfEllfS2_S2_EEvT3_20rocsparse_direction_NS_24const_host_device_scalarIT1_EES3_PKS3_PKT2_SC_S9_PKT4_PKT5_S7_PT6_21rocsparse_index_base_b,comdat
	.globl	_ZN9rocsparseL18bsrxmvn_4x4_kernelILj128ELj64E21rocsparse_complex_numIfEllfS2_S2_EEvT3_20rocsparse_direction_NS_24const_host_device_scalarIT1_EES3_PKS3_PKT2_SC_S9_PKT4_PKT5_S7_PT6_21rocsparse_index_base_b ; -- Begin function _ZN9rocsparseL18bsrxmvn_4x4_kernelILj128ELj64E21rocsparse_complex_numIfEllfS2_S2_EEvT3_20rocsparse_direction_NS_24const_host_device_scalarIT1_EES3_PKS3_PKT2_SC_S9_PKT4_PKT5_S7_PT6_21rocsparse_index_base_b
	.p2align	8
	.type	_ZN9rocsparseL18bsrxmvn_4x4_kernelILj128ELj64E21rocsparse_complex_numIfEllfS2_S2_EEvT3_20rocsparse_direction_NS_24const_host_device_scalarIT1_EES3_PKS3_PKT2_SC_S9_PKT4_PKT5_S7_PT6_21rocsparse_index_base_b,@function
_ZN9rocsparseL18bsrxmvn_4x4_kernelILj128ELj64E21rocsparse_complex_numIfEllfS2_S2_EEvT3_20rocsparse_direction_NS_24const_host_device_scalarIT1_EES3_PKS3_PKT2_SC_S9_PKT4_PKT5_S7_PT6_21rocsparse_index_base_b: ; @_ZN9rocsparseL18bsrxmvn_4x4_kernelILj128ELj64E21rocsparse_complex_numIfEllfS2_S2_EEvT3_20rocsparse_direction_NS_24const_host_device_scalarIT1_EES3_PKS3_PKT2_SC_S9_PKT4_PKT5_S7_PT6_21rocsparse_index_base_b
; %bb.0:
	s_clause 0x2
	s_load_b64 s[12:13], s[0:1], 0x60
	s_load_b128 s[4:7], s[0:1], 0x10
	s_load_b64 s[2:3], s[0:1], 0x50
	s_waitcnt lgkmcnt(0)
	s_bitcmp1_b32 s13, 0
	v_mov_b32_e32 v22, s4
	s_cselect_b32 s8, -1, 0
	s_delay_alu instid0(SALU_CYCLE_1)
	s_and_b32 vcc_lo, exec_lo, s8
	s_xor_b32 s8, s8, -1
	s_cbranch_vccz .LBB134_14
; %bb.1:
	v_cndmask_b32_e64 v1, 0, 1, s8
	v_mov_b32_e32 v23, s5
	s_and_not1_b32 vcc_lo, exec_lo, s8
	s_cbranch_vccz .LBB134_15
.LBB134_2:
	s_delay_alu instid0(VALU_DEP_2)
	v_cmp_ne_u32_e32 vcc_lo, 1, v1
	v_mov_b32_e32 v20, s2
	s_cbranch_vccz .LBB134_16
.LBB134_3:
	v_cmp_ne_u32_e32 vcc_lo, 1, v1
	v_mov_b32_e32 v21, s3
	s_cbranch_vccnz .LBB134_5
.LBB134_4:
	v_dual_mov_b32 v1, s2 :: v_dual_mov_b32 v2, s3
	flat_load_b32 v21, v[1:2] offset:4
.LBB134_5:
	s_waitcnt vmcnt(0) lgkmcnt(0)
	v_cmp_eq_f32_e32 vcc_lo, 0, v22
	v_cmp_eq_f32_e64 s2, 0, v23
	s_delay_alu instid0(VALU_DEP_1)
	s_and_b32 s4, vcc_lo, s2
	s_mov_b32 s2, -1
	s_and_saveexec_b32 s3, s4
; %bb.6:
	v_cmp_neq_f32_e32 vcc_lo, 1.0, v20
	v_cmp_neq_f32_e64 s2, 0, v21
	s_delay_alu instid0(VALU_DEP_1) | instskip(NEXT) | instid1(SALU_CYCLE_1)
	s_or_b32 s2, vcc_lo, s2
	s_or_not1_b32 s2, s2, exec_lo
; %bb.7:
	s_or_b32 exec_lo, exec_lo, s3
	s_and_saveexec_b32 s3, s2
	s_cbranch_execz .LBB134_13
; %bb.8:
	s_load_b64 s[4:5], s[0:1], 0x20
	v_lshrrev_b32_e32 v1, 6, v0
	v_mov_b32_e32 v2, 0
	s_mov_b32 s8, 0
	s_delay_alu instid0(VALU_DEP_2)
	v_lshl_or_b32 v1, s15, 1, v1
	s_waitcnt lgkmcnt(0)
	s_cmp_lg_u64 s[4:5], 0
	s_cbranch_scc0 .LBB134_17
; %bb.9:
	s_delay_alu instid0(VALU_DEP_1) | instskip(SKIP_2) | instid1(SALU_CYCLE_1)
	v_cmp_gt_i64_e32 vcc_lo, s[6:7], v[1:2]
	s_mov_b32 s6, 0
                                        ; implicit-def: $vgpr8_vgpr9
	s_and_saveexec_b32 s2, vcc_lo
	s_xor_b32 s7, exec_lo, s2
                                        ; implicit-def: $sgpr2_sgpr3
	s_cbranch_execz .LBB134_11
; %bb.10:
	v_lshlrev_b64 v[3:4], 3, v[1:2]
	s_mov_b32 s8, exec_lo
	s_mov_b32 s3, 0
	s_delay_alu instid0(VALU_DEP_1) | instskip(NEXT) | instid1(VALU_DEP_2)
	v_add_co_u32 v3, vcc_lo, s4, v3
	v_add_co_ci_u32_e32 v4, vcc_lo, s5, v4, vcc_lo
	global_load_b64 v[3:4], v[3:4], off
	s_waitcnt vmcnt(0)
	v_sub_co_u32 v8, vcc_lo, v3, s12
	v_subrev_co_ci_u32_e32 v9, vcc_lo, 0, v4, vcc_lo
.LBB134_11:
	s_or_b32 exec_lo, exec_lo, s7
	s_delay_alu instid0(SALU_CYCLE_1)
	s_and_b32 vcc_lo, exec_lo, s6
	s_cbranch_vccnz .LBB134_18
.LBB134_12:
	s_and_b32 exec_lo, exec_lo, s8
	s_cbranch_execnz .LBB134_21
.LBB134_13:
	s_nop 0
	s_sendmsg sendmsg(MSG_DEALLOC_VGPRS)
	s_endpgm
.LBB134_14:
	v_dual_mov_b32 v1, s4 :: v_dual_mov_b32 v2, s5
	flat_load_b32 v22, v[1:2]
	v_cndmask_b32_e64 v1, 0, 1, s8
	v_mov_b32_e32 v23, s5
	s_and_not1_b32 vcc_lo, exec_lo, s8
	s_cbranch_vccnz .LBB134_2
.LBB134_15:
	v_dual_mov_b32 v2, s4 :: v_dual_mov_b32 v3, s5
	flat_load_b32 v23, v[2:3] offset:4
	v_cmp_ne_u32_e32 vcc_lo, 1, v1
	v_mov_b32_e32 v20, s2
	s_cbranch_vccnz .LBB134_3
.LBB134_16:
	v_dual_mov_b32 v2, s2 :: v_dual_mov_b32 v3, s3
	flat_load_b32 v20, v[2:3]
	v_cmp_ne_u32_e32 vcc_lo, 1, v1
	v_mov_b32_e32 v21, s3
	s_cbranch_vccz .LBB134_4
	s_branch .LBB134_5
.LBB134_17:
                                        ; implicit-def: $vgpr8_vgpr9
                                        ; implicit-def: $sgpr2_sgpr3
	s_cbranch_execz .LBB134_12
.LBB134_18:
	s_load_b64 s[2:3], s[0:1], 0x0
	s_mov_b32 s4, exec_lo
                                        ; implicit-def: $vgpr8_vgpr9
	s_waitcnt lgkmcnt(0)
	v_cmpx_gt_i64_e64 s[2:3], v[1:2]
                                        ; implicit-def: $sgpr2_sgpr3
; %bb.19:
	v_dual_mov_b32 v9, v2 :: v_dual_mov_b32 v8, v1
	s_mov_b32 s3, 0
	s_or_b32 s8, s8, exec_lo
; %bb.20:
	s_or_b32 exec_lo, exec_lo, s4
	s_delay_alu instid0(SALU_CYCLE_1)
	s_and_b32 exec_lo, exec_lo, s8
	s_cbranch_execz .LBB134_13
.LBB134_21:
	s_load_b256 s[4:11], s[0:1], 0x28
	v_lshlrev_b64 v[1:2], 3, v[8:9]
	v_dual_mov_b32 v25, 0 :: v_dual_and_b32 v24, 63, v0
	s_waitcnt lgkmcnt(0)
	s_delay_alu instid0(VALU_DEP_2) | instskip(NEXT) | instid1(VALU_DEP_3)
	v_add_co_u32 v3, vcc_lo, s4, v1
	v_add_co_ci_u32_e32 v4, vcc_lo, s5, v2, vcc_lo
	v_add_co_u32 v1, vcc_lo, s6, v1
	v_add_co_ci_u32_e32 v2, vcc_lo, s7, v2, vcc_lo
	s_delay_alu instid0(VALU_DEP_4)
	v_add_co_u32 v5, vcc_lo, v3, 8
	global_load_b64 v[6:7], v[3:4], off
	v_add_co_ci_u32_e32 v10, vcc_lo, 0, v4, vcc_lo
	s_cmp_eq_u64 s[6:7], 0
	s_clause 0x1
	s_load_b32 s6, s[0:1], 0x8
	s_load_b64 s[4:5], s[0:1], 0x48
	s_cselect_b32 vcc_lo, -1, 0
	v_dual_cndmask_b32 v2, v2, v10 :: v_dual_cndmask_b32 v1, v1, v5
	global_load_b64 v[2:3], v[1:2], off
	s_waitcnt lgkmcnt(0)
	s_cmp_eq_u32 s6, 1
	s_waitcnt vmcnt(1)
	v_sub_co_u32 v0, vcc_lo, v6, s12
	v_subrev_co_ci_u32_e32 v1, vcc_lo, s3, v7, vcc_lo
	s_delay_alu instid0(VALU_DEP_2) | instskip(NEXT) | instid1(VALU_DEP_2)
	v_add_co_u32 v0, vcc_lo, v0, v24
	v_add_co_ci_u32_e32 v1, vcc_lo, 0, v1, vcc_lo
	s_delay_alu instid0(VALU_DEP_1) | instskip(SKIP_3) | instid1(VALU_DEP_3)
	v_lshlrev_b64 v[4:5], 6, v[0:1]
	s_waitcnt vmcnt(0)
	v_sub_co_u32 v2, vcc_lo, v2, s12
	v_subrev_co_ci_u32_e32 v3, vcc_lo, s3, v3, vcc_lo
	v_add_co_u32 v4, vcc_lo, s10, v4
	s_delay_alu instid0(VALU_DEP_4) | instskip(NEXT) | instid1(VALU_DEP_3)
	v_add_co_ci_u32_e32 v5, vcc_lo, s11, v5, vcc_lo
	v_cmp_lt_i64_e64 s2, v[0:1], v[2:3]
	s_cbranch_scc1 .LBB134_33
; %bb.22:
	v_dual_mov_b32 v27, 0 :: v_dual_mov_b32 v28, 0
	v_dual_mov_b32 v29, 0 :: v_dual_mov_b32 v30, 0
	;; [unrolled: 1-line block ×3, first 2 shown]
	v_mov_b32_e32 v26, 0
	s_mov_b32 s6, 0
	s_and_saveexec_b32 s7, s2
	s_cbranch_execz .LBB134_32
; %bb.23:
	v_or_b32_e32 v10, 64, v24
	v_not_b32_e32 v13, v6
	v_not_b32_e32 v12, v7
	v_mov_b32_e32 v28, 0
	v_dual_mov_b32 v26, 0 :: v_dual_mov_b32 v31, 0
	v_sub_co_u32 v10, s10, v10, s12
	s_delay_alu instid0(VALU_DEP_1) | instskip(SKIP_1) | instid1(VALU_DEP_3)
	v_sub_co_ci_u32_e64 v11, null, 0, s3, s10
	v_sub_co_u32 v14, s10, s12, v24
	v_add_co_u32 v10, vcc_lo, v10, v6
	s_delay_alu instid0(VALU_DEP_3) | instskip(SKIP_2) | instid1(VALU_DEP_3)
	v_add_co_ci_u32_e32 v11, vcc_lo, v11, v7, vcc_lo
	v_sub_co_ci_u32_e64 v15, null, s3, 0, s10
	v_dual_mov_b32 v32, 0 :: v_dual_mov_b32 v27, 0
	v_cmp_gt_i64_e32 vcc_lo, v[10:11], v[2:3]
	v_dual_mov_b32 v30, 0 :: v_dual_mov_b32 v25, 0
	s_mov_b32 s11, 0
	s_mov_b32 s10, exec_lo
	v_mov_b32_e32 v29, 0
	v_dual_cndmask_b32 v11, v3, v11 :: v_dual_cndmask_b32 v10, v2, v10
	v_add_co_u32 v13, vcc_lo, v14, v13
	v_add_co_ci_u32_e32 v12, vcc_lo, v15, v12, vcc_lo
	s_delay_alu instid0(VALU_DEP_2) | instskip(NEXT) | instid1(VALU_DEP_2)
	v_add_co_u32 v14, vcc_lo, v13, v10
	v_add_co_ci_u32_e32 v15, vcc_lo, v12, v11, vcc_lo
	v_mov_b32_e32 v13, v1
	s_delay_alu instid0(VALU_DEP_3) | instskip(SKIP_1) | instid1(VALU_DEP_2)
	v_lshrrev_b32_e32 v10, 6, v14
	v_mov_b32_e32 v12, v0
	v_add_nc_u32_e32 v10, 1, v10
	s_delay_alu instid0(VALU_DEP_1) | instskip(SKIP_1) | instid1(VALU_DEP_2)
	v_dual_mov_b32 v11, v5 :: v_dual_and_b32 v16, 3, v10
	v_mov_b32_e32 v10, v4
	v_cmpx_ne_u32_e32 0, v16
	s_cbranch_execz .LBB134_27
; %bb.24:
	v_lshlrev_b64 v[10:11], 3, v[0:1]
	v_dual_mov_b32 v17, 0 :: v_dual_lshlrev_b32 v16, 3, v16
	v_dual_mov_b32 v13, v1 :: v_dual_mov_b32 v12, v0
	s_delay_alu instid0(VALU_DEP_2) | instskip(NEXT) | instid1(VALU_DEP_4)
	v_mov_b32_e32 v25, v17
	v_add_co_u32 v18, vcc_lo, s8, v10
	v_add_co_ci_u32_e32 v19, vcc_lo, s9, v11, vcc_lo
	v_dual_mov_b32 v11, v5 :: v_dual_mov_b32 v10, v4
	v_mov_b32_e32 v27, v17
	v_mov_b32_e32 v28, v17
	;; [unrolled: 1-line block ×7, first 2 shown]
.LBB134_25:                             ; =>This Inner Loop Header: Depth=1
	global_load_b64 v[49:50], v[18:19], off
	s_clause 0x3
	global_load_b128 v[33:36], v[10:11], off offset:48
	global_load_b128 v[37:40], v[10:11], off offset:32
	;; [unrolled: 1-line block ×3, first 2 shown]
	global_load_b128 v[45:48], v[10:11], off
	s_waitcnt vmcnt(4)
	v_sub_co_u32 v49, vcc_lo, v49, s12
	v_subrev_co_ci_u32_e32 v50, vcc_lo, s3, v50, vcc_lo
	s_delay_alu instid0(VALU_DEP_1) | instskip(NEXT) | instid1(VALU_DEP_1)
	v_lshlrev_b64 v[49:50], 5, v[49:50]
	v_add_co_u32 v53, vcc_lo, s4, v49
	s_delay_alu instid0(VALU_DEP_2)
	v_add_co_ci_u32_e32 v54, vcc_lo, s5, v50, vcc_lo
	v_add_co_u32 v10, vcc_lo, 0x1000, v10
	v_add_co_ci_u32_e32 v11, vcc_lo, 0, v11, vcc_lo
	s_clause 0x1
	global_load_b128 v[49:52], v[53:54], off
	global_load_b128 v[53:56], v[53:54], off offset:16
	v_add_co_u32 v12, vcc_lo, v12, 64
	v_add_co_ci_u32_e32 v13, vcc_lo, 0, v13, vcc_lo
	v_add_co_u32 v16, vcc_lo, v16, -8
	v_add_co_ci_u32_e32 v17, vcc_lo, -1, v17, vcc_lo
	v_add_co_u32 v18, vcc_lo, 0x200, v18
	v_add_co_ci_u32_e32 v19, vcc_lo, 0, v19, vcc_lo
	s_delay_alu instid0(VALU_DEP_3) | instskip(SKIP_3) | instid1(VALU_DEP_1)
	v_cmp_eq_u64_e32 vcc_lo, 0, v[16:17]
	s_or_b32 s11, vcc_lo, s11
	s_waitcnt vmcnt(1)
	v_fmac_f32_e32 v26, v33, v49
	v_dual_fmac_f32 v27, v45, v49 :: v_dual_fmac_f32 v26, 0x80000000, v50
	s_delay_alu instid0(VALU_DEP_1) | instskip(NEXT) | instid1(VALU_DEP_1)
	v_dual_fmac_f32 v28, 0, v49 :: v_dual_fmac_f32 v27, 0x80000000, v50
	v_dual_fmac_f32 v25, 0, v49 :: v_dual_fmac_f32 v28, v41, v50
	s_delay_alu instid0(VALU_DEP_1) | instskip(SKIP_1) | instid1(VALU_DEP_4)
	v_dual_fmac_f32 v30, 0, v49 :: v_dual_fmac_f32 v25, v45, v50
	v_fmac_f32_e32 v29, v41, v49
	v_fmac_f32_e32 v27, v46, v51
	s_delay_alu instid0(VALU_DEP_4) | instskip(NEXT) | instid1(VALU_DEP_4)
	v_fmac_f32_e32 v28, 0, v51
	v_fmac_f32_e32 v30, v37, v50
	;; [unrolled: 1-line block ×3, first 2 shown]
	v_dual_fmac_f32 v29, 0x80000000, v50 :: v_dual_fmac_f32 v26, v34, v51
	s_delay_alu instid0(VALU_DEP_3) | instskip(NEXT) | instid1(VALU_DEP_3)
	v_dual_fmac_f32 v27, 0x80000000, v52 :: v_dual_fmac_f32 v30, 0, v51
	v_dual_fmac_f32 v32, 0, v49 :: v_dual_fmac_f32 v31, 0x80000000, v50
	v_fmac_f32_e32 v25, 0, v51
	s_delay_alu instid0(VALU_DEP_4) | instskip(NEXT) | instid1(VALU_DEP_3)
	v_dual_fmac_f32 v29, v42, v51 :: v_dual_fmac_f32 v26, 0x80000000, v52
	v_fmac_f32_e32 v32, v33, v50
	s_waitcnt vmcnt(0)
	v_dual_fmac_f32 v28, v42, v52 :: v_dual_fmac_f32 v27, v47, v53
	v_fmac_f32_e32 v25, v46, v52
	v_fmac_f32_e32 v30, v38, v52
	;; [unrolled: 1-line block ×3, first 2 shown]
	s_delay_alu instid0(VALU_DEP_4) | instskip(NEXT) | instid1(VALU_DEP_4)
	v_dual_fmac_f32 v31, v38, v51 :: v_dual_fmac_f32 v28, 0, v53
	v_fmac_f32_e32 v25, 0, v53
	s_delay_alu instid0(VALU_DEP_4) | instskip(NEXT) | instid1(VALU_DEP_4)
	v_dual_fmac_f32 v29, 0x80000000, v52 :: v_dual_fmac_f32 v30, 0, v53
	v_fmac_f32_e32 v32, v34, v52
	s_delay_alu instid0(VALU_DEP_4) | instskip(NEXT) | instid1(VALU_DEP_3)
	v_dual_fmac_f32 v31, 0x80000000, v52 :: v_dual_fmac_f32 v26, v35, v53
	v_fmac_f32_e32 v29, v43, v53
	s_delay_alu instid0(VALU_DEP_3) | instskip(SKIP_1) | instid1(VALU_DEP_4)
	v_dual_fmac_f32 v27, 0x80000000, v54 :: v_dual_fmac_f32 v32, 0, v53
	v_fmac_f32_e32 v28, v43, v54
	v_dual_fmac_f32 v31, v39, v53 :: v_dual_fmac_f32 v26, 0x80000000, v54
	s_delay_alu instid0(VALU_DEP_3) | instskip(NEXT) | instid1(VALU_DEP_3)
	v_fmac_f32_e32 v27, v48, v55
	v_dual_fmac_f32 v25, v47, v54 :: v_dual_fmac_f32 v28, 0, v55
	v_fmac_f32_e32 v30, v39, v54
	s_delay_alu instid0(VALU_DEP_4) | instskip(NEXT) | instid1(VALU_DEP_3)
	v_dual_fmac_f32 v31, 0x80000000, v54 :: v_dual_fmac_f32 v26, v36, v55
	v_fmac_f32_e32 v25, 0, v55
	s_delay_alu instid0(VALU_DEP_3) | instskip(NEXT) | instid1(VALU_DEP_3)
	v_dual_fmac_f32 v29, 0x80000000, v54 :: v_dual_fmac_f32 v30, 0, v55
	v_dual_fmac_f32 v32, v35, v54 :: v_dual_fmac_f32 v31, v40, v55
	s_delay_alu instid0(VALU_DEP_2) | instskip(NEXT) | instid1(VALU_DEP_2)
	v_dual_fmac_f32 v26, 0x80000000, v56 :: v_dual_fmac_f32 v29, v44, v55
	v_dual_fmac_f32 v27, 0x80000000, v56 :: v_dual_fmac_f32 v32, 0, v55
	v_fmac_f32_e32 v25, v48, v56
	v_fmac_f32_e32 v28, v44, v56
	s_delay_alu instid0(VALU_DEP_4)
	v_fmac_f32_e32 v29, 0x80000000, v56
	v_fmac_f32_e32 v31, 0x80000000, v56
	;; [unrolled: 1-line block ×4, first 2 shown]
	s_and_not1_b32 exec_lo, exec_lo, s11
	s_cbranch_execnz .LBB134_25
; %bb.26:
	s_or_b32 exec_lo, exec_lo, s11
.LBB134_27:
	s_delay_alu instid0(SALU_CYCLE_1) | instskip(NEXT) | instid1(SALU_CYCLE_1)
	s_or_b32 exec_lo, exec_lo, s10
	s_mov_b32 s10, exec_lo
	v_cmpx_lt_u64_e32 0xbf, v[14:15]
	s_cbranch_execz .LBB134_31
; %bb.28:
	v_lshlrev_b64 v[14:15], 3, v[12:13]
	s_mov_b32 s11, 0
	s_delay_alu instid0(VALU_DEP_1) | instskip(NEXT) | instid1(VALU_DEP_2)
	v_add_co_u32 v14, vcc_lo, v14, s8
	v_add_co_ci_u32_e32 v15, vcc_lo, s9, v15, vcc_lo
	s_delay_alu instid0(VALU_DEP_2) | instskip(NEXT) | instid1(VALU_DEP_2)
	v_add_co_u32 v14, vcc_lo, 0x400, v14
	v_add_co_ci_u32_e32 v15, vcc_lo, 0, v15, vcc_lo
.LBB134_29:                             ; =>This Inner Loop Header: Depth=1
	s_clause 0x3
	global_load_b64 v[93:94], v[14:15], off offset:-1024
	global_load_b64 v[95:96], v[14:15], off offset:-512
	global_load_b64 v[97:98], v[14:15], off
	global_load_b64 v[99:100], v[14:15], off offset:512
	s_clause 0x3
	global_load_b128 v[16:19], v[10:11], off offset:48
	global_load_b128 v[33:36], v[10:11], off offset:32
	;; [unrolled: 1-line block ×3, first 2 shown]
	global_load_b128 v[41:44], v[10:11], off
	v_add_co_u32 v53, vcc_lo, 0x1000, v10
	v_add_co_ci_u32_e32 v54, vcc_lo, 0, v11, vcc_lo
	v_add_co_u32 v61, vcc_lo, v10, 0x2000
	v_add_co_ci_u32_e32 v62, vcc_lo, 0, v11, vcc_lo
	;; [unrolled: 2-line block ×4, first 2 shown]
	s_clause 0xb
	global_load_b128 v[45:48], v[53:54], off offset:48
	global_load_b128 v[49:52], v[53:54], off offset:32
	;; [unrolled: 1-line block ×3, first 2 shown]
	global_load_b128 v[57:60], v[61:62], off offset:-4096
	global_load_b128 v[61:64], v[61:62], off
	global_load_b128 v[65:68], v[73:74], off offset:48
	global_load_b128 v[69:72], v[73:74], off offset:32
	;; [unrolled: 1-line block ×5, first 2 shown]
	global_load_b128 v[85:88], v[89:90], off
	global_load_b128 v[89:92], v[89:90], off offset:16
	s_waitcnt vmcnt(19)
	v_sub_co_u32 v93, vcc_lo, v93, s12
	v_subrev_co_ci_u32_e32 v94, vcc_lo, s3, v94, vcc_lo
	s_waitcnt vmcnt(18)
	v_sub_co_u32 v95, vcc_lo, v95, s12
	v_subrev_co_ci_u32_e32 v96, vcc_lo, s3, v96, vcc_lo
	s_waitcnt vmcnt(17)
	v_sub_co_u32 v97, vcc_lo, v97, s12
	v_lshlrev_b64 v[93:94], 5, v[93:94]
	v_subrev_co_ci_u32_e32 v98, vcc_lo, s3, v98, vcc_lo
	s_waitcnt vmcnt(16)
	v_sub_co_u32 v99, vcc_lo, v99, s12
	v_lshlrev_b64 v[95:96], 5, v[95:96]
	v_subrev_co_ci_u32_e32 v100, vcc_lo, s3, v100, vcc_lo
	v_lshlrev_b64 v[97:98], 5, v[97:98]
	v_add_co_u32 v101, vcc_lo, s4, v93
	v_add_co_ci_u32_e32 v102, vcc_lo, s5, v94, vcc_lo
	s_delay_alu instid0(VALU_DEP_4)
	v_lshlrev_b64 v[99:100], 5, v[99:100]
	v_add_co_u32 v105, vcc_lo, s4, v95
	v_add_co_ci_u32_e32 v106, vcc_lo, s5, v96, vcc_lo
	v_add_co_u32 v113, vcc_lo, s4, v97
	v_add_co_ci_u32_e32 v114, vcc_lo, s5, v98, vcc_lo
	;; [unrolled: 2-line block ×3, first 2 shown]
	s_clause 0x7
	global_load_b128 v[93:96], v[101:102], off
	global_load_b128 v[97:100], v[101:102], off offset:16
	global_load_b128 v[101:104], v[105:106], off
	global_load_b128 v[105:108], v[105:106], off offset:16
	;; [unrolled: 2-line block ×4, first 2 shown]
	v_add_co_u32 v12, vcc_lo, 0x100, v12
	v_add_co_ci_u32_e32 v13, vcc_lo, 0, v13, vcc_lo
	v_add_co_u32 v14, vcc_lo, 0x800, v14
	v_add_co_ci_u32_e32 v15, vcc_lo, 0, v15, vcc_lo
	;; [unrolled: 2-line block ×3, first 2 shown]
	v_cmp_ge_i64_e32 vcc_lo, v[12:13], v[2:3]
	s_or_b32 s11, vcc_lo, s11
	s_waitcnt vmcnt(7)
	v_fmac_f32_e32 v32, 0, v93
	s_delay_alu instid0(VALU_DEP_1) | instskip(NEXT) | instid1(VALU_DEP_1)
	v_dual_fmac_f32 v29, v37, v93 :: v_dual_fmac_f32 v32, v16, v94
	v_dual_fmac_f32 v26, v16, v93 :: v_dual_fmac_f32 v29, 0x80000000, v94
	s_delay_alu instid0(VALU_DEP_1) | instskip(NEXT) | instid1(VALU_DEP_1)
	v_dual_fmac_f32 v27, v41, v93 :: v_dual_fmac_f32 v26, 0x80000000, v94
	v_dual_fmac_f32 v28, 0, v93 :: v_dual_fmac_f32 v27, 0x80000000, v94
	;; [unrolled: 3-line block ×3, first 2 shown]
	v_fmac_f32_e32 v31, v33, v93
	s_delay_alu instid0(VALU_DEP_4) | instskip(NEXT) | instid1(VALU_DEP_4)
	v_fmac_f32_e32 v27, v42, v95
	v_fmac_f32_e32 v28, 0, v95
	s_delay_alu instid0(VALU_DEP_4) | instskip(NEXT) | instid1(VALU_DEP_4)
	v_dual_fmac_f32 v30, v33, v94 :: v_dual_fmac_f32 v25, 0, v95
	v_fmac_f32_e32 v31, 0x80000000, v94
	s_delay_alu instid0(VALU_DEP_4) | instskip(NEXT) | instid1(VALU_DEP_4)
	v_fmac_f32_e32 v27, 0x80000000, v96
	v_fmac_f32_e32 v28, v38, v96
	s_delay_alu instid0(VALU_DEP_4)
	v_dual_fmac_f32 v26, v17, v95 :: v_dual_fmac_f32 v25, v42, v96
	v_fmac_f32_e32 v29, v38, v95
	v_fmac_f32_e32 v30, 0, v95
	s_waitcnt vmcnt(6)
	v_fmac_f32_e32 v28, 0, v97
	v_fmac_f32_e32 v26, 0x80000000, v96
	v_dual_fmac_f32 v32, 0, v95 :: v_dual_fmac_f32 v29, 0x80000000, v96
	v_fmac_f32_e32 v31, v34, v95
	s_delay_alu instid0(VALU_DEP_4) | instskip(NEXT) | instid1(VALU_DEP_3)
	v_dual_fmac_f32 v25, 0, v97 :: v_dual_fmac_f32 v28, v39, v98
	v_fmac_f32_e32 v32, v17, v96
	v_dual_fmac_f32 v30, v34, v96 :: v_dual_fmac_f32 v27, v43, v97
	s_delay_alu instid0(VALU_DEP_4) | instskip(NEXT) | instid1(VALU_DEP_4)
	v_dual_fmac_f32 v31, 0x80000000, v96 :: v_dual_fmac_f32 v26, v18, v97
	v_fmac_f32_e32 v25, v43, v98
	v_fmac_f32_e32 v29, v39, v97
	s_delay_alu instid0(VALU_DEP_4) | instskip(NEXT) | instid1(VALU_DEP_4)
	v_dual_fmac_f32 v30, 0, v97 :: v_dual_fmac_f32 v27, 0x80000000, v98
	v_fmac_f32_e32 v26, 0x80000000, v98
	s_delay_alu instid0(VALU_DEP_3) | instskip(SKIP_1) | instid1(VALU_DEP_4)
	v_dual_fmac_f32 v32, 0, v97 :: v_dual_fmac_f32 v29, 0x80000000, v98
	v_fmac_f32_e32 v31, v35, v97
	v_dual_fmac_f32 v30, v35, v98 :: v_dual_fmac_f32 v27, v44, v99
	s_delay_alu instid0(VALU_DEP_3) | instskip(NEXT) | instid1(VALU_DEP_3)
	v_fmac_f32_e32 v32, v18, v98
	v_dual_fmac_f32 v28, 0, v99 :: v_dual_fmac_f32 v31, 0x80000000, v98
	v_fmac_f32_e32 v25, 0, v99
	s_delay_alu instid0(VALU_DEP_4) | instskip(NEXT) | instid1(VALU_DEP_3)
	v_dual_fmac_f32 v30, 0, v99 :: v_dual_fmac_f32 v27, 0x80000000, v100
	v_fmac_f32_e32 v28, v40, v100
	s_delay_alu instid0(VALU_DEP_3) | instskip(SKIP_3) | instid1(VALU_DEP_3)
	v_dual_fmac_f32 v26, v19, v99 :: v_dual_fmac_f32 v25, v44, v100
	v_fmac_f32_e32 v29, v40, v99
	s_waitcnt vmcnt(5)
	v_dual_fmac_f32 v30, v36, v100 :: v_dual_fmac_f32 v27, v57, v101
	v_fmac_f32_e32 v26, 0x80000000, v100
	s_delay_alu instid0(VALU_DEP_3) | instskip(SKIP_1) | instid1(VALU_DEP_2)
	v_dual_fmac_f32 v32, 0, v99 :: v_dual_fmac_f32 v29, 0x80000000, v100
	v_dual_fmac_f32 v31, v36, v99 :: v_dual_fmac_f32 v28, 0, v101
	;; [unrolled: 1-line block ×4, first 2 shown]
	s_delay_alu instid0(VALU_DEP_3) | instskip(SKIP_3) | instid1(VALU_DEP_4)
	v_dual_fmac_f32 v31, 0x80000000, v100 :: v_dual_fmac_f32 v26, v45, v101
	v_fmac_f32_e32 v29, v53, v101
	v_fmac_f32_e32 v28, v53, v102
	v_dual_fmac_f32 v32, 0, v101 :: v_dual_fmac_f32 v25, v57, v102
	v_fmac_f32_e32 v31, v49, v101
	v_dual_fmac_f32 v30, v49, v102 :: v_dual_fmac_f32 v27, v58, v103
	v_fmac_f32_e32 v26, 0x80000000, v102
	v_fmac_f32_e32 v29, 0x80000000, v102
	v_dual_fmac_f32 v32, v45, v102 :: v_dual_fmac_f32 v25, 0, v103
	v_dual_fmac_f32 v28, 0, v103 :: v_dual_fmac_f32 v31, 0x80000000, v102
	v_fmac_f32_e32 v30, 0, v103
	v_dual_fmac_f32 v26, v46, v103 :: v_dual_fmac_f32 v27, 0x80000000, v104
	v_fmac_f32_e32 v29, v54, v103
	v_dual_fmac_f32 v32, 0, v103 :: v_dual_fmac_f32 v25, v58, v104
	s_waitcnt vmcnt(4)
	s_delay_alu instid0(VALU_DEP_3) | instskip(SKIP_2) | instid1(VALU_DEP_3)
	v_dual_fmac_f32 v28, v54, v104 :: v_dual_fmac_f32 v27, v59, v105
	v_fmac_f32_e32 v30, v50, v104
	v_dual_fmac_f32 v31, v50, v103 :: v_dual_fmac_f32 v26, 0x80000000, v104
	v_fmac_f32_e32 v28, 0, v105
	v_fmac_f32_e32 v25, 0, v105
	s_delay_alu instid0(VALU_DEP_4) | instskip(SKIP_1) | instid1(VALU_DEP_4)
	v_dual_fmac_f32 v29, 0x80000000, v104 :: v_dual_fmac_f32 v30, 0, v105
	v_dual_fmac_f32 v32, v46, v104 :: v_dual_fmac_f32 v27, 0x80000000, v106
	v_fmac_f32_e32 v28, v55, v106
	s_delay_alu instid0(VALU_DEP_3) | instskip(SKIP_1) | instid1(VALU_DEP_4)
	v_fmac_f32_e32 v29, v55, v105
	v_dual_fmac_f32 v31, 0x80000000, v104 :: v_dual_fmac_f32 v26, v47, v105
	v_dual_fmac_f32 v32, 0, v105 :: v_dual_fmac_f32 v27, v60, v107
	s_delay_alu instid0(VALU_DEP_4) | instskip(SKIP_1) | instid1(VALU_DEP_4)
	v_dual_fmac_f32 v25, v59, v106 :: v_dual_fmac_f32 v28, 0, v107
	v_fmac_f32_e32 v30, v51, v106
	v_dual_fmac_f32 v31, v51, v105 :: v_dual_fmac_f32 v26, 0x80000000, v106
	s_delay_alu instid0(VALU_DEP_3) | instskip(NEXT) | instid1(VALU_DEP_3)
	v_fmac_f32_e32 v25, 0, v107
	v_dual_fmac_f32 v29, 0x80000000, v106 :: v_dual_fmac_f32 v30, 0, v107
	v_dual_fmac_f32 v32, v47, v106 :: v_dual_fmac_f32 v27, 0x80000000, v108
	v_fmac_f32_e32 v28, v56, v108
	s_delay_alu instid0(VALU_DEP_3)
	v_fmac_f32_e32 v29, v56, v107
	v_dual_fmac_f32 v31, 0x80000000, v106 :: v_dual_fmac_f32 v26, v48, v107
	s_waitcnt vmcnt(3)
	v_dual_fmac_f32 v32, 0, v107 :: v_dual_fmac_f32 v27, v61, v109
	v_dual_fmac_f32 v25, v60, v108 :: v_dual_fmac_f32 v28, 0, v109
	v_fmac_f32_e32 v30, v52, v108
	v_dual_fmac_f32 v31, v52, v107 :: v_dual_fmac_f32 v26, 0x80000000, v108
	s_delay_alu instid0(VALU_DEP_3) | instskip(NEXT) | instid1(VALU_DEP_3)
	v_fmac_f32_e32 v25, 0, v109
	v_dual_fmac_f32 v29, 0x80000000, v108 :: v_dual_fmac_f32 v30, 0, v109
	v_dual_fmac_f32 v32, v48, v108 :: v_dual_fmac_f32 v27, 0x80000000, v110
	v_fmac_f32_e32 v28, v73, v110
	s_delay_alu instid0(VALU_DEP_3) | instskip(SKIP_1) | instid1(VALU_DEP_4)
	v_fmac_f32_e32 v29, v73, v109
	v_dual_fmac_f32 v31, 0x80000000, v108 :: v_dual_fmac_f32 v26, v65, v109
	v_dual_fmac_f32 v32, 0, v109 :: v_dual_fmac_f32 v27, v62, v111
	s_delay_alu instid0(VALU_DEP_4) | instskip(SKIP_1) | instid1(VALU_DEP_4)
	v_dual_fmac_f32 v25, v61, v110 :: v_dual_fmac_f32 v28, 0, v111
	v_fmac_f32_e32 v30, v69, v110
	v_dual_fmac_f32 v31, v69, v109 :: v_dual_fmac_f32 v26, 0x80000000, v110
	s_delay_alu instid0(VALU_DEP_3) | instskip(NEXT) | instid1(VALU_DEP_3)
	v_fmac_f32_e32 v25, 0, v111
	v_dual_fmac_f32 v29, 0x80000000, v110 :: v_dual_fmac_f32 v30, 0, v111
	v_dual_fmac_f32 v32, v65, v110 :: v_dual_fmac_f32 v27, 0x80000000, v112
	v_fmac_f32_e32 v28, v74, v112
	s_delay_alu instid0(VALU_DEP_3)
	v_fmac_f32_e32 v29, v74, v111
	v_dual_fmac_f32 v31, 0x80000000, v110 :: v_dual_fmac_f32 v26, v66, v111
	s_waitcnt vmcnt(2)
	v_dual_fmac_f32 v32, 0, v111 :: v_dual_fmac_f32 v27, v63, v113
	v_dual_fmac_f32 v25, v62, v112 :: v_dual_fmac_f32 v28, 0, v113
	v_fmac_f32_e32 v30, v70, v112
	v_dual_fmac_f32 v31, v70, v111 :: v_dual_fmac_f32 v26, 0x80000000, v112
	s_delay_alu instid0(VALU_DEP_3) | instskip(NEXT) | instid1(VALU_DEP_3)
	v_fmac_f32_e32 v25, 0, v113
	;; [unrolled: 26-line block ×4, first 2 shown]
	v_dual_fmac_f32 v29, 0x80000000, v120 :: v_dual_fmac_f32 v30, 0, v121
	v_fmac_f32_e32 v32, v78, v120
	s_delay_alu instid0(VALU_DEP_4) | instskip(NEXT) | instid1(VALU_DEP_3)
	v_dual_fmac_f32 v31, 0x80000000, v120 :: v_dual_fmac_f32 v26, v79, v121
	v_fmac_f32_e32 v29, v91, v121
	s_delay_alu instid0(VALU_DEP_3) | instskip(SKIP_1) | instid1(VALU_DEP_4)
	v_dual_fmac_f32 v27, 0x80000000, v122 :: v_dual_fmac_f32 v32, 0, v121
	v_fmac_f32_e32 v28, v91, v122
	v_dual_fmac_f32 v31, v83, v121 :: v_dual_fmac_f32 v26, 0x80000000, v122
	s_delay_alu instid0(VALU_DEP_3) | instskip(NEXT) | instid1(VALU_DEP_3)
	v_fmac_f32_e32 v27, v88, v123
	v_dual_fmac_f32 v25, v87, v122 :: v_dual_fmac_f32 v28, 0, v123
	v_fmac_f32_e32 v30, v83, v122
	s_delay_alu instid0(VALU_DEP_4) | instskip(NEXT) | instid1(VALU_DEP_3)
	v_dual_fmac_f32 v31, 0x80000000, v122 :: v_dual_fmac_f32 v26, v80, v123
	v_fmac_f32_e32 v25, 0, v123
	s_delay_alu instid0(VALU_DEP_3) | instskip(NEXT) | instid1(VALU_DEP_3)
	v_dual_fmac_f32 v29, 0x80000000, v122 :: v_dual_fmac_f32 v30, 0, v123
	v_dual_fmac_f32 v32, v79, v122 :: v_dual_fmac_f32 v31, v84, v123
	s_delay_alu instid0(VALU_DEP_2) | instskip(NEXT) | instid1(VALU_DEP_2)
	v_dual_fmac_f32 v26, 0x80000000, v124 :: v_dual_fmac_f32 v29, v92, v123
	v_dual_fmac_f32 v27, 0x80000000, v124 :: v_dual_fmac_f32 v32, 0, v123
	v_fmac_f32_e32 v25, v88, v124
	v_fmac_f32_e32 v28, v92, v124
	s_delay_alu instid0(VALU_DEP_4)
	v_fmac_f32_e32 v29, 0x80000000, v124
	v_fmac_f32_e32 v31, 0x80000000, v124
	;; [unrolled: 1-line block ×4, first 2 shown]
	s_and_not1_b32 exec_lo, exec_lo, s11
	s_cbranch_execnz .LBB134_29
; %bb.30:
	s_or_b32 exec_lo, exec_lo, s11
.LBB134_31:
	s_delay_alu instid0(SALU_CYCLE_1)
	s_or_b32 exec_lo, exec_lo, s10
.LBB134_32:
	s_delay_alu instid0(SALU_CYCLE_1) | instskip(NEXT) | instid1(SALU_CYCLE_1)
	s_or_b32 exec_lo, exec_lo, s7
	s_and_not1_b32 vcc_lo, exec_lo, s6
	s_cbranch_vccz .LBB134_34
	s_branch .LBB134_45
.LBB134_33:
                                        ; implicit-def: $vgpr25
                                        ; implicit-def: $vgpr27
                                        ; implicit-def: $vgpr28
                                        ; implicit-def: $vgpr29
                                        ; implicit-def: $vgpr30
                                        ; implicit-def: $vgpr31
                                        ; implicit-def: $vgpr32
                                        ; implicit-def: $vgpr26
.LBB134_34:
	v_dual_mov_b32 v25, 0 :: v_dual_mov_b32 v28, 0
	v_dual_mov_b32 v27, 0 :: v_dual_mov_b32 v30, 0
	;; [unrolled: 1-line block ×4, first 2 shown]
	s_and_saveexec_b32 s6, s2
	s_cbranch_execz .LBB134_44
; %bb.35:
	v_or_b32_e32 v10, 64, v24
	v_dual_mov_b32 v26, 0 :: v_dual_mov_b32 v29, 0
	v_dual_mov_b32 v32, 0 :: v_dual_mov_b32 v27, 0
	s_delay_alu instid0(VALU_DEP_3) | instskip(NEXT) | instid1(VALU_DEP_1)
	v_sub_co_u32 v10, s2, v10, s12
	v_sub_co_ci_u32_e64 v11, null, 0, s3, s2
	v_sub_co_u32 v12, s2, s12, v24
	s_delay_alu instid0(VALU_DEP_3) | instskip(NEXT) | instid1(VALU_DEP_3)
	v_add_co_u32 v10, vcc_lo, v10, v6
	v_add_co_ci_u32_e32 v11, vcc_lo, v11, v7, vcc_lo
	v_not_b32_e32 v6, v6
	v_not_b32_e32 v7, v7
	v_sub_co_ci_u32_e64 v13, null, s3, 0, s2
	s_delay_alu instid0(VALU_DEP_4)
	v_cmp_gt_i64_e32 vcc_lo, v[10:11], v[2:3]
	v_mov_b32_e32 v30, 0
	v_mov_b32_e32 v28, 0
	s_mov_b32 s7, 0
	s_mov_b32 s2, exec_lo
	v_mov_b32_e32 v31, 0
	v_dual_cndmask_b32 v11, v3, v11 :: v_dual_cndmask_b32 v10, v2, v10
	v_add_co_u32 v6, vcc_lo, v12, v6
	v_add_co_ci_u32_e32 v7, vcc_lo, v13, v7, vcc_lo
	v_mov_b32_e32 v25, 0
	s_delay_alu instid0(VALU_DEP_3) | instskip(NEXT) | instid1(VALU_DEP_3)
	v_add_co_u32 v6, vcc_lo, v6, v10
	v_add_co_ci_u32_e32 v7, vcc_lo, v7, v11, vcc_lo
	s_delay_alu instid0(VALU_DEP_2) | instskip(NEXT) | instid1(VALU_DEP_1)
	v_lshrrev_b32_e32 v10, 6, v6
	v_add_nc_u32_e32 v10, 1, v10
	s_delay_alu instid0(VALU_DEP_1) | instskip(NEXT) | instid1(VALU_DEP_1)
	v_and_b32_e32 v10, 3, v10
	v_cmpx_ne_u32_e32 0, v10
	s_cbranch_execz .LBB134_39
; %bb.36:
	v_lshlrev_b64 v[12:13], 3, v[0:1]
	v_dual_mov_b32 v11, 0 :: v_dual_lshlrev_b32 v10, 3, v10
	s_delay_alu instid0(VALU_DEP_1) | instskip(NEXT) | instid1(VALU_DEP_3)
	v_mov_b32_e32 v25, v11
	v_add_co_u32 v12, vcc_lo, s8, v12
	s_delay_alu instid0(VALU_DEP_4)
	v_add_co_ci_u32_e32 v13, vcc_lo, s9, v13, vcc_lo
	v_mov_b32_e32 v27, v11
	v_mov_b32_e32 v28, v11
	;; [unrolled: 1-line block ×7, first 2 shown]
.LBB134_37:                             ; =>This Inner Loop Header: Depth=1
	global_load_b64 v[18:19], v[12:13], off
	s_clause 0x1
	global_load_b128 v[14:17], v[4:5], off offset:16
	global_load_b128 v[33:36], v[4:5], off
	s_waitcnt vmcnt(2)
	v_sub_co_u32 v18, vcc_lo, v18, s12
	v_subrev_co_ci_u32_e32 v19, vcc_lo, s3, v19, vcc_lo
	s_delay_alu instid0(VALU_DEP_1) | instskip(NEXT) | instid1(VALU_DEP_1)
	v_lshlrev_b64 v[18:19], 5, v[18:19]
	v_add_co_u32 v18, vcc_lo, s4, v18
	s_delay_alu instid0(VALU_DEP_2)
	v_add_co_ci_u32_e32 v19, vcc_lo, s5, v19, vcc_lo
	s_clause 0x1
	global_load_b128 v[37:40], v[18:19], off
	global_load_b128 v[41:44], v[18:19], off offset:16
	s_clause 0x1
	global_load_b128 v[45:48], v[4:5], off offset:32
	global_load_b128 v[49:52], v[4:5], off offset:48
	v_add_co_u32 v4, vcc_lo, 0x1000, v4
	v_add_co_ci_u32_e32 v5, vcc_lo, 0, v5, vcc_lo
	v_add_co_u32 v0, vcc_lo, v0, 64
	v_add_co_ci_u32_e32 v1, vcc_lo, 0, v1, vcc_lo
	v_add_co_u32 v10, vcc_lo, v10, -8
	v_add_co_ci_u32_e32 v11, vcc_lo, -1, v11, vcc_lo
	v_add_co_u32 v12, vcc_lo, 0x200, v12
	v_add_co_ci_u32_e32 v13, vcc_lo, 0, v13, vcc_lo
	s_delay_alu instid0(VALU_DEP_3)
	v_cmp_eq_u64_e32 vcc_lo, 0, v[10:11]
	s_or_b32 s7, vcc_lo, s7
	s_waitcnt vmcnt(3)
	v_fmac_f32_e32 v28, 0, v37
	v_fmac_f32_e32 v27, v33, v37
	;; [unrolled: 1-line block ×7, first 2 shown]
	v_dual_fmac_f32 v31, v35, v37 :: v_dual_fmac_f32 v28, v34, v38
	v_fmac_f32_e32 v27, 0x80000000, v38
	v_fmac_f32_e32 v30, v35, v38
	s_delay_alu instid0(VALU_DEP_4)
	v_fmac_f32_e32 v32, v36, v38
	v_fmac_f32_e32 v25, v33, v38
	;; [unrolled: 1-line block ×4, first 2 shown]
	v_dual_fmac_f32 v29, 0x80000000, v38 :: v_dual_fmac_f32 v28, 0, v39
	v_fmac_f32_e32 v27, v14, v39
	v_fmac_f32_e32 v30, 0, v39
	;; [unrolled: 1-line block ×6, first 2 shown]
	v_dual_fmac_f32 v31, v16, v39 :: v_dual_fmac_f32 v28, v15, v40
	v_fmac_f32_e32 v27, 0x80000000, v40
	v_fmac_f32_e32 v30, v16, v40
	s_delay_alu instid0(VALU_DEP_4)
	v_fmac_f32_e32 v32, v17, v40
	v_fmac_f32_e32 v25, v14, v40
	;; [unrolled: 1-line block ×4, first 2 shown]
	s_waitcnt vmcnt(2)
	v_dual_fmac_f32 v29, 0x80000000, v40 :: v_dual_fmac_f32 v28, 0, v41
	s_waitcnt vmcnt(1)
	v_fmac_f32_e32 v27, v45, v41
	v_fmac_f32_e32 v30, 0, v41
	;; [unrolled: 1-line block ×6, first 2 shown]
	v_dual_fmac_f32 v31, v47, v41 :: v_dual_fmac_f32 v28, v46, v42
	v_fmac_f32_e32 v27, 0x80000000, v42
	v_fmac_f32_e32 v30, v47, v42
	s_delay_alu instid0(VALU_DEP_4)
	v_fmac_f32_e32 v32, v48, v42
	v_fmac_f32_e32 v25, v45, v42
	;; [unrolled: 1-line block ×4, first 2 shown]
	v_dual_fmac_f32 v29, 0x80000000, v42 :: v_dual_fmac_f32 v28, 0, v43
	s_waitcnt vmcnt(0)
	v_fmac_f32_e32 v27, v49, v43
	v_fmac_f32_e32 v30, 0, v43
	;; [unrolled: 1-line block ×6, first 2 shown]
	v_dual_fmac_f32 v31, v51, v43 :: v_dual_fmac_f32 v28, v50, v44
	v_fmac_f32_e32 v27, 0x80000000, v44
	v_fmac_f32_e32 v30, v51, v44
	s_delay_alu instid0(VALU_DEP_4)
	v_fmac_f32_e32 v32, v52, v44
	v_fmac_f32_e32 v25, v49, v44
	v_fmac_f32_e32 v31, 0x80000000, v44
	v_fmac_f32_e32 v26, 0x80000000, v44
	v_fmac_f32_e32 v29, 0x80000000, v44
	s_and_not1_b32 exec_lo, exec_lo, s7
	s_cbranch_execnz .LBB134_37
; %bb.38:
	s_or_b32 exec_lo, exec_lo, s7
.LBB134_39:
	s_delay_alu instid0(SALU_CYCLE_1) | instskip(NEXT) | instid1(SALU_CYCLE_1)
	s_or_b32 exec_lo, exec_lo, s2
	s_mov_b32 s2, exec_lo
	v_cmpx_lt_u64_e32 0xbf, v[6:7]
	s_cbranch_execz .LBB134_43
; %bb.40:
	v_lshlrev_b64 v[6:7], 3, v[0:1]
	s_mov_b32 s7, 0
	s_delay_alu instid0(VALU_DEP_1) | instskip(NEXT) | instid1(VALU_DEP_2)
	v_add_co_u32 v6, vcc_lo, v6, s8
	v_add_co_ci_u32_e32 v7, vcc_lo, s9, v7, vcc_lo
	s_delay_alu instid0(VALU_DEP_2) | instskip(NEXT) | instid1(VALU_DEP_2)
	v_add_co_u32 v6, vcc_lo, 0x400, v6
	v_add_co_ci_u32_e32 v7, vcc_lo, 0, v7, vcc_lo
.LBB134_41:                             ; =>This Inner Loop Header: Depth=1
	s_clause 0x3
	global_load_b64 v[18:19], v[6:7], off offset:-1024
	global_load_b64 v[77:78], v[6:7], off offset:-512
	global_load_b64 v[79:80], v[6:7], off
	global_load_b64 v[81:82], v[6:7], off offset:512
	s_clause 0x3
	global_load_b128 v[10:13], v[4:5], off offset:48
	global_load_b128 v[14:17], v[4:5], off offset:32
	;; [unrolled: 1-line block ×3, first 2 shown]
	global_load_b128 v[37:40], v[4:5], off
	v_add_co_u32 v49, vcc_lo, 0x1000, v4
	v_add_co_ci_u32_e32 v50, vcc_lo, 0, v5, vcc_lo
	v_add_co_u32 v57, vcc_lo, v4, 0x2000
	v_add_co_ci_u32_e32 v58, vcc_lo, 0, v5, vcc_lo
	;; [unrolled: 2-line block ×4, first 2 shown]
	s_clause 0x8
	global_load_b128 v[41:44], v[49:50], off offset:48
	global_load_b128 v[45:48], v[49:50], off offset:32
	;; [unrolled: 1-line block ×3, first 2 shown]
	global_load_b128 v[53:56], v[57:58], off offset:-4096
	global_load_b128 v[57:60], v[57:58], off
	global_load_b128 v[61:64], v[69:70], off offset:48
	global_load_b128 v[65:68], v[69:70], off offset:32
	;; [unrolled: 1-line block ×3, first 2 shown]
	global_load_b128 v[73:76], v[117:118], off
	s_waitcnt vmcnt(16)
	v_sub_co_u32 v18, vcc_lo, v18, s12
	v_subrev_co_ci_u32_e32 v19, vcc_lo, s3, v19, vcc_lo
	s_waitcnt vmcnt(15)
	v_sub_co_u32 v77, vcc_lo, v77, s12
	v_subrev_co_ci_u32_e32 v78, vcc_lo, s3, v78, vcc_lo
	s_waitcnt vmcnt(14)
	v_sub_co_u32 v79, vcc_lo, v79, s12
	v_lshlrev_b64 v[18:19], 5, v[18:19]
	v_subrev_co_ci_u32_e32 v80, vcc_lo, s3, v80, vcc_lo
	s_waitcnt vmcnt(13)
	v_sub_co_u32 v81, vcc_lo, v81, s12
	v_lshlrev_b64 v[77:78], 5, v[77:78]
	v_subrev_co_ci_u32_e32 v82, vcc_lo, s3, v82, vcc_lo
	v_lshlrev_b64 v[79:80], 5, v[79:80]
	v_add_co_u32 v18, vcc_lo, s4, v18
	v_add_co_ci_u32_e32 v19, vcc_lo, s5, v19, vcc_lo
	s_delay_alu instid0(VALU_DEP_4)
	v_lshlrev_b64 v[81:82], 5, v[81:82]
	v_add_co_u32 v89, vcc_lo, s4, v77
	v_add_co_ci_u32_e32 v90, vcc_lo, s5, v78, vcc_lo
	v_add_co_u32 v97, vcc_lo, s4, v79
	v_add_co_ci_u32_e32 v98, vcc_lo, s5, v80, vcc_lo
	v_add_co_u32 v113, vcc_lo, s4, v81
	v_add_co_ci_u32_e32 v114, vcc_lo, s5, v82, vcc_lo
	s_clause 0x6
	global_load_b128 v[77:80], v[18:19], off
	global_load_b128 v[81:84], v[18:19], off offset:16
	global_load_b128 v[85:88], v[89:90], off
	global_load_b128 v[89:92], v[89:90], off offset:16
	;; [unrolled: 2-line block ×3, first 2 shown]
	global_load_b128 v[101:104], v[113:114], off
	s_clause 0x1
	global_load_b128 v[105:108], v[117:118], off offset:16
	global_load_b128 v[109:112], v[117:118], off offset:32
	;; [unrolled: 1-line block ×4, first 2 shown]
	v_add_co_u32 v0, vcc_lo, 0x100, v0
	v_add_co_ci_u32_e32 v1, vcc_lo, 0, v1, vcc_lo
	v_add_co_u32 v6, vcc_lo, 0x800, v6
	v_add_co_ci_u32_e32 v7, vcc_lo, 0, v7, vcc_lo
	;; [unrolled: 2-line block ×3, first 2 shown]
	v_cmp_ge_i64_e32 vcc_lo, v[0:1], v[2:3]
	s_or_b32 s7, vcc_lo, s7
	s_waitcnt vmcnt(10)
	v_fmac_f32_e32 v30, 0, v77
	v_fmac_f32_e32 v25, 0, v77
	;; [unrolled: 1-line block ×7, first 2 shown]
	v_dual_fmac_f32 v28, 0, v77 :: v_dual_fmac_f32 v25, v37, v78
	v_dual_fmac_f32 v27, v37, v77 :: v_dual_fmac_f32 v32, v40, v78
	v_fmac_f32_e32 v29, 0x80000000, v78
	s_delay_alu instid0(VALU_DEP_3) | instskip(SKIP_1) | instid1(VALU_DEP_4)
	v_fmac_f32_e32 v28, v38, v78
	v_fmac_f32_e32 v26, 0x80000000, v78
	;; [unrolled: 1-line block ×3, first 2 shown]
	v_dual_fmac_f32 v31, 0x80000000, v78 :: v_dual_fmac_f32 v30, 0, v79
	v_fmac_f32_e32 v25, 0, v79
	v_fmac_f32_e32 v32, 0, v79
	;; [unrolled: 1-line block ×6, first 2 shown]
	v_dual_fmac_f32 v28, 0, v79 :: v_dual_fmac_f32 v25, v33, v80
	v_dual_fmac_f32 v27, v33, v79 :: v_dual_fmac_f32 v32, v36, v80
	v_fmac_f32_e32 v29, 0x80000000, v80
	s_delay_alu instid0(VALU_DEP_3) | instskip(SKIP_1) | instid1(VALU_DEP_4)
	v_fmac_f32_e32 v28, v34, v80
	v_fmac_f32_e32 v26, 0x80000000, v80
	;; [unrolled: 1-line block ×3, first 2 shown]
	s_waitcnt vmcnt(9)
	v_dual_fmac_f32 v31, 0x80000000, v80 :: v_dual_fmac_f32 v30, 0, v81
	v_fmac_f32_e32 v25, 0, v81
	v_fmac_f32_e32 v32, 0, v81
	;; [unrolled: 1-line block ×6, first 2 shown]
	v_dual_fmac_f32 v28, 0, v81 :: v_dual_fmac_f32 v25, v14, v82
	v_dual_fmac_f32 v27, v14, v81 :: v_dual_fmac_f32 v32, v17, v82
	v_fmac_f32_e32 v29, 0x80000000, v82
	s_delay_alu instid0(VALU_DEP_3) | instskip(SKIP_1) | instid1(VALU_DEP_4)
	v_fmac_f32_e32 v28, v15, v82
	v_fmac_f32_e32 v26, 0x80000000, v82
	;; [unrolled: 1-line block ×3, first 2 shown]
	v_dual_fmac_f32 v31, 0x80000000, v82 :: v_dual_fmac_f32 v30, 0, v83
	v_fmac_f32_e32 v25, 0, v83
	v_fmac_f32_e32 v32, 0, v83
	;; [unrolled: 1-line block ×6, first 2 shown]
	v_dual_fmac_f32 v28, 0, v83 :: v_dual_fmac_f32 v25, v10, v84
	v_dual_fmac_f32 v27, v10, v83 :: v_dual_fmac_f32 v32, v13, v84
	v_fmac_f32_e32 v29, 0x80000000, v84
	s_delay_alu instid0(VALU_DEP_3) | instskip(SKIP_1) | instid1(VALU_DEP_4)
	v_fmac_f32_e32 v28, v11, v84
	v_fmac_f32_e32 v26, 0x80000000, v84
	v_fmac_f32_e32 v27, 0x80000000, v84
	s_waitcnt vmcnt(8)
	v_dual_fmac_f32 v31, 0x80000000, v84 :: v_dual_fmac_f32 v30, 0, v85
	v_fmac_f32_e32 v25, 0, v85
	v_fmac_f32_e32 v28, 0, v85
	v_fmac_f32_e32 v27, v53, v85
	v_fmac_f32_e32 v26, v56, v85
	v_fmac_f32_e32 v29, v54, v85
	v_fmac_f32_e32 v32, 0, v85
	v_dual_fmac_f32 v31, v55, v85 :: v_dual_fmac_f32 v28, v54, v86
	v_fmac_f32_e32 v27, 0x80000000, v86
	v_fmac_f32_e32 v30, v55, v86
	s_delay_alu instid0(VALU_DEP_4)
	v_fmac_f32_e32 v32, v56, v86
	v_fmac_f32_e32 v25, v53, v86
	v_fmac_f32_e32 v31, 0x80000000, v86
	v_fmac_f32_e32 v26, 0x80000000, v86
	v_dual_fmac_f32 v29, 0x80000000, v86 :: v_dual_fmac_f32 v28, 0, v87
	v_fmac_f32_e32 v27, v49, v87
	v_fmac_f32_e32 v30, 0, v87
	v_fmac_f32_e32 v25, 0, v87
	v_fmac_f32_e32 v26, v52, v87
	v_fmac_f32_e32 v29, v50, v87
	v_fmac_f32_e32 v32, 0, v87
	v_dual_fmac_f32 v31, v51, v87 :: v_dual_fmac_f32 v28, v50, v88
	v_fmac_f32_e32 v27, 0x80000000, v88
	v_fmac_f32_e32 v30, v51, v88
	s_delay_alu instid0(VALU_DEP_4)
	v_fmac_f32_e32 v32, v52, v88
	v_fmac_f32_e32 v25, v49, v88
	v_fmac_f32_e32 v31, 0x80000000, v88
	v_fmac_f32_e32 v26, 0x80000000, v88
	s_waitcnt vmcnt(7)
	v_dual_fmac_f32 v29, 0x80000000, v88 :: v_dual_fmac_f32 v28, 0, v89
	v_fmac_f32_e32 v27, v45, v89
	v_fmac_f32_e32 v30, 0, v89
	v_fmac_f32_e32 v25, 0, v89
	v_fmac_f32_e32 v26, v48, v89
	v_fmac_f32_e32 v29, v46, v89
	v_fmac_f32_e32 v32, 0, v89
	v_dual_fmac_f32 v31, v47, v89 :: v_dual_fmac_f32 v28, v46, v90
	v_fmac_f32_e32 v27, 0x80000000, v90
	v_fmac_f32_e32 v30, v47, v90
	s_delay_alu instid0(VALU_DEP_4)
	v_fmac_f32_e32 v32, v48, v90
	v_fmac_f32_e32 v25, v45, v90
	v_fmac_f32_e32 v31, 0x80000000, v90
	v_fmac_f32_e32 v26, 0x80000000, v90
	v_dual_fmac_f32 v29, 0x80000000, v90 :: v_dual_fmac_f32 v28, 0, v91
	v_fmac_f32_e32 v27, v41, v91
	v_fmac_f32_e32 v30, 0, v91
	v_fmac_f32_e32 v25, 0, v91
	v_fmac_f32_e32 v26, v44, v91
	v_fmac_f32_e32 v29, v42, v91
	v_fmac_f32_e32 v32, 0, v91
	v_dual_fmac_f32 v31, v43, v91 :: v_dual_fmac_f32 v28, v42, v92
	v_fmac_f32_e32 v27, 0x80000000, v92
	v_fmac_f32_e32 v30, v43, v92
	s_delay_alu instid0(VALU_DEP_4)
	v_fmac_f32_e32 v32, v44, v92
	;; [unrolled: 31-line block ×4, first 2 shown]
	v_fmac_f32_e32 v25, v61, v100
	v_fmac_f32_e32 v31, 0x80000000, v100
	;; [unrolled: 1-line block ×3, first 2 shown]
	s_waitcnt vmcnt(4)
	v_dual_fmac_f32 v29, 0x80000000, v100 :: v_dual_fmac_f32 v28, 0, v101
	v_fmac_f32_e32 v27, v73, v101
	v_fmac_f32_e32 v30, 0, v101
	;; [unrolled: 1-line block ×6, first 2 shown]
	v_dual_fmac_f32 v31, v75, v101 :: v_dual_fmac_f32 v28, v74, v102
	v_fmac_f32_e32 v27, 0x80000000, v102
	v_fmac_f32_e32 v30, v75, v102
	s_delay_alu instid0(VALU_DEP_4)
	v_fmac_f32_e32 v32, v76, v102
	v_fmac_f32_e32 v25, v73, v102
	;; [unrolled: 1-line block ×4, first 2 shown]
	v_dual_fmac_f32 v29, 0x80000000, v102 :: v_dual_fmac_f32 v28, 0, v103
	s_waitcnt vmcnt(3)
	v_fmac_f32_e32 v27, v105, v103
	v_fmac_f32_e32 v30, 0, v103
	;; [unrolled: 1-line block ×6, first 2 shown]
	v_dual_fmac_f32 v31, v107, v103 :: v_dual_fmac_f32 v28, v106, v104
	v_fmac_f32_e32 v27, 0x80000000, v104
	v_fmac_f32_e32 v30, v107, v104
	s_delay_alu instid0(VALU_DEP_4)
	v_fmac_f32_e32 v32, v108, v104
	v_fmac_f32_e32 v25, v105, v104
	;; [unrolled: 1-line block ×4, first 2 shown]
	s_waitcnt vmcnt(1)
	v_dual_fmac_f32 v29, 0x80000000, v104 :: v_dual_fmac_f32 v28, 0, v113
	v_fmac_f32_e32 v27, v109, v113
	v_fmac_f32_e32 v30, 0, v113
	;; [unrolled: 1-line block ×6, first 2 shown]
	v_dual_fmac_f32 v31, v111, v113 :: v_dual_fmac_f32 v28, v110, v114
	v_fmac_f32_e32 v27, 0x80000000, v114
	v_fmac_f32_e32 v30, v111, v114
	s_delay_alu instid0(VALU_DEP_4)
	v_fmac_f32_e32 v32, v112, v114
	v_fmac_f32_e32 v25, v109, v114
	;; [unrolled: 1-line block ×4, first 2 shown]
	v_dual_fmac_f32 v29, 0x80000000, v114 :: v_dual_fmac_f32 v28, 0, v115
	s_waitcnt vmcnt(0)
	v_fmac_f32_e32 v27, v117, v115
	v_fmac_f32_e32 v30, 0, v115
	;; [unrolled: 1-line block ×6, first 2 shown]
	v_dual_fmac_f32 v31, v119, v115 :: v_dual_fmac_f32 v28, v118, v116
	v_fmac_f32_e32 v27, 0x80000000, v116
	v_fmac_f32_e32 v30, v119, v116
	s_delay_alu instid0(VALU_DEP_4)
	v_fmac_f32_e32 v32, v120, v116
	v_fmac_f32_e32 v25, v117, v116
	;; [unrolled: 1-line block ×5, first 2 shown]
	s_and_not1_b32 exec_lo, exec_lo, s7
	s_cbranch_execnz .LBB134_41
; %bb.42:
	s_or_b32 exec_lo, exec_lo, s7
.LBB134_43:
	s_delay_alu instid0(SALU_CYCLE_1)
	s_or_b32 exec_lo, exec_lo, s2
.LBB134_44:
	s_delay_alu instid0(SALU_CYCLE_1)
	s_or_b32 exec_lo, exec_lo, s6
.LBB134_45:
	v_mbcnt_lo_u32_b32 v0, -1, 0
	s_delay_alu instid0(VALU_DEP_1) | instskip(SKIP_2) | instid1(VALU_DEP_3)
	v_or_b32_e32 v1, 32, v0
	v_xor_b32_e32 v11, 16, v0
	v_xor_b32_e32 v19, 8, v0
	v_cmp_gt_i32_e32 vcc_lo, 32, v1
	v_cndmask_b32_e32 v1, v0, v1, vcc_lo
	s_delay_alu instid0(VALU_DEP_4) | instskip(NEXT) | instid1(VALU_DEP_2)
	v_cmp_gt_i32_e32 vcc_lo, 32, v11
	v_lshlrev_b32_e32 v1, 2, v1
	ds_bpermute_b32 v4, v1, v29
	s_waitcnt lgkmcnt(0)
	v_add_f32_e32 v4, v29, v4
	ds_bpermute_b32 v2, v1, v27
	ds_bpermute_b32 v6, v1, v31
	;; [unrolled: 1-line block ×3, first 2 shown]
	v_cndmask_b32_e32 v11, v0, v11, vcc_lo
	ds_bpermute_b32 v3, v1, v25
	ds_bpermute_b32 v5, v1, v28
	;; [unrolled: 1-line block ×4, first 2 shown]
	v_cmp_gt_i32_e32 vcc_lo, 32, v19
	s_waitcnt lgkmcnt(6)
	v_add_f32_e32 v2, v27, v2
	s_waitcnt lgkmcnt(5)
	v_dual_add_f32 v6, v31, v6 :: v_dual_lshlrev_b32 v11, 2, v11
	s_waitcnt lgkmcnt(4)
	v_add_f32_e32 v10, v26, v10
	ds_bpermute_b32 v12, v11, v2
	ds_bpermute_b32 v18, v11, v10
	s_waitcnt lgkmcnt(5)
	v_add_f32_e32 v3, v25, v3
	ds_bpermute_b32 v14, v11, v4
	ds_bpermute_b32 v16, v11, v6
	s_waitcnt lgkmcnt(4)
	v_add_f32_e32 v1, v32, v1
	v_add_f32_e32 v5, v28, v5
	v_add_f32_e32 v7, v30, v7
	s_waitcnt lgkmcnt(3)
	v_add_f32_e32 v2, v2, v12
	ds_bpermute_b32 v13, v11, v3
	s_waitcnt lgkmcnt(3)
	v_add_f32_e32 v10, v10, v18
	s_waitcnt lgkmcnt(2)
	v_add_f32_e32 v4, v4, v14
	v_cndmask_b32_e32 v19, v0, v19, vcc_lo
	ds_bpermute_b32 v17, v11, v7
	s_waitcnt lgkmcnt(2)
	v_add_f32_e32 v6, v6, v16
	ds_bpermute_b32 v15, v11, v5
	ds_bpermute_b32 v11, v11, v1
	v_lshlrev_b32_e32 v19, 2, v19
	s_waitcnt lgkmcnt(3)
	v_add_f32_e32 v3, v3, v13
	ds_bpermute_b32 v13, v19, v4
	s_waitcnt lgkmcnt(0)
	v_dual_add_f32 v4, v4, v13 :: v_dual_add_f32 v5, v5, v15
	ds_bpermute_b32 v15, v19, v6
	v_add_f32_e32 v7, v7, v17
	ds_bpermute_b32 v17, v19, v10
	ds_bpermute_b32 v14, v19, v5
	s_waitcnt lgkmcnt(2)
	v_add_f32_e32 v6, v6, v15
	ds_bpermute_b32 v16, v19, v7
	s_waitcnt lgkmcnt(2)
	v_dual_add_f32 v10, v10, v17 :: v_dual_add_f32 v1, v1, v11
	ds_bpermute_b32 v11, v19, v2
	ds_bpermute_b32 v18, v19, v1
	s_waitcnt lgkmcnt(1)
	v_dual_add_f32 v7, v7, v16 :: v_dual_add_f32 v2, v2, v11
	ds_bpermute_b32 v12, v19, v3
	v_xor_b32_e32 v19, 4, v0
	s_delay_alu instid0(VALU_DEP_1) | instskip(SKIP_1) | instid1(VALU_DEP_1)
	v_cmp_gt_i32_e32 vcc_lo, 32, v19
	v_cndmask_b32_e32 v19, v0, v19, vcc_lo
	v_lshlrev_b32_e32 v19, 2, v19
	ds_bpermute_b32 v13, v19, v4
	ds_bpermute_b32 v15, v19, v6
	;; [unrolled: 1-line block ×4, first 2 shown]
	s_waitcnt lgkmcnt(4)
	v_add_f32_e32 v3, v3, v12
	ds_bpermute_b32 v16, v19, v7
	s_waitcnt lgkmcnt(4)
	v_dual_add_f32 v4, v4, v13 :: v_dual_add_f32 v5, v5, v14
	s_waitcnt lgkmcnt(3)
	v_add_f32_e32 v6, v6, v15
	s_waitcnt lgkmcnt(2)
	v_dual_add_f32 v10, v10, v17 :: v_dual_add_f32 v1, v1, v18
	s_waitcnt lgkmcnt(1)
	v_add_f32_e32 v2, v2, v11
	ds_bpermute_b32 v12, v19, v3
	ds_bpermute_b32 v14, v19, v5
	s_waitcnt lgkmcnt(2)
	v_add_f32_e32 v7, v7, v16
	ds_bpermute_b32 v18, v19, v1
	v_xor_b32_e32 v19, 2, v0
	s_delay_alu instid0(VALU_DEP_1) | instskip(SKIP_1) | instid1(VALU_DEP_1)
	v_cmp_gt_i32_e32 vcc_lo, 32, v19
	v_cndmask_b32_e32 v19, v0, v19, vcc_lo
	v_lshlrev_b32_e32 v19, 2, v19
	s_waitcnt lgkmcnt(2)
	v_add_f32_e32 v3, v3, v12
	s_waitcnt lgkmcnt(1)
	v_add_f32_e32 v5, v5, v14
	;; [unrolled: 2-line block ×3, first 2 shown]
	ds_bpermute_b32 v1, v19, v2
	ds_bpermute_b32 v12, v19, v3
	;; [unrolled: 1-line block ×8, first 2 shown]
	v_xor_b32_e32 v19, 1, v0
	s_delay_alu instid0(VALU_DEP_1) | instskip(SKIP_3) | instid1(VALU_DEP_2)
	v_cmp_gt_i32_e32 vcc_lo, 32, v19
	v_cndmask_b32_e32 v0, v0, v19, vcc_lo
	v_cmp_eq_u32_e32 vcc_lo, 63, v24
	s_waitcnt lgkmcnt(7)
	v_dual_add_f32 v0, v2, v1 :: v_dual_lshlrev_b32 v19, 2, v0
	s_waitcnt lgkmcnt(5)
	v_dual_add_f32 v1, v3, v12 :: v_dual_add_f32 v2, v4, v13
	s_waitcnt lgkmcnt(3)
	v_dual_add_f32 v3, v5, v14 :: v_dual_add_f32 v4, v6, v15
	;; [unrolled: 2-line block ×3, first 2 shown]
	s_waitcnt lgkmcnt(0)
	v_add_f32_e32 v7, v11, v18
	ds_bpermute_b32 v10, v19, v0
	ds_bpermute_b32 v11, v19, v1
	;; [unrolled: 1-line block ×8, first 2 shown]
	s_and_b32 exec_lo, exec_lo, vcc_lo
	s_cbranch_execz .LBB134_13
; %bb.46:
	s_load_b64 s[2:3], s[0:1], 0x58
	s_waitcnt lgkmcnt(0)
	v_add_f32_e32 v10, v0, v10
	v_dual_add_f32 v0, v1, v11 :: v_dual_add_f32 v1, v3, v13
	v_dual_add_f32 v11, v2, v12 :: v_dual_add_f32 v2, v5, v15
	;; [unrolled: 1-line block ×3, first 2 shown]
	v_add_f32_e32 v13, v6, v16
	s_delay_alu instid0(VALU_DEP_4)
	v_mul_f32_e64 v4, v0, -v23
	v_mul_f32_e64 v6, v1, -v23
	v_mul_f32_e32 v5, v0, v22
	v_mul_f32_e64 v0, v2, -v23
	v_mul_f32_e32 v7, v1, v22
	v_mul_f32_e32 v1, v2, v22
	v_mul_f32_e64 v2, v3, -v23
	v_mul_f32_e32 v3, v3, v22
	v_cmp_eq_f32_e32 vcc_lo, 0, v20
	v_cmp_eq_f32_e64 s0, 0, v21
	v_lshlrev_b64 v[8:9], 5, v[8:9]
	v_fmac_f32_e32 v2, v22, v13
	v_dual_fmac_f32 v6, v22, v11 :: v_dual_fmac_f32 v5, v23, v10
	v_fmac_f32_e32 v0, v22, v12
	v_dual_fmac_f32 v4, v22, v10 :: v_dual_fmac_f32 v7, v23, v11
	v_fmac_f32_e32 v1, v23, v12
	v_fmac_f32_e32 v3, v23, v13
	s_and_b32 s0, vcc_lo, s0
	s_delay_alu instid0(SALU_CYCLE_1) | instskip(NEXT) | instid1(SALU_CYCLE_1)
	s_and_saveexec_b32 s1, s0
	s_xor_b32 s0, exec_lo, s1
; %bb.47:
	v_add_co_u32 v8, vcc_lo, s2, v8
	v_add_co_ci_u32_e32 v9, vcc_lo, s3, v9, vcc_lo
                                        ; implicit-def: $vgpr20
                                        ; implicit-def: $vgpr21
	s_clause 0x1
	global_store_b128 v[8:9], v[4:7], off
	global_store_b128 v[8:9], v[0:3], off offset:16
                                        ; implicit-def: $vgpr4
                                        ; implicit-def: $vgpr8_vgpr9
                                        ; implicit-def: $vgpr0
; %bb.48:
	s_and_not1_saveexec_b32 s0, s0
	s_cbranch_execz .LBB134_13
; %bb.49:
	v_add_co_u32 v16, vcc_lo, s2, v8
	v_add_co_ci_u32_e32 v17, vcc_lo, s3, v9, vcc_lo
	s_clause 0x1
	global_load_b128 v[8:11], v[16:17], off
	global_load_b128 v[12:15], v[16:17], off offset:16
	s_waitcnt vmcnt(1)
	v_dual_fmac_f32 v4, v20, v8 :: v_dual_fmac_f32 v7, v21, v10
	v_dual_fmac_f32 v5, v21, v8 :: v_dual_fmac_f32 v6, v20, v10
	s_waitcnt vmcnt(0)
	v_dual_fmac_f32 v0, v20, v12 :: v_dual_fmac_f32 v3, v21, v14
	v_dual_fmac_f32 v1, v21, v12 :: v_dual_fmac_f32 v2, v20, v14
	v_fma_f32 v4, -v21, v9, v4
	v_fmac_f32_e32 v5, v20, v9
	v_fma_f32 v6, -v21, v11, v6
	v_fmac_f32_e32 v7, v20, v11
	;; [unrolled: 2-line block ×4, first 2 shown]
	s_clause 0x1
	global_store_b128 v[16:17], v[4:7], off
	global_store_b128 v[16:17], v[0:3], off offset:16
	s_nop 0
	s_sendmsg sendmsg(MSG_DEALLOC_VGPRS)
	s_endpgm
	.section	.rodata,"a",@progbits
	.p2align	6, 0x0
	.amdhsa_kernel _ZN9rocsparseL18bsrxmvn_4x4_kernelILj128ELj64E21rocsparse_complex_numIfEllfS2_S2_EEvT3_20rocsparse_direction_NS_24const_host_device_scalarIT1_EES3_PKS3_PKT2_SC_S9_PKT4_PKT5_S7_PT6_21rocsparse_index_base_b
		.amdhsa_group_segment_fixed_size 0
		.amdhsa_private_segment_fixed_size 0
		.amdhsa_kernarg_size 104
		.amdhsa_user_sgpr_count 15
		.amdhsa_user_sgpr_dispatch_ptr 0
		.amdhsa_user_sgpr_queue_ptr 0
		.amdhsa_user_sgpr_kernarg_segment_ptr 1
		.amdhsa_user_sgpr_dispatch_id 0
		.amdhsa_user_sgpr_private_segment_size 0
		.amdhsa_wavefront_size32 1
		.amdhsa_uses_dynamic_stack 0
		.amdhsa_enable_private_segment 0
		.amdhsa_system_sgpr_workgroup_id_x 1
		.amdhsa_system_sgpr_workgroup_id_y 0
		.amdhsa_system_sgpr_workgroup_id_z 0
		.amdhsa_system_sgpr_workgroup_info 0
		.amdhsa_system_vgpr_workitem_id 0
		.amdhsa_next_free_vgpr 125
		.amdhsa_next_free_sgpr 16
		.amdhsa_reserve_vcc 1
		.amdhsa_float_round_mode_32 0
		.amdhsa_float_round_mode_16_64 0
		.amdhsa_float_denorm_mode_32 3
		.amdhsa_float_denorm_mode_16_64 3
		.amdhsa_dx10_clamp 1
		.amdhsa_ieee_mode 1
		.amdhsa_fp16_overflow 0
		.amdhsa_workgroup_processor_mode 1
		.amdhsa_memory_ordered 1
		.amdhsa_forward_progress 0
		.amdhsa_shared_vgpr_count 0
		.amdhsa_exception_fp_ieee_invalid_op 0
		.amdhsa_exception_fp_denorm_src 0
		.amdhsa_exception_fp_ieee_div_zero 0
		.amdhsa_exception_fp_ieee_overflow 0
		.amdhsa_exception_fp_ieee_underflow 0
		.amdhsa_exception_fp_ieee_inexact 0
		.amdhsa_exception_int_div_zero 0
	.end_amdhsa_kernel
	.section	.text._ZN9rocsparseL18bsrxmvn_4x4_kernelILj128ELj64E21rocsparse_complex_numIfEllfS2_S2_EEvT3_20rocsparse_direction_NS_24const_host_device_scalarIT1_EES3_PKS3_PKT2_SC_S9_PKT4_PKT5_S7_PT6_21rocsparse_index_base_b,"axG",@progbits,_ZN9rocsparseL18bsrxmvn_4x4_kernelILj128ELj64E21rocsparse_complex_numIfEllfS2_S2_EEvT3_20rocsparse_direction_NS_24const_host_device_scalarIT1_EES3_PKS3_PKT2_SC_S9_PKT4_PKT5_S7_PT6_21rocsparse_index_base_b,comdat
.Lfunc_end134:
	.size	_ZN9rocsparseL18bsrxmvn_4x4_kernelILj128ELj64E21rocsparse_complex_numIfEllfS2_S2_EEvT3_20rocsparse_direction_NS_24const_host_device_scalarIT1_EES3_PKS3_PKT2_SC_S9_PKT4_PKT5_S7_PT6_21rocsparse_index_base_b, .Lfunc_end134-_ZN9rocsparseL18bsrxmvn_4x4_kernelILj128ELj64E21rocsparse_complex_numIfEllfS2_S2_EEvT3_20rocsparse_direction_NS_24const_host_device_scalarIT1_EES3_PKS3_PKT2_SC_S9_PKT4_PKT5_S7_PT6_21rocsparse_index_base_b
                                        ; -- End function
	.section	.AMDGPU.csdata,"",@progbits
; Kernel info:
; codeLenInByte = 7696
; NumSgprs: 18
; NumVgprs: 125
; ScratchSize: 0
; MemoryBound: 0
; FloatMode: 240
; IeeeMode: 1
; LDSByteSize: 0 bytes/workgroup (compile time only)
; SGPRBlocks: 2
; VGPRBlocks: 15
; NumSGPRsForWavesPerEU: 18
; NumVGPRsForWavesPerEU: 125
; Occupancy: 10
; WaveLimiterHint : 1
; COMPUTE_PGM_RSRC2:SCRATCH_EN: 0
; COMPUTE_PGM_RSRC2:USER_SGPR: 15
; COMPUTE_PGM_RSRC2:TRAP_HANDLER: 0
; COMPUTE_PGM_RSRC2:TGID_X_EN: 1
; COMPUTE_PGM_RSRC2:TGID_Y_EN: 0
; COMPUTE_PGM_RSRC2:TGID_Z_EN: 0
; COMPUTE_PGM_RSRC2:TIDIG_COMP_CNT: 0
	.section	.text._ZN9rocsparseL18bsrxmvn_4x4_kernelILj128ELj4E21rocsparse_complex_numIdEiidS2_S2_EEvT3_20rocsparse_direction_NS_24const_host_device_scalarIT1_EES3_PKS3_PKT2_SC_S9_PKT4_PKT5_S7_PT6_21rocsparse_index_base_b,"axG",@progbits,_ZN9rocsparseL18bsrxmvn_4x4_kernelILj128ELj4E21rocsparse_complex_numIdEiidS2_S2_EEvT3_20rocsparse_direction_NS_24const_host_device_scalarIT1_EES3_PKS3_PKT2_SC_S9_PKT4_PKT5_S7_PT6_21rocsparse_index_base_b,comdat
	.globl	_ZN9rocsparseL18bsrxmvn_4x4_kernelILj128ELj4E21rocsparse_complex_numIdEiidS2_S2_EEvT3_20rocsparse_direction_NS_24const_host_device_scalarIT1_EES3_PKS3_PKT2_SC_S9_PKT4_PKT5_S7_PT6_21rocsparse_index_base_b ; -- Begin function _ZN9rocsparseL18bsrxmvn_4x4_kernelILj128ELj4E21rocsparse_complex_numIdEiidS2_S2_EEvT3_20rocsparse_direction_NS_24const_host_device_scalarIT1_EES3_PKS3_PKT2_SC_S9_PKT4_PKT5_S7_PT6_21rocsparse_index_base_b
	.p2align	8
	.type	_ZN9rocsparseL18bsrxmvn_4x4_kernelILj128ELj4E21rocsparse_complex_numIdEiidS2_S2_EEvT3_20rocsparse_direction_NS_24const_host_device_scalarIT1_EES3_PKS3_PKT2_SC_S9_PKT4_PKT5_S7_PT6_21rocsparse_index_base_b,@function
_ZN9rocsparseL18bsrxmvn_4x4_kernelILj128ELj4E21rocsparse_complex_numIdEiidS2_S2_EEvT3_20rocsparse_direction_NS_24const_host_device_scalarIT1_EES3_PKS3_PKT2_SC_S9_PKT4_PKT5_S7_PT6_21rocsparse_index_base_b: ; @_ZN9rocsparseL18bsrxmvn_4x4_kernelILj128ELj4E21rocsparse_complex_numIdEiidS2_S2_EEvT3_20rocsparse_direction_NS_24const_host_device_scalarIT1_EES3_PKS3_PKT2_SC_S9_PKT4_PKT5_S7_PT6_21rocsparse_index_base_b
; %bb.0:
	s_load_b64 s[12:13], s[2:3], 0x68
	s_load_b64 s[16:17], s[0:1], 0x4
	s_load_b128 s[8:11], s[2:3], 0x8
	v_bfe_u32 v2, v0, 10, 10
	s_mov_b64 s[0:1], src_shared_base
	s_load_b128 s[4:7], s[2:3], 0x50
	v_and_b32_e32 v1, 0x3ff, v0
	v_bfe_u32 v0, v0, 20, 10
	s_waitcnt lgkmcnt(0)
	s_bitcmp1_b32 s13, 0
	v_mul_u32_u24_e32 v2, s17, v2
	s_cselect_b32 s0, -1, 0
	v_mov_b32_e32 v23, s11
	s_and_b32 vcc_lo, s0, exec_lo
	s_cselect_b32 s13, s1, s9
	s_lshr_b32 s14, s16, 16
	v_dual_mov_b32 v4, s4 :: v_dual_mov_b32 v5, s5
	s_mul_i32 s14, s14, s17
	v_dual_mov_b32 v7, s13 :: v_dual_mov_b32 v22, s10
	v_mad_u32_u24 v2, s14, v1, v2
	s_xor_b32 s10, s0, -1
	s_delay_alu instid0(VALU_DEP_1) | instskip(SKIP_1) | instid1(VALU_DEP_2)
	v_add_lshl_u32 v0, v2, v0, 3
	v_dual_mov_b32 v2, s8 :: v_dual_mov_b32 v3, s9
	v_add_nc_u32_e32 v6, 0x400, v0
	ds_store_2addr_stride64_b64 v0, v[4:5], v[2:3] offset1:2
	v_cndmask_b32_e64 v6, s8, v6, s0
	flat_load_b64 v[20:21], v[6:7]
	s_cbranch_vccnz .LBB135_2
; %bb.1:
	v_dual_mov_b32 v2, s8 :: v_dual_mov_b32 v3, s9
	flat_load_b64 v[22:23], v[2:3] offset:8
.LBB135_2:
	s_and_b32 s8, s0, exec_lo
	s_cselect_b32 s1, s1, s5
	v_cndmask_b32_e64 v2, s4, v0, s0
	v_mov_b32_e32 v3, s1
	v_dual_mov_b32 v19, s7 :: v_dual_mov_b32 v18, s6
	s_and_not1_b32 vcc_lo, exec_lo, s10
	flat_load_b64 v[16:17], v[2:3]
	s_cbranch_vccnz .LBB135_4
; %bb.3:
	v_dual_mov_b32 v2, s4 :: v_dual_mov_b32 v3, s5
	flat_load_b64 v[18:19], v[2:3] offset:8
.LBB135_4:
	s_waitcnt vmcnt(1) lgkmcnt(1)
	v_cmp_eq_f64_e32 vcc_lo, 0, v[20:21]
	v_cmp_eq_f64_e64 s0, 0, v[22:23]
	s_delay_alu instid0(VALU_DEP_1)
	s_and_b32 s4, vcc_lo, s0
	s_mov_b32 s0, -1
	s_and_saveexec_b32 s1, s4
	s_cbranch_execz .LBB135_6
; %bb.5:
	s_waitcnt vmcnt(0) lgkmcnt(0)
	v_cmp_neq_f64_e32 vcc_lo, 1.0, v[16:17]
	v_cmp_neq_f64_e64 s0, 0, v[18:19]
	s_delay_alu instid0(VALU_DEP_1) | instskip(NEXT) | instid1(SALU_CYCLE_1)
	s_or_b32 s0, vcc_lo, s0
	s_or_not1_b32 s0, s0, exec_lo
.LBB135_6:
	s_or_b32 exec_lo, exec_lo, s1
	s_and_saveexec_b32 s1, s0
	s_cbranch_execz .LBB135_12
; %bb.7:
	s_clause 0x1
	s_load_b64 s[4:5], s[2:3], 0x20
	s_load_b64 s[0:1], s[2:3], 0x0
	v_lshrrev_b32_e32 v0, 2, v1
	s_delay_alu instid0(VALU_DEP_1)
	v_lshl_or_b32 v24, s15, 5, v0
	s_waitcnt lgkmcnt(0)
	s_cmp_lg_u64 s[4:5], 0
	s_cbranch_scc0 .LBB135_13
; %bb.8:
	s_load_b32 s6, s[2:3], 0x18
	s_mov_b32 s7, 0
                                        ; implicit-def: $vgpr0
	s_waitcnt lgkmcnt(0)
	v_cmp_gt_i32_e32 vcc_lo, s6, v24
	s_mov_b32 s6, 0
	s_and_saveexec_b32 s8, vcc_lo
	s_delay_alu instid0(SALU_CYCLE_1)
	s_xor_b32 s8, exec_lo, s8
	s_cbranch_execz .LBB135_10
; %bb.9:
	v_ashrrev_i32_e32 v25, 31, v24
	s_mov_b32 s6, exec_lo
	s_delay_alu instid0(VALU_DEP_1) | instskip(NEXT) | instid1(VALU_DEP_1)
	v_lshlrev_b64 v[2:3], 2, v[24:25]
	v_add_co_u32 v2, vcc_lo, s4, v2
	s_delay_alu instid0(VALU_DEP_2)
	v_add_co_ci_u32_e32 v3, vcc_lo, s5, v3, vcc_lo
	global_load_b32 v0, v[2:3], off
	s_waitcnt vmcnt(0)
	v_subrev_nc_u32_e32 v0, s12, v0
.LBB135_10:
	s_or_b32 exec_lo, exec_lo, s8
	s_delay_alu instid0(SALU_CYCLE_1)
	s_and_b32 vcc_lo, exec_lo, s7
	s_cbranch_vccz .LBB135_14
.LBB135_11:
	v_cmp_gt_i32_e32 vcc_lo, s0, v24
	s_and_not1_b32 s0, s6, exec_lo
	s_and_b32 s4, vcc_lo, exec_lo
	s_delay_alu instid0(SALU_CYCLE_1) | instskip(NEXT) | instid1(SALU_CYCLE_1)
	s_or_b32 s6, s0, s4
	s_and_b32 exec_lo, exec_lo, s6
	s_cbranch_execnz .LBB135_15
.LBB135_12:
	s_nop 0
	s_sendmsg sendmsg(MSG_DEALLOC_VGPRS)
	s_endpgm
.LBB135_13:
	s_mov_b32 s6, 0
                                        ; implicit-def: $vgpr0
	s_cbranch_execnz .LBB135_11
.LBB135_14:
	s_delay_alu instid0(VALU_DEP_1)
	v_mov_b32_e32 v24, v0
	s_and_b32 exec_lo, exec_lo, s6
	s_cbranch_execz .LBB135_12
.LBB135_15:
	s_load_b256 s[4:11], s[2:3], 0x28
	s_delay_alu instid0(VALU_DEP_1) | instskip(SKIP_1) | instid1(VALU_DEP_2)
	v_ashrrev_i32_e32 v25, 31, v24
	v_and_b32_e32 v50, 3, v1
	v_lshlrev_b64 v[2:3], 2, v[24:25]
	s_waitcnt lgkmcnt(0)
	s_delay_alu instid0(VALU_DEP_1) | instskip(NEXT) | instid1(VALU_DEP_2)
	v_add_co_u32 v4, vcc_lo, s4, v2
	v_add_co_ci_u32_e32 v5, vcc_lo, s5, v3, vcc_lo
	v_add_co_u32 v0, vcc_lo, s6, v2
	v_add_co_ci_u32_e32 v2, vcc_lo, s7, v3, vcc_lo
	global_load_b32 v52, v[4:5], off
	v_add_co_u32 v4, vcc_lo, v4, 4
	v_add_co_ci_u32_e32 v3, vcc_lo, 0, v5, vcc_lo
	s_cmp_eq_u64 s[6:7], 0
	s_load_b64 s[4:5], s[2:3], 0x48
	s_cselect_b32 vcc_lo, -1, 0
	s_cmp_eq_u32 s1, 1
	v_dual_cndmask_b32 v3, v2, v3 :: v_dual_cndmask_b32 v2, v0, v4
	global_load_b32 v2, v[2:3], off
	s_waitcnt vmcnt(1)
	v_subrev_nc_u32_e32 v0, s12, v52
	s_delay_alu instid0(VALU_DEP_1) | instskip(NEXT) | instid1(VALU_DEP_1)
	v_add_nc_u32_e32 v25, v0, v50
	v_ashrrev_i32_e32 v26, 31, v25
	s_waitcnt vmcnt(0)
	v_subrev_nc_u32_e32 v51, s12, v2
	s_delay_alu instid0(VALU_DEP_2) | instskip(NEXT) | instid1(VALU_DEP_2)
	v_lshlrev_b64 v[0:1], 7, v[25:26]
	v_cmp_lt_i32_e64 s0, v25, v51
	s_delay_alu instid0(VALU_DEP_2) | instskip(NEXT) | instid1(VALU_DEP_3)
	v_add_co_u32 v27, vcc_lo, s10, v0
	v_add_co_ci_u32_e32 v28, vcc_lo, s11, v1, vcc_lo
	s_cbranch_scc1 .LBB135_27
; %bb.16:
	v_mov_b32_e32 v35, 0
	v_mov_b32_e32 v36, 0
	s_delay_alu instid0(VALU_DEP_2) | instskip(SKIP_1) | instid1(VALU_DEP_3)
	v_mov_b32_e32 v33, v35
	v_mov_b32_e32 v31, v35
	v_dual_mov_b32 v29, v35 :: v_dual_mov_b32 v30, v36
	v_dual_mov_b32 v40, v36 :: v_dual_mov_b32 v39, v35
	;; [unrolled: 1-line block ×4, first 2 shown]
	v_mov_b32_e32 v34, v36
	v_dual_mov_b32 v38, v36 :: v_dual_mov_b32 v37, v35
	v_mov_b32_e32 v32, v36
	s_and_saveexec_b32 s6, s0
	s_cbranch_execz .LBB135_26
; %bb.17:
	v_dual_mov_b32 v29, 0 :: v_dual_add_nc_u32 v0, v52, v50
	v_mov_b32_e32 v46, v28
	v_not_b32_e32 v1, v52
	v_mov_b32_e32 v47, v25
	s_delay_alu instid0(VALU_DEP_4) | instskip(SKIP_2) | instid1(VALU_DEP_1)
	v_subrev_nc_u32_e32 v0, s12, v0
	s_mov_b32 s10, 0
	s_mov_b32 s7, exec_lo
	v_dual_mov_b32 v45, v27 :: v_dual_add_nc_u32 v0, 4, v0
	s_delay_alu instid0(VALU_DEP_1) | instskip(NEXT) | instid1(VALU_DEP_1)
	v_max_i32_e32 v0, v0, v51
	v_add3_u32 v0, v0, s12, v1
	s_delay_alu instid0(VALU_DEP_1) | instskip(NEXT) | instid1(VALU_DEP_1)
	v_sub_nc_u32_e32 v0, v0, v50
	v_lshrrev_b32_e32 v1, 2, v0
	s_delay_alu instid0(VALU_DEP_1) | instskip(NEXT) | instid1(VALU_DEP_1)
	v_dual_mov_b32 v30, 0 :: v_dual_add_nc_u32 v1, 1, v1
	v_mov_b32_e32 v32, v30
	v_mov_b32_e32 v38, v30
	v_dual_mov_b32 v34, v30 :: v_dual_mov_b32 v31, v29
	s_delay_alu instid0(VALU_DEP_4)
	v_and_b32_e32 v1, 3, v1
	v_mov_b32_e32 v37, v29
	v_dual_mov_b32 v33, v29 :: v_dual_mov_b32 v44, v30
	v_dual_mov_b32 v43, v29 :: v_dual_mov_b32 v42, v30
	;; [unrolled: 1-line block ×4, first 2 shown]
	v_mov_b32_e32 v35, v29
	v_cmpx_ne_u32_e32 0, v1
	s_cbranch_execz .LBB135_21
; %bb.18:
	v_dual_mov_b32 v35, 0 :: v_dual_mov_b32 v46, v28
	v_dual_mov_b32 v36, 0 :: v_dual_lshlrev_b32 v1, 7, v1
	v_mov_b32_e32 v47, v25
	v_mov_b32_e32 v45, v27
	s_delay_alu instid0(VALU_DEP_3)
	v_dual_mov_b32 v33, v35 :: v_dual_mov_b32 v40, v36
	v_dual_mov_b32 v39, v35 :: v_dual_mov_b32 v44, v36
	;; [unrolled: 1-line block ×4, first 2 shown]
	v_mov_b32_e32 v29, v35
	v_dual_mov_b32 v41, v35 :: v_dual_mov_b32 v34, v36
	v_dual_mov_b32 v37, v35 :: v_dual_mov_b32 v30, v36
	v_mov_b32_e32 v32, v36
.LBB135_19:                             ; =>This Inner Loop Header: Depth=1
	v_ashrrev_i32_e32 v48, 31, v47
	v_add_nc_u32_e32 v1, 0xffffff80, v1
	s_delay_alu instid0(VALU_DEP_2) | instskip(NEXT) | instid1(VALU_DEP_2)
	v_lshlrev_b64 v[2:3], 2, v[47:48]
	v_cmp_eq_u32_e64 s1, 0, v1
	v_add_nc_u32_e32 v47, 4, v47
	s_delay_alu instid0(VALU_DEP_2) | instskip(NEXT) | instid1(VALU_DEP_3)
	s_or_b32 s10, s1, s10
	v_add_co_u32 v2, vcc_lo, s8, v2
	s_delay_alu instid0(VALU_DEP_4)
	v_add_co_ci_u32_e32 v3, vcc_lo, s9, v3, vcc_lo
	global_load_b32 v14, v[2:3], off
	s_clause 0x7
	global_load_b128 v[2:5], v[45:46], off offset:48
	global_load_b128 v[6:9], v[45:46], off offset:32
	;; [unrolled: 1-line block ×3, first 2 shown]
	global_load_b128 v[53:56], v[45:46], off
	global_load_b128 v[57:60], v[45:46], off offset:112
	global_load_b128 v[61:64], v[45:46], off offset:96
	;; [unrolled: 1-line block ×4, first 2 shown]
	s_waitcnt vmcnt(8)
	v_subrev_nc_u32_e32 v14, s12, v14
	s_delay_alu instid0(VALU_DEP_1) | instskip(NEXT) | instid1(VALU_DEP_1)
	v_lshlrev_b32_e32 v14, 2, v14
	v_ashrrev_i32_e32 v15, 31, v14
	s_delay_alu instid0(VALU_DEP_1) | instskip(SKIP_1) | instid1(VALU_DEP_1)
	v_lshlrev_b64 v[14:15], 4, v[14:15]
	s_waitcnt lgkmcnt(0)
	v_add_co_u32 v14, vcc_lo, s4, v14
	s_delay_alu instid0(VALU_DEP_2)
	v_add_co_ci_u32_e32 v15, vcc_lo, s5, v15, vcc_lo
	v_add_co_u32 v45, vcc_lo, 0x200, v45
	s_clause 0x3
	global_load_b128 v[73:76], v[14:15], off
	global_load_b128 v[77:80], v[14:15], off offset:16
	global_load_b128 v[81:84], v[14:15], off offset:32
	;; [unrolled: 1-line block ×3, first 2 shown]
	v_add_co_ci_u32_e32 v46, vcc_lo, 0, v46, vcc_lo
	s_waitcnt vmcnt(3)
	v_fma_f64 v[14:15], v[53:54], v[73:74], v[39:40]
	v_fma_f64 v[35:36], v[73:74], 0, v[35:36]
	v_fma_f64 v[39:40], v[6:7], v[73:74], v[43:44]
	v_fma_f64 v[41:42], v[73:74], 0, v[41:42]
	v_fma_f64 v[37:38], v[69:70], v[73:74], v[37:38]
	v_fma_f64 v[33:34], v[73:74], 0, v[33:34]
	v_fma_f64 v[29:30], v[61:62], v[73:74], v[29:30]
	v_fma_f64 v[31:32], v[73:74], 0, v[31:32]
	v_fma_f64 v[14:15], 0x80000000, v[75:76], v[14:15]
	v_fma_f64 v[35:36], v[53:54], v[75:76], v[35:36]
	v_fma_f64 v[39:40], 0x80000000, v[75:76], v[39:40]
	v_fma_f64 v[6:7], v[6:7], v[75:76], v[41:42]
	v_fma_f64 v[37:38], 0x80000000, v[75:76], v[37:38]
	v_fma_f64 v[33:34], v[69:70], v[75:76], v[33:34]
	v_fma_f64 v[29:30], 0x80000000, v[75:76], v[29:30]
	v_fma_f64 v[31:32], v[61:62], v[75:76], v[31:32]
	s_waitcnt vmcnt(2)
	v_fma_f64 v[14:15], v[55:56], v[77:78], v[14:15]
	v_fma_f64 v[35:36], v[77:78], 0, v[35:36]
	v_fma_f64 v[39:40], v[8:9], v[77:78], v[39:40]
	v_fma_f64 v[6:7], v[77:78], 0, v[6:7]
	v_fma_f64 v[37:38], v[71:72], v[77:78], v[37:38]
	v_fma_f64 v[33:34], v[77:78], 0, v[33:34]
	v_fma_f64 v[29:30], v[63:64], v[77:78], v[29:30]
	v_fma_f64 v[31:32], v[77:78], 0, v[31:32]
	v_fma_f64 v[14:15], 0x80000000, v[79:80], v[14:15]
	v_fma_f64 v[35:36], v[55:56], v[79:80], v[35:36]
	v_fma_f64 v[39:40], 0x80000000, v[79:80], v[39:40]
	v_fma_f64 v[6:7], v[8:9], v[79:80], v[6:7]
	v_fma_f64 v[8:9], 0x80000000, v[79:80], v[37:38]
	v_fma_f64 v[33:34], v[71:72], v[79:80], v[33:34]
	v_fma_f64 v[29:30], 0x80000000, v[79:80], v[29:30]
	v_fma_f64 v[31:32], v[63:64], v[79:80], v[31:32]
	;; [unrolled: 17-line block ×4, first 2 shown]
	s_and_not1_b32 exec_lo, exec_lo, s10
	s_cbranch_execnz .LBB135_19
; %bb.20:
	s_or_b32 exec_lo, exec_lo, s10
.LBB135_21:
	s_delay_alu instid0(SALU_CYCLE_1) | instskip(NEXT) | instid1(SALU_CYCLE_1)
	s_or_b32 exec_lo, exec_lo, s7
	s_mov_b32 s7, exec_lo
	v_cmpx_lt_u32_e32 11, v0
	s_cbranch_execz .LBB135_25
; %bb.22:
	s_mov_b32 s10, 0
.LBB135_23:                             ; =>This Inner Loop Header: Depth=1
	v_ashrrev_i32_e32 v48, 31, v47
	s_delay_alu instid0(VALU_DEP_1) | instskip(SKIP_1) | instid1(VALU_DEP_2)
	v_lshlrev_b64 v[0:1], 2, v[47:48]
	v_add_nc_u32_e32 v47, 16, v47
	v_add_co_u32 v48, vcc_lo, s8, v0
	s_delay_alu instid0(VALU_DEP_3)
	v_add_co_ci_u32_e32 v49, vcc_lo, s9, v1, vcc_lo
	global_load_b32 v26, v[48:49], off
	s_clause 0x3
	global_load_b128 v[8:11], v[45:46], off offset:32
	global_load_b128 v[12:15], v[45:46], off
	global_load_b128 v[0:3], v[45:46], off offset:96
	global_load_b128 v[4:7], v[45:46], off offset:64
	s_clause 0x2
	global_load_b32 v101, v[48:49], off offset:16
	global_load_b32 v109, v[48:49], off offset:32
	;; [unrolled: 1-line block ×3, first 2 shown]
	s_waitcnt vmcnt(7)
	v_subrev_nc_u32_e32 v26, s12, v26
	s_delay_alu instid0(VALU_DEP_1) | instskip(SKIP_2) | instid1(VALU_DEP_2)
	v_lshlrev_b32_e32 v48, 2, v26
	s_waitcnt vmcnt(2)
	v_subrev_nc_u32_e32 v26, s12, v101
	v_ashrrev_i32_e32 v49, 31, v48
	s_delay_alu instid0(VALU_DEP_1) | instskip(SKIP_1) | instid1(VALU_DEP_1)
	v_lshlrev_b64 v[48:49], 4, v[48:49]
	s_waitcnt lgkmcnt(0)
	v_add_co_u32 v48, vcc_lo, s4, v48
	s_delay_alu instid0(VALU_DEP_2)
	v_add_co_ci_u32_e32 v49, vcc_lo, s5, v49, vcc_lo
	s_clause 0x1
	global_load_b128 v[53:56], v[48:49], off
	global_load_b128 v[57:60], v[48:49], off offset:16
	s_clause 0x3
	global_load_b128 v[61:64], v[45:46], off offset:48
	global_load_b128 v[65:68], v[45:46], off offset:16
	;; [unrolled: 1-line block ×4, first 2 shown]
	s_clause 0x1
	global_load_b128 v[77:80], v[48:49], off offset:32
	global_load_b128 v[81:84], v[48:49], off offset:48
	s_clause 0x3
	global_load_b128 v[85:88], v[45:46], off offset:544
	global_load_b128 v[89:92], v[45:46], off offset:512
	;; [unrolled: 1-line block ×4, first 2 shown]
	v_lshlrev_b32_e32 v48, 2, v26
	s_waitcnt vmcnt(13)
	v_subrev_nc_u32_e32 v26, s12, v109
	s_delay_alu instid0(VALU_DEP_2) | instskip(NEXT) | instid1(VALU_DEP_2)
	v_ashrrev_i32_e32 v49, 31, v48
	v_lshlrev_b32_e32 v109, 2, v26
	s_waitcnt vmcnt(12)
	v_subrev_nc_u32_e32 v26, s12, v111
	s_delay_alu instid0(VALU_DEP_3) | instskip(NEXT) | instid1(VALU_DEP_3)
	v_lshlrev_b64 v[48:49], 4, v[48:49]
	v_ashrrev_i32_e32 v110, 31, v109
	s_delay_alu instid0(VALU_DEP_2) | instskip(NEXT) | instid1(VALU_DEP_3)
	v_add_co_u32 v48, vcc_lo, s4, v48
	v_add_co_ci_u32_e32 v49, vcc_lo, s5, v49, vcc_lo
	global_load_b128 v[101:104], v[48:49], off
	s_waitcnt vmcnt(12)
	v_fma_f64 v[35:36], v[53:54], 0, v[35:36]
	v_fma_f64 v[41:42], v[53:54], 0, v[41:42]
	;; [unrolled: 1-line block ×16, first 2 shown]
	global_load_b128 v[29:32], v[48:49], off offset:16
	s_waitcnt vmcnt(12)
	v_fma_f64 v[12:13], v[57:58], 0, v[12:13]
	v_fma_f64 v[8:9], v[57:58], 0, v[8:9]
	;; [unrolled: 1-line block ×16, first 2 shown]
	s_clause 0x3
	global_load_b128 v[0:3], v[45:46], off offset:560
	global_load_b128 v[4:7], v[45:46], off offset:528
	global_load_b128 v[8:11], v[45:46], off offset:624
	global_load_b128 v[12:15], v[45:46], off offset:592
	global_load_b128 v[33:36], v[48:49], off offset:32
	s_waitcnt vmcnt(12)
	v_fma_f64 v[41:42], v[77:78], 0, v[41:42]
	v_fma_f64 v[43:44], v[77:78], 0, v[43:44]
	;; [unrolled: 1-line block ×16, first 2 shown]
	global_load_b128 v[37:40], v[48:49], off offset:48
	s_waitcnt vmcnt(12)
	v_fma_f64 v[48:49], v[81:82], 0, v[41:42]
	v_fma_f64 v[69:70], v[81:82], 0, v[43:44]
	;; [unrolled: 1-line block ×8, first 2 shown]
	s_clause 0x3
	global_load_b128 v[41:44], v[45:46], off offset:1056
	global_load_b128 v[53:56], v[45:46], off offset:1024
	;; [unrolled: 1-line block ×4, first 2 shown]
	v_fma_f64 v[48:49], v[67:68], v[83:84], v[48:49]
	v_fma_f64 v[67:68], v[63:64], v[83:84], v[69:70]
	;; [unrolled: 1-line block ×8, first 2 shown]
	v_lshlrev_b64 v[61:62], 4, v[109:110]
	s_delay_alu instid0(VALU_DEP_1) | instskip(NEXT) | instid1(VALU_DEP_2)
	v_add_co_u32 v107, vcc_lo, s4, v61
	v_add_co_ci_u32_e32 v108, vcc_lo, s5, v62, vcc_lo
	global_load_b128 v[61:64], v[107:108], off
	s_waitcnt vmcnt(12)
	v_fma_f64 v[48:49], v[101:102], 0, v[48:49]
	v_fma_f64 v[67:68], v[101:102], 0, v[67:68]
	v_fma_f64 v[69:70], v[89:90], v[101:102], v[69:70]
	v_fma_f64 v[73:74], v[85:86], v[101:102], v[73:74]
	v_fma_f64 v[65:66], v[97:98], v[101:102], v[65:66]
	v_fma_f64 v[75:76], v[101:102], 0, v[75:76]
	v_fma_f64 v[81:82], v[93:94], v[101:102], v[105:106]
	v_fma_f64 v[71:72], v[101:102], 0, v[71:72]
	v_fma_f64 v[48:49], v[89:90], v[103:104], v[48:49]
	v_fma_f64 v[83:84], v[85:86], v[103:104], v[67:68]
	v_fma_f64 v[69:70], 0x80000000, v[103:104], v[69:70]
	v_fma_f64 v[73:74], 0x80000000, v[103:104], v[73:74]
	v_fma_f64 v[85:86], 0x80000000, v[103:104], v[65:66]
	global_load_b128 v[65:68], v[107:108], off offset:16
	v_fma_f64 v[75:76], v[97:98], v[103:104], v[75:76]
	v_fma_f64 v[81:82], 0x80000000, v[103:104], v[81:82]
	;; [unrolled: 1-line block ×3, first 2 shown]
	s_waitcnt vmcnt(12)
	v_fma_f64 v[48:49], v[29:30], 0, v[48:49]
	v_fma_f64 v[83:84], v[29:30], 0, v[83:84]
	;; [unrolled: 1-line block ×16, first 2 shown]
	s_clause 0x3
	global_load_b128 v[29:32], v[45:46], off offset:1072
	global_load_b128 v[69:72], v[45:46], off offset:1040
	global_load_b128 v[73:76], v[45:46], off offset:1136
	global_load_b128 v[81:84], v[45:46], off offset:1104
	global_load_b128 v[85:88], v[107:108], off offset:32
	s_waitcnt vmcnt(12)
	v_fma_f64 v[48:49], v[33:34], 0, v[48:49]
	v_fma_f64 v[89:90], v[33:34], 0, v[89:90]
	;; [unrolled: 1-line block ×16, first 2 shown]
	global_load_b128 v[33:36], v[107:108], off offset:48
	s_waitcnt vmcnt(12)
	v_fma_f64 v[4:5], v[37:38], 0, v[4:5]
	v_fma_f64 v[0:1], v[37:38], 0, v[0:1]
	;; [unrolled: 1-line block ×8, first 2 shown]
	v_lshlrev_b32_e32 v37, 2, v26
	s_clause 0x3
	global_load_b128 v[89:92], v[45:46], off offset:1568
	global_load_b128 v[93:96], v[45:46], off offset:1536
	;; [unrolled: 1-line block ×4, first 2 shown]
	v_ashrrev_i32_e32 v38, 31, v37
	v_fma_f64 v[4:5], v[6:7], v[39:40], v[4:5]
	v_fma_f64 v[6:7], v[2:3], v[39:40], v[0:1]
	;; [unrolled: 1-line block ×5, first 2 shown]
	v_lshlrev_b64 v[0:1], 4, v[37:38]
	v_fma_f64 v[12:13], v[14:15], v[39:40], v[12:13]
	v_fma_f64 v[14:15], 0x80000000, v[39:40], v[109:110]
	;; [unrolled: 1-line block ×3, first 2 shown]
	s_delay_alu instid0(VALU_DEP_4)
	v_add_co_u32 v109, vcc_lo, s4, v0
	v_add_co_ci_u32_e32 v110, vcc_lo, s5, v1, vcc_lo
	v_cmp_ge_i32_e32 vcc_lo, v47, v51
	global_load_b128 v[0:3], v[109:110], off
	s_or_b32 s10, vcc_lo, s10
	s_waitcnt vmcnt(12)
	v_fma_f64 v[4:5], v[61:62], 0, v[4:5]
	v_fma_f64 v[6:7], v[61:62], 0, v[6:7]
	;; [unrolled: 1-line block ×10, first 2 shown]
	global_load_b128 v[4:7], v[109:110], off offset:16
	v_fma_f64 v[10:11], 0x80000000, v[63:64], v[10:11]
	v_fma_f64 v[37:38], 0x80000000, v[63:64], v[37:38]
	;; [unrolled: 1-line block ×6, first 2 shown]
	s_waitcnt vmcnt(12)
	v_fma_f64 v[48:49], v[65:66], 0, v[48:49]
	v_fma_f64 v[41:42], v[65:66], 0, v[41:42]
	;; [unrolled: 1-line block ×16, first 2 shown]
	s_clause 0x3
	global_load_b128 v[8:11], v[45:46], off offset:1584
	global_load_b128 v[12:15], v[45:46], off offset:1552
	;; [unrolled: 1-line block ×5, first 2 shown]
	v_add_co_u32 v45, s1, 0x800, v45
	s_delay_alu instid0(VALU_DEP_1)
	v_add_co_ci_u32_e64 v46, s1, 0, v46, s1
	s_waitcnt vmcnt(12)
	v_fma_f64 v[48:49], v[85:86], 0, v[48:49]
	v_fma_f64 v[41:42], v[85:86], 0, v[41:42]
	;; [unrolled: 1-line block ×16, first 2 shown]
	global_load_b128 v[61:64], v[109:110], off offset:48
	s_waitcnt vmcnt(12)
	v_fma_f64 v[48:49], v[33:34], 0, v[48:49]
	v_fma_f64 v[29:30], v[33:34], 0, v[29:30]
	v_fma_f64 v[73:74], v[71:72], v[33:34], v[79:80]
	v_fma_f64 v[69:70], v[31:32], v[33:34], v[69:70]
	v_fma_f64 v[41:42], v[83:84], v[33:34], v[41:42]
	v_fma_f64 v[43:44], v[33:34], 0, v[43:44]
	v_fma_f64 v[65:66], v[75:76], v[33:34], v[65:66]
	v_fma_f64 v[33:34], v[33:34], 0, v[67:68]
	v_fma_f64 v[48:49], v[71:72], v[35:36], v[48:49]
	v_fma_f64 v[29:30], v[31:32], v[35:36], v[29:30]
	v_fma_f64 v[67:68], 0x80000000, v[35:36], v[73:74]
	v_fma_f64 v[69:70], 0x80000000, v[35:36], v[69:70]
	v_fma_f64 v[31:32], 0x80000000, v[35:36], v[41:42]
	v_fma_f64 v[41:42], v[83:84], v[35:36], v[43:44]
	v_fma_f64 v[43:44], 0x80000000, v[35:36], v[65:66]
	v_fma_f64 v[33:34], v[75:76], v[35:36], v[33:34]
	s_waitcnt vmcnt(7)
	v_fma_f64 v[48:49], v[0:1], 0, v[48:49]
	v_fma_f64 v[29:30], v[0:1], 0, v[29:30]
	v_fma_f64 v[35:36], v[93:94], v[0:1], v[67:68]
	v_fma_f64 v[65:66], v[89:90], v[0:1], v[69:70]
	v_fma_f64 v[31:32], v[101:102], v[0:1], v[31:32]
	v_fma_f64 v[41:42], v[0:1], 0, v[41:42]
	v_fma_f64 v[43:44], v[97:98], v[0:1], v[43:44]
	v_fma_f64 v[0:1], v[0:1], 0, v[33:34]
	v_fma_f64 v[29:30], v[89:90], v[2:3], v[29:30]
	v_fma_f64 v[33:34], 0x80000000, v[2:3], v[35:36]
	v_fma_f64 v[35:36], v[93:94], v[2:3], v[48:49]
	v_fma_f64 v[48:49], 0x80000000, v[2:3], v[65:66]
	v_fma_f64 v[31:32], 0x80000000, v[2:3], v[31:32]
	v_fma_f64 v[41:42], v[101:102], v[2:3], v[41:42]
	v_fma_f64 v[43:44], 0x80000000, v[2:3], v[43:44]
	v_fma_f64 v[0:1], v[97:98], v[2:3], v[0:1]
	;; [unrolled: 17-line block ×5, first 2 shown]
	s_and_not1_b32 exec_lo, exec_lo, s10
	s_cbranch_execnz .LBB135_23
; %bb.24:
	s_or_b32 exec_lo, exec_lo, s10
.LBB135_25:
	s_delay_alu instid0(SALU_CYCLE_1)
	s_or_b32 exec_lo, exec_lo, s7
.LBB135_26:
	s_delay_alu instid0(SALU_CYCLE_1)
	s_or_b32 exec_lo, exec_lo, s6
	s_cbranch_execz .LBB135_28
	s_branch .LBB135_39
.LBB135_27:
                                        ; implicit-def: $vgpr35_vgpr36
                                        ; implicit-def: $vgpr39_vgpr40
                                        ; implicit-def: $vgpr41_vgpr42
                                        ; implicit-def: $vgpr43_vgpr44
                                        ; implicit-def: $vgpr33_vgpr34
                                        ; implicit-def: $vgpr37_vgpr38
                                        ; implicit-def: $vgpr31_vgpr32
                                        ; implicit-def: $vgpr29_vgpr30
.LBB135_28:
	v_mov_b32_e32 v35, 0
	v_mov_b32_e32 v36, 0
	s_delay_alu instid0(VALU_DEP_2) | instskip(SKIP_1) | instid1(VALU_DEP_3)
	v_mov_b32_e32 v33, v35
	v_mov_b32_e32 v31, v35
	v_dual_mov_b32 v29, v35 :: v_dual_mov_b32 v30, v36
	v_dual_mov_b32 v40, v36 :: v_dual_mov_b32 v39, v35
	;; [unrolled: 1-line block ×4, first 2 shown]
	v_mov_b32_e32 v34, v36
	v_dual_mov_b32 v38, v36 :: v_dual_mov_b32 v37, v35
	v_mov_b32_e32 v32, v36
	s_and_saveexec_b32 s1, s0
	s_cbranch_execz .LBB135_38
; %bb.29:
	v_dual_mov_b32 v29, 0 :: v_dual_add_nc_u32 v0, v52, v50
	v_mov_b32_e32 v30, 0
	v_not_b32_e32 v1, v52
	s_mov_b32 s7, 0
	s_delay_alu instid0(VALU_DEP_3) | instskip(SKIP_2) | instid1(VALU_DEP_2)
	v_subrev_nc_u32_e32 v0, s12, v0
	s_mov_b32 s6, exec_lo
	v_dual_mov_b32 v32, v30 :: v_dual_mov_b32 v31, v29
	v_add_nc_u32_e32 v0, 4, v0
	s_delay_alu instid0(VALU_DEP_1) | instskip(NEXT) | instid1(VALU_DEP_1)
	v_max_i32_e32 v0, v0, v51
	v_add3_u32 v0, v0, s12, v1
	s_delay_alu instid0(VALU_DEP_1) | instskip(NEXT) | instid1(VALU_DEP_1)
	v_sub_nc_u32_e32 v0, v0, v50
	v_lshrrev_b32_e32 v1, 2, v0
	s_delay_alu instid0(VALU_DEP_1) | instskip(SKIP_2) | instid1(VALU_DEP_3)
	v_dual_mov_b32 v38, v30 :: v_dual_add_nc_u32 v1, 1, v1
	v_dual_mov_b32 v37, v29 :: v_dual_mov_b32 v34, v30
	v_mov_b32_e32 v33, v29
	v_dual_mov_b32 v44, v30 :: v_dual_and_b32 v1, 3, v1
	v_dual_mov_b32 v43, v29 :: v_dual_mov_b32 v42, v30
	v_dual_mov_b32 v41, v29 :: v_dual_mov_b32 v40, v30
	;; [unrolled: 1-line block ×3, first 2 shown]
	v_mov_b32_e32 v35, v29
	v_cmpx_ne_u32_e32 0, v1
	s_cbranch_execz .LBB135_33
; %bb.30:
	v_mov_b32_e32 v35, 0
	v_dual_mov_b32 v36, 0 :: v_dual_lshlrev_b32 v1, 7, v1
	s_delay_alu instid0(VALU_DEP_2) | instskip(SKIP_1) | instid1(VALU_DEP_3)
	v_mov_b32_e32 v33, v35
	v_mov_b32_e32 v31, v35
	v_dual_mov_b32 v29, v35 :: v_dual_mov_b32 v30, v36
	v_dual_mov_b32 v40, v36 :: v_dual_mov_b32 v39, v35
	;; [unrolled: 1-line block ×4, first 2 shown]
	v_mov_b32_e32 v34, v36
	v_dual_mov_b32 v38, v36 :: v_dual_mov_b32 v37, v35
	v_mov_b32_e32 v32, v36
.LBB135_31:                             ; =>This Inner Loop Header: Depth=1
	v_ashrrev_i32_e32 v26, 31, v25
	v_add_nc_u32_e32 v1, 0xffffff80, v1
	s_delay_alu instid0(VALU_DEP_2) | instskip(NEXT) | instid1(VALU_DEP_2)
	v_lshlrev_b64 v[2:3], 2, v[25:26]
	v_cmp_eq_u32_e64 s0, 0, v1
	v_add_nc_u32_e32 v25, 4, v25
	s_delay_alu instid0(VALU_DEP_2) | instskip(NEXT) | instid1(VALU_DEP_3)
	s_or_b32 s7, s0, s7
	v_add_co_u32 v2, vcc_lo, s8, v2
	s_delay_alu instid0(VALU_DEP_4)
	v_add_co_ci_u32_e32 v3, vcc_lo, s9, v3, vcc_lo
	global_load_b32 v10, v[2:3], off
	s_clause 0x1
	global_load_b128 v[2:5], v[27:28], off offset:16
	global_load_b128 v[6:9], v[27:28], off
	s_waitcnt vmcnt(2)
	v_subrev_nc_u32_e32 v10, s12, v10
	s_delay_alu instid0(VALU_DEP_1) | instskip(NEXT) | instid1(VALU_DEP_1)
	v_lshlrev_b32_e32 v10, 2, v10
	v_ashrrev_i32_e32 v11, 31, v10
	s_delay_alu instid0(VALU_DEP_1) | instskip(SKIP_1) | instid1(VALU_DEP_1)
	v_lshlrev_b64 v[10:11], 4, v[10:11]
	s_waitcnt lgkmcnt(0)
	v_add_co_u32 v14, vcc_lo, s4, v10
	s_delay_alu instid0(VALU_DEP_2)
	v_add_co_ci_u32_e32 v15, vcc_lo, s5, v11, vcc_lo
	s_clause 0x1
	global_load_b128 v[10:13], v[14:15], off
	global_load_b128 v[45:48], v[14:15], off offset:16
	s_clause 0x3
	global_load_b128 v[52:55], v[27:28], off offset:32
	global_load_b128 v[56:59], v[27:28], off offset:48
	;; [unrolled: 1-line block ×4, first 2 shown]
	s_clause 0x1
	global_load_b128 v[68:71], v[14:15], off offset:32
	global_load_b128 v[72:75], v[14:15], off offset:48
	s_clause 0x1
	global_load_b128 v[76:79], v[27:28], off offset:96
	global_load_b128 v[80:83], v[27:28], off offset:112
	v_add_co_u32 v27, vcc_lo, 0x200, v27
	v_add_co_ci_u32_e32 v28, vcc_lo, 0, v28, vcc_lo
	s_waitcnt vmcnt(9)
	v_fma_f64 v[14:15], v[6:7], v[10:11], v[39:40]
	v_fma_f64 v[35:36], v[10:11], 0, v[35:36]
	;; [unrolled: 1-line block ×16, first 2 shown]
	s_waitcnt vmcnt(7)
	v_fma_f64 v[10:11], v[52:53], v[45:46], v[14:15]
	v_fma_f64 v[6:7], v[45:46], 0, v[6:7]
	;; [unrolled: 1-line block ×4, first 2 shown]
	s_waitcnt vmcnt(6)
	v_fma_f64 v[14:15], v[56:57], v[45:46], v[35:36]
	v_fma_f64 v[2:3], v[45:46], 0, v[2:3]
	;; [unrolled: 1-line block ×12, first 2 shown]
	s_waitcnt vmcnt(3)
	v_fma_f64 v[10:11], v[64:65], v[68:69], v[10:11]
	v_fma_f64 v[6:7], v[68:69], 0, v[6:7]
	;; [unrolled: 1-line block ×16, first 2 shown]
	s_waitcnt vmcnt(1)
	v_fma_f64 v[10:11], v[76:77], v[72:73], v[10:11]
	v_fma_f64 v[6:7], v[72:73], 0, v[6:7]
	;; [unrolled: 1-line block ×4, first 2 shown]
	s_waitcnt vmcnt(0)
	v_fma_f64 v[14:15], v[80:81], v[72:73], v[14:15]
	v_fma_f64 v[2:3], v[72:73], 0, v[2:3]
	;; [unrolled: 1-line block ×12, first 2 shown]
	s_and_not1_b32 exec_lo, exec_lo, s7
	s_cbranch_execnz .LBB135_31
; %bb.32:
	s_or_b32 exec_lo, exec_lo, s7
.LBB135_33:
	s_delay_alu instid0(SALU_CYCLE_1) | instskip(NEXT) | instid1(SALU_CYCLE_1)
	s_or_b32 exec_lo, exec_lo, s6
	s_mov_b32 s6, exec_lo
	v_cmpx_lt_u32_e32 11, v0
	s_cbranch_execz .LBB135_37
; %bb.34:
	s_mov_b32 s7, 0
.LBB135_35:                             ; =>This Inner Loop Header: Depth=1
	v_ashrrev_i32_e32 v26, 31, v25
	s_delay_alu instid0(VALU_DEP_1) | instskip(SKIP_1) | instid1(VALU_DEP_2)
	v_lshlrev_b64 v[0:1], 2, v[25:26]
	v_add_nc_u32_e32 v25, 16, v25
	v_add_co_u32 v8, vcc_lo, s8, v0
	s_delay_alu instid0(VALU_DEP_3)
	v_add_co_ci_u32_e32 v9, vcc_lo, s9, v1, vcc_lo
	global_load_b32 v10, v[8:9], off
	s_clause 0x1
	global_load_b128 v[0:3], v[27:28], off offset:16
	global_load_b128 v[4:7], v[27:28], off
	s_clause 0x2
	global_load_b32 v26, v[8:9], off offset:16
	global_load_b32 v49, v[8:9], off offset:32
	;; [unrolled: 1-line block ×3, first 2 shown]
	s_waitcnt vmcnt(5)
	v_subrev_nc_u32_e32 v8, s12, v10
	s_waitcnt vmcnt(2)
	v_subrev_nc_u32_e32 v26, s12, v26
	s_delay_alu instid0(VALU_DEP_2) | instskip(NEXT) | instid1(VALU_DEP_2)
	v_lshlrev_b32_e32 v8, 2, v8
	v_lshlrev_b32_e32 v88, 2, v26
	s_waitcnt vmcnt(1)
	v_subrev_nc_u32_e32 v26, s12, v49
	s_delay_alu instid0(VALU_DEP_3) | instskip(NEXT) | instid1(VALU_DEP_3)
	v_ashrrev_i32_e32 v9, 31, v8
	v_ashrrev_i32_e32 v89, 31, v88
	s_delay_alu instid0(VALU_DEP_3) | instskip(NEXT) | instid1(VALU_DEP_3)
	v_lshlrev_b32_e32 v98, 2, v26
	v_lshlrev_b64 v[8:9], 4, v[8:9]
	s_waitcnt vmcnt(0)
	v_subrev_nc_u32_e32 v26, s12, v100
	v_lshlrev_b64 v[88:89], 4, v[88:89]
	v_ashrrev_i32_e32 v99, 31, v98
	s_waitcnt lgkmcnt(0)
	v_add_co_u32 v76, vcc_lo, s4, v8
	v_add_co_ci_u32_e32 v77, vcc_lo, s5, v9, vcc_lo
	s_delay_alu instid0(VALU_DEP_4)
	v_add_co_u32 v92, vcc_lo, s4, v88
	v_add_co_ci_u32_e32 v93, vcc_lo, s5, v89, vcc_lo
	global_load_b128 v[8:11], v[76:77], off
	s_clause 0x1
	global_load_b128 v[12:15], v[27:28], off offset:32
	global_load_b128 v[45:48], v[27:28], off offset:48
	global_load_b128 v[52:55], v[76:77], off offset:16
	s_clause 0x1
	global_load_b128 v[56:59], v[27:28], off offset:80
	global_load_b128 v[60:63], v[27:28], off offset:64
	global_load_b128 v[64:67], v[76:77], off offset:32
	;; [unrolled: 4-line block ×3, first 2 shown]
	s_clause 0x1
	global_load_b128 v[80:83], v[27:28], off offset:528
	global_load_b128 v[84:87], v[27:28], off offset:512
	global_load_b128 v[88:91], v[92:93], off
	s_waitcnt vmcnt(12)
	v_fma_f64 v[39:40], v[4:5], v[8:9], v[39:40]
	v_fma_f64 v[35:36], v[8:9], 0, v[35:36]
	v_fma_f64 v[43:44], v[6:7], v[8:9], v[43:44]
	v_fma_f64 v[41:42], v[8:9], 0, v[41:42]
	v_fma_f64 v[37:38], v[0:1], v[8:9], v[37:38]
	v_fma_f64 v[33:34], v[8:9], 0, v[33:34]
	v_fma_f64 v[29:30], v[2:3], v[8:9], v[29:30]
	v_fma_f64 v[8:9], v[8:9], 0, v[31:32]
	v_fma_f64 v[31:32], 0x80000000, v[10:11], v[39:40]
	v_fma_f64 v[35:36], v[4:5], v[10:11], v[35:36]
	v_fma_f64 v[39:40], 0x80000000, v[10:11], v[43:44]
	v_fma_f64 v[41:42], v[6:7], v[10:11], v[41:42]
	v_fma_f64 v[37:38], 0x80000000, v[10:11], v[37:38]
	v_fma_f64 v[33:34], v[0:1], v[10:11], v[33:34]
	v_fma_f64 v[29:30], 0x80000000, v[10:11], v[29:30]
	v_fma_f64 v[43:44], v[2:3], v[10:11], v[8:9]
	s_clause 0x1
	global_load_b128 v[0:3], v[27:28], off offset:544
	global_load_b128 v[4:7], v[27:28], off offset:560
	global_load_b128 v[8:11], v[92:93], off offset:16
	s_waitcnt vmcnt(12)
	v_fma_f64 v[31:32], v[12:13], v[52:53], v[31:32]
	v_fma_f64 v[35:36], v[52:53], 0, v[35:36]
	v_fma_f64 v[39:40], v[14:15], v[52:53], v[39:40]
	v_fma_f64 v[41:42], v[52:53], 0, v[41:42]
	v_fma_f64 v[37:38], v[45:46], v[52:53], v[37:38]
	v_fma_f64 v[33:34], v[52:53], 0, v[33:34]
	v_fma_f64 v[29:30], v[47:48], v[52:53], v[29:30]
	v_fma_f64 v[43:44], v[52:53], 0, v[43:44]
	v_fma_f64 v[52:53], 0x80000000, v[54:55], v[31:32]
	v_fma_f64 v[94:95], v[12:13], v[54:55], v[35:36]
	v_fma_f64 v[39:40], 0x80000000, v[54:55], v[39:40]
	v_fma_f64 v[41:42], v[14:15], v[54:55], v[41:42]
	v_fma_f64 v[37:38], 0x80000000, v[54:55], v[37:38]
	v_fma_f64 v[45:46], v[45:46], v[54:55], v[33:34]
	v_fma_f64 v[96:97], 0x80000000, v[54:55], v[29:30]
	v_fma_f64 v[43:44], v[47:48], v[54:55], v[43:44]
	s_clause 0x1
	global_load_b128 v[12:15], v[27:28], off offset:592
	global_load_b128 v[29:32], v[27:28], off offset:576
	global_load_b128 v[33:36], v[92:93], off offset:32
	;; [unrolled: 21-line block ×3, first 2 shown]
	s_waitcnt vmcnt(12)
	v_fma_f64 v[64:65], v[68:69], v[76:77], v[64:65]
	v_fma_f64 v[66:67], v[76:77], 0, v[52:53]
	;; [unrolled: 1-line block ×8, first 2 shown]
	s_clause 0x1
	global_load_b128 v[52:55], v[27:28], off offset:1040
	global_load_b128 v[56:59], v[27:28], off offset:1024
	v_fma_f64 v[64:65], 0x80000000, v[78:79], v[64:65]
	v_fma_f64 v[66:67], v[68:69], v[78:79], v[66:67]
	;; [unrolled: 1-line block ×8, first 2 shown]
	v_lshlrev_b64 v[60:61], 4, v[98:99]
	s_delay_alu instid0(VALU_DEP_1) | instskip(NEXT) | instid1(VALU_DEP_2)
	v_add_co_u32 v76, vcc_lo, s4, v60
	v_add_co_ci_u32_e32 v77, vcc_lo, s5, v61, vcc_lo
	global_load_b128 v[60:63], v[76:77], off
	s_waitcnt vmcnt(12)
	v_fma_f64 v[64:65], v[84:85], v[88:89], v[64:65]
	v_fma_f64 v[66:67], v[88:89], 0, v[66:67]
	v_fma_f64 v[68:69], v[86:87], v[88:89], v[68:69]
	v_fma_f64 v[70:71], v[88:89], 0, v[70:71]
	v_fma_f64 v[78:79], v[80:81], v[88:89], v[92:93]
	v_fma_f64 v[72:73], v[88:89], 0, v[72:73]
	v_fma_f64 v[92:93], v[82:83], v[88:89], v[94:95]
	v_fma_f64 v[74:75], v[88:89], 0, v[74:75]
	v_fma_f64 v[88:89], 0x80000000, v[90:91], v[64:65]
	v_fma_f64 v[84:85], v[84:85], v[90:91], v[66:67]
	v_fma_f64 v[94:95], 0x80000000, v[90:91], v[68:69]
	v_fma_f64 v[86:87], v[86:87], v[90:91], v[70:71]
	v_fma_f64 v[78:79], 0x80000000, v[90:91], v[78:79]
	v_fma_f64 v[80:81], v[80:81], v[90:91], v[72:73]
	v_fma_f64 v[92:93], 0x80000000, v[90:91], v[92:93]
	v_fma_f64 v[82:83], v[82:83], v[90:91], v[74:75]
	s_clause 0x1
	global_load_b128 v[64:67], v[27:28], off offset:1056
	global_load_b128 v[68:71], v[27:28], off offset:1072
	global_load_b128 v[72:75], v[76:77], off offset:16
	s_waitcnt vmcnt(12)
	v_fma_f64 v[88:89], v[0:1], v[8:9], v[88:89]
	v_fma_f64 v[84:85], v[8:9], 0, v[84:85]
	v_fma_f64 v[90:91], v[2:3], v[8:9], v[94:95]
	v_fma_f64 v[86:87], v[8:9], 0, v[86:87]
	v_fma_f64 v[78:79], v[4:5], v[8:9], v[78:79]
	v_fma_f64 v[80:81], v[8:9], 0, v[80:81]
	v_fma_f64 v[92:93], v[6:7], v[8:9], v[92:93]
	v_fma_f64 v[8:9], v[8:9], 0, v[82:83]
	v_fma_f64 v[82:83], 0x80000000, v[10:11], v[88:89]
	v_fma_f64 v[84:85], v[0:1], v[10:11], v[84:85]
	v_fma_f64 v[88:89], 0x80000000, v[10:11], v[90:91]
	v_fma_f64 v[86:87], v[2:3], v[10:11], v[86:87]
	v_fma_f64 v[78:79], 0x80000000, v[10:11], v[78:79]
	v_fma_f64 v[80:81], v[4:5], v[10:11], v[80:81]
	v_fma_f64 v[90:91], 0x80000000, v[10:11], v[92:93]
	v_fma_f64 v[92:93], v[6:7], v[10:11], v[8:9]
	s_clause 0x1
	global_load_b128 v[0:3], v[27:28], off offset:1104
	global_load_b128 v[4:7], v[27:28], off offset:1088
	global_load_b128 v[8:11], v[76:77], off offset:32
	s_waitcnt vmcnt(12)
	v_fma_f64 v[82:83], v[29:30], v[33:34], v[82:83]
	v_fma_f64 v[84:85], v[33:34], 0, v[84:85]
	v_fma_f64 v[88:89], v[31:32], v[33:34], v[88:89]
	v_fma_f64 v[86:87], v[33:34], 0, v[86:87]
	v_fma_f64 v[78:79], v[12:13], v[33:34], v[78:79]
	v_fma_f64 v[80:81], v[33:34], 0, v[80:81]
	v_fma_f64 v[90:91], v[14:15], v[33:34], v[90:91]
	v_fma_f64 v[33:34], v[33:34], 0, v[92:93]
	v_fma_f64 v[82:83], 0x80000000, v[35:36], v[82:83]
	v_fma_f64 v[84:85], v[29:30], v[35:36], v[84:85]
	v_fma_f64 v[88:89], 0x80000000, v[35:36], v[88:89]
	v_fma_f64 v[86:87], v[31:32], v[35:36], v[86:87]
	v_fma_f64 v[78:79], 0x80000000, v[35:36], v[78:79]
	v_fma_f64 v[80:81], v[12:13], v[35:36], v[80:81]
	v_fma_f64 v[90:91], 0x80000000, v[35:36], v[90:91]
	v_fma_f64 v[92:93], v[14:15], v[35:36], v[33:34]
	s_clause 0x1
	global_load_b128 v[12:15], v[27:28], off offset:1120
	global_load_b128 v[29:32], v[27:28], off offset:1136
	global_load_b128 v[33:36], v[76:77], off offset:48
	s_waitcnt vmcnt(12)
	v_fma_f64 v[94:95], v[37:38], v[45:46], v[82:83]
	v_fma_f64 v[84:85], v[45:46], 0, v[84:85]
	;; [unrolled: 1-line block ×8, first 2 shown]
	v_lshlrev_b32_e32 v92, 2, v26
	s_clause 0x1
	global_load_b128 v[76:79], v[27:28], off offset:1552
	global_load_b128 v[80:83], v[27:28], off offset:1536
	v_ashrrev_i32_e32 v93, 31, v92
	v_fma_f64 v[94:95], 0x80000000, v[47:48], v[94:95]
	v_fma_f64 v[84:85], v[37:38], v[47:48], v[84:85]
	;; [unrolled: 1-line block ×8, first 2 shown]
	v_lshlrev_b64 v[37:38], 4, v[92:93]
	s_delay_alu instid0(VALU_DEP_1) | instskip(NEXT) | instid1(VALU_DEP_2)
	v_add_co_u32 v92, vcc_lo, s4, v37
	v_add_co_ci_u32_e32 v93, vcc_lo, s5, v38, vcc_lo
	v_cmp_ge_i32_e32 vcc_lo, v25, v51
	global_load_b128 v[37:40], v[92:93], off
	s_or_b32 s7, vcc_lo, s7
	s_waitcnt vmcnt(12)
	v_fma_f64 v[45:46], v[56:57], v[60:61], v[94:95]
	v_fma_f64 v[47:48], v[60:61], 0, v[84:85]
	v_fma_f64 v[84:85], v[58:59], v[60:61], v[88:89]
	v_fma_f64 v[86:87], v[60:61], 0, v[86:87]
	v_fma_f64 v[88:89], v[52:53], v[60:61], v[96:97]
	v_fma_f64 v[41:42], v[60:61], 0, v[41:42]
	v_fma_f64 v[90:91], v[54:55], v[60:61], v[90:91]
	v_fma_f64 v[43:44], v[60:61], 0, v[43:44]
	v_fma_f64 v[60:61], 0x80000000, v[62:63], v[45:46]
	v_fma_f64 v[56:57], v[56:57], v[62:63], v[47:48]
	v_fma_f64 v[84:85], 0x80000000, v[62:63], v[84:85]
	v_fma_f64 v[58:59], v[58:59], v[62:63], v[86:87]
	v_fma_f64 v[86:87], 0x80000000, v[62:63], v[88:89]
	v_fma_f64 v[88:89], v[52:53], v[62:63], v[41:42]
	v_fma_f64 v[90:91], 0x80000000, v[62:63], v[90:91]
	v_fma_f64 v[62:63], v[54:55], v[62:63], v[43:44]
	s_clause 0x1
	global_load_b128 v[41:44], v[27:28], off offset:1568
	global_load_b128 v[45:48], v[27:28], off offset:1584
	global_load_b128 v[52:55], v[92:93], off offset:16
	s_waitcnt vmcnt(12)
	v_fma_f64 v[60:61], v[64:65], v[72:73], v[60:61]
	v_fma_f64 v[56:57], v[72:73], 0, v[56:57]
	v_fma_f64 v[84:85], v[66:67], v[72:73], v[84:85]
	v_fma_f64 v[58:59], v[72:73], 0, v[58:59]
	v_fma_f64 v[86:87], v[68:69], v[72:73], v[86:87]
	v_fma_f64 v[88:89], v[72:73], 0, v[88:89]
	v_fma_f64 v[90:91], v[70:71], v[72:73], v[90:91]
	v_fma_f64 v[62:63], v[72:73], 0, v[62:63]
	v_fma_f64 v[72:73], 0x80000000, v[74:75], v[60:61]
	v_fma_f64 v[94:95], v[64:65], v[74:75], v[56:57]
	v_fma_f64 v[84:85], 0x80000000, v[74:75], v[84:85]
	v_fma_f64 v[96:97], v[66:67], v[74:75], v[58:59]
	v_fma_f64 v[86:87], 0x80000000, v[74:75], v[86:87]
	v_fma_f64 v[68:69], v[68:69], v[74:75], v[88:89]
	v_fma_f64 v[88:89], 0x80000000, v[74:75], v[90:91]
	v_fma_f64 v[70:71], v[70:71], v[74:75], v[62:63]
	s_clause 0x1
	global_load_b128 v[56:59], v[27:28], off offset:1616
	global_load_b128 v[60:63], v[27:28], off offset:1600
	global_load_b128 v[64:67], v[92:93], off offset:32
	;; [unrolled: 21-line block ×3, first 2 shown]
	v_add_co_u32 v27, s0, 0x800, v27
	s_delay_alu instid0(VALU_DEP_1)
	v_add_co_ci_u32_e64 v28, s0, 0, v28, s0
	s_waitcnt vmcnt(12)
	v_fma_f64 v[70:71], v[12:13], v[33:34], v[70:71]
	v_fma_f64 v[72:73], v[33:34], 0, v[72:73]
	v_fma_f64 v[74:75], v[14:15], v[33:34], v[74:75]
	v_fma_f64 v[84:85], v[33:34], 0, v[84:85]
	v_fma_f64 v[86:87], v[29:30], v[33:34], v[86:87]
	v_fma_f64 v[68:69], v[33:34], 0, v[68:69]
	v_fma_f64 v[88:89], v[31:32], v[33:34], v[88:89]
	v_fma_f64 v[33:34], v[33:34], 0, v[90:91]
	v_fma_f64 v[70:71], 0x80000000, v[35:36], v[70:71]
	v_fma_f64 v[12:13], v[12:13], v[35:36], v[72:73]
	v_fma_f64 v[72:73], 0x80000000, v[35:36], v[74:75]
	v_fma_f64 v[14:15], v[14:15], v[35:36], v[84:85]
	v_fma_f64 v[74:75], 0x80000000, v[35:36], v[86:87]
	v_fma_f64 v[29:30], v[29:30], v[35:36], v[68:69]
	v_fma_f64 v[68:69], 0x80000000, v[35:36], v[88:89]
	v_fma_f64 v[31:32], v[31:32], v[35:36], v[33:34]
	s_waitcnt vmcnt(9)
	v_fma_f64 v[33:34], v[80:81], v[37:38], v[70:71]
	v_fma_f64 v[12:13], v[37:38], 0, v[12:13]
	v_fma_f64 v[35:36], v[82:83], v[37:38], v[72:73]
	v_fma_f64 v[14:15], v[37:38], 0, v[14:15]
	v_fma_f64 v[70:71], v[76:77], v[37:38], v[74:75]
	v_fma_f64 v[29:30], v[37:38], 0, v[29:30]
	v_fma_f64 v[68:69], v[78:79], v[37:38], v[68:69]
	v_fma_f64 v[31:32], v[37:38], 0, v[31:32]
	v_fma_f64 v[33:34], 0x80000000, v[39:40], v[33:34]
	v_fma_f64 v[12:13], v[80:81], v[39:40], v[12:13]
	v_fma_f64 v[35:36], 0x80000000, v[39:40], v[35:36]
	v_fma_f64 v[14:15], v[82:83], v[39:40], v[14:15]
	v_fma_f64 v[37:38], 0x80000000, v[39:40], v[70:71]
	v_fma_f64 v[29:30], v[76:77], v[39:40], v[29:30]
	v_fma_f64 v[68:69], 0x80000000, v[39:40], v[68:69]
	v_fma_f64 v[31:32], v[78:79], v[39:40], v[31:32]
	;; [unrolled: 17-line block ×5, first 2 shown]
	s_and_not1_b32 exec_lo, exec_lo, s7
	s_cbranch_execnz .LBB135_35
; %bb.36:
	s_or_b32 exec_lo, exec_lo, s7
.LBB135_37:
	s_delay_alu instid0(SALU_CYCLE_1)
	s_or_b32 exec_lo, exec_lo, s6
.LBB135_38:
	s_delay_alu instid0(SALU_CYCLE_1)
	s_or_b32 exec_lo, exec_lo, s1
.LBB135_39:
	v_mbcnt_lo_u32_b32 v45, -1, 0
	s_delay_alu instid0(VALU_DEP_1) | instskip(NEXT) | instid1(VALU_DEP_1)
	v_xor_b32_e32 v0, 2, v45
	v_cmp_gt_i32_e32 vcc_lo, 32, v0
	v_cndmask_b32_e32 v0, v45, v0, vcc_lo
	s_delay_alu instid0(VALU_DEP_1)
	v_lshlrev_b32_e32 v14, 2, v0
	ds_bpermute_b32 v0, v14, v39
	ds_bpermute_b32 v1, v14, v40
	ds_bpermute_b32 v2, v14, v35
	ds_bpermute_b32 v3, v14, v36
	ds_bpermute_b32 v4, v14, v43
	ds_bpermute_b32 v5, v14, v44
	ds_bpermute_b32 v6, v14, v41
	ds_bpermute_b32 v7, v14, v42
	ds_bpermute_b32 v8, v14, v37
	ds_bpermute_b32 v9, v14, v38
	ds_bpermute_b32 v10, v14, v33
	ds_bpermute_b32 v11, v14, v34
	ds_bpermute_b32 v12, v14, v29
	ds_bpermute_b32 v13, v14, v30
	ds_bpermute_b32 v25, v14, v31
	ds_bpermute_b32 v26, v14, v32
	s_waitcnt lgkmcnt(0)
	v_add_f64 v[0:1], v[39:40], v[0:1]
	v_add_f64 v[27:28], v[35:36], v[2:3]
	;; [unrolled: 1-line block ×7, first 2 shown]
	v_xor_b32_e32 v12, 1, v45
	v_add_f64 v[8:9], v[31:32], v[25:26]
	s_delay_alu instid0(VALU_DEP_2) | instskip(SKIP_2) | instid1(VALU_DEP_2)
	v_cmp_gt_i32_e32 vcc_lo, 32, v12
	v_cndmask_b32_e32 v12, v45, v12, vcc_lo
	v_cmp_eq_u32_e32 vcc_lo, 3, v50
	v_lshlrev_b32_e32 v34, 2, v12
	ds_bpermute_b32 v12, v34, v0
	ds_bpermute_b32 v13, v34, v1
	;; [unrolled: 1-line block ×16, first 2 shown]
	s_and_b32 exec_lo, exec_lo, vcc_lo
	s_cbranch_execz .LBB135_12
; %bb.40:
	s_waitcnt lgkmcnt(12)
	v_add_f64 v[27:28], v[27:28], v[39:40]
	s_waitcnt lgkmcnt(8)
	v_add_f64 v[14:15], v[14:15], v[37:38]
	;; [unrolled: 2-line block ×4, first 2 shown]
	v_add_f64 v[0:1], v[0:1], v[12:13]
	v_add_f64 v[2:3], v[2:3], v[25:26]
	;; [unrolled: 1-line block ×4, first 2 shown]
	v_cmp_eq_f64_e32 vcc_lo, 0, v[16:17]
	v_cmp_eq_f64_e64 s0, 0, v[18:19]
	s_load_b64 s[2:3], s[2:3], 0x60
	v_mul_f64 v[4:5], v[27:28], -v[22:23]
	v_mul_f64 v[6:7], v[20:21], v[27:28]
	v_mul_f64 v[27:28], v[14:15], -v[22:23]
	v_mul_f64 v[31:32], v[20:21], v[14:15]
	;; [unrolled: 2-line block ×4, first 2 shown]
	s_and_b32 s0, vcc_lo, s0
	v_fma_f64 v[12:13], v[20:21], v[0:1], v[4:5]
	v_fma_f64 v[14:15], v[22:23], v[0:1], v[6:7]
	;; [unrolled: 1-line block ×8, first 2 shown]
	v_lshlrev_b32_e32 v20, 2, v24
	s_and_saveexec_b32 s1, s0
	s_delay_alu instid0(SALU_CYCLE_1)
	s_xor_b32 s0, exec_lo, s1
	s_cbranch_execz .LBB135_42
; %bb.41:
	s_delay_alu instid0(VALU_DEP_1) | instskip(NEXT) | instid1(VALU_DEP_1)
	v_ashrrev_i32_e32 v21, 31, v20
                                        ; implicit-def: $vgpr18_vgpr19
	v_lshlrev_b64 v[16:17], 4, v[20:21]
                                        ; implicit-def: $vgpr20
	s_waitcnt lgkmcnt(0)
	s_delay_alu instid0(VALU_DEP_1) | instskip(NEXT) | instid1(VALU_DEP_2)
	v_add_co_u32 v16, vcc_lo, s2, v16
	v_add_co_ci_u32_e32 v17, vcc_lo, s3, v17, vcc_lo
	s_clause 0x3
	global_store_b128 v[16:17], v[12:15], off
	global_store_b128 v[16:17], v[8:11], off offset:16
	global_store_b128 v[16:17], v[4:7], off offset:32
	;; [unrolled: 1-line block ×3, first 2 shown]
                                        ; implicit-def: $vgpr16_vgpr17
                                        ; implicit-def: $vgpr12_vgpr13
                                        ; implicit-def: $vgpr8_vgpr9
                                        ; implicit-def: $vgpr4_vgpr5
                                        ; implicit-def: $vgpr0_vgpr1
.LBB135_42:
	s_and_not1_saveexec_b32 s0, s0
	s_cbranch_execz .LBB135_12
; %bb.43:
	v_ashrrev_i32_e32 v21, 31, v20
	s_delay_alu instid0(VALU_DEP_1) | instskip(SKIP_1) | instid1(VALU_DEP_1)
	v_lshlrev_b64 v[20:21], 4, v[20:21]
	s_waitcnt lgkmcnt(0)
	v_add_co_u32 v36, vcc_lo, s2, v20
	s_delay_alu instid0(VALU_DEP_2)
	v_add_co_ci_u32_e32 v37, vcc_lo, s3, v21, vcc_lo
	s_clause 0x3
	global_load_b128 v[20:23], v[36:37], off
	global_load_b128 v[24:27], v[36:37], off offset:16
	global_load_b128 v[28:31], v[36:37], off offset:32
	;; [unrolled: 1-line block ×3, first 2 shown]
	s_waitcnt vmcnt(3)
	v_fma_f64 v[12:13], v[16:17], v[20:21], v[12:13]
	v_fma_f64 v[14:15], v[18:19], v[20:21], v[14:15]
	s_waitcnt vmcnt(2)
	v_fma_f64 v[8:9], v[16:17], v[24:25], v[8:9]
	v_fma_f64 v[10:11], v[18:19], v[24:25], v[10:11]
	;; [unrolled: 3-line block ×4, first 2 shown]
	v_fma_f64 v[0:1], -v[18:19], v[22:23], v[12:13]
	v_fma_f64 v[2:3], v[16:17], v[22:23], v[14:15]
	v_fma_f64 v[4:5], -v[18:19], v[26:27], v[8:9]
	v_fma_f64 v[6:7], v[16:17], v[26:27], v[10:11]
	;; [unrolled: 2-line block ×4, first 2 shown]
	s_clause 0x3
	global_store_b128 v[36:37], v[0:3], off
	global_store_b128 v[36:37], v[4:7], off offset:16
	global_store_b128 v[36:37], v[8:11], off offset:32
	;; [unrolled: 1-line block ×3, first 2 shown]
	s_nop 0
	s_sendmsg sendmsg(MSG_DEALLOC_VGPRS)
	s_endpgm
	.section	.rodata,"a",@progbits
	.p2align	6, 0x0
	.amdhsa_kernel _ZN9rocsparseL18bsrxmvn_4x4_kernelILj128ELj4E21rocsparse_complex_numIdEiidS2_S2_EEvT3_20rocsparse_direction_NS_24const_host_device_scalarIT1_EES3_PKS3_PKT2_SC_S9_PKT4_PKT5_S7_PT6_21rocsparse_index_base_b
		.amdhsa_group_segment_fixed_size 2048
		.amdhsa_private_segment_fixed_size 0
		.amdhsa_kernarg_size 112
		.amdhsa_user_sgpr_count 15
		.amdhsa_user_sgpr_dispatch_ptr 1
		.amdhsa_user_sgpr_queue_ptr 0
		.amdhsa_user_sgpr_kernarg_segment_ptr 1
		.amdhsa_user_sgpr_dispatch_id 0
		.amdhsa_user_sgpr_private_segment_size 0
		.amdhsa_wavefront_size32 1
		.amdhsa_uses_dynamic_stack 0
		.amdhsa_enable_private_segment 0
		.amdhsa_system_sgpr_workgroup_id_x 1
		.amdhsa_system_sgpr_workgroup_id_y 0
		.amdhsa_system_sgpr_workgroup_id_z 0
		.amdhsa_system_sgpr_workgroup_info 0
		.amdhsa_system_vgpr_workitem_id 2
		.amdhsa_next_free_vgpr 112
		.amdhsa_next_free_sgpr 18
		.amdhsa_reserve_vcc 1
		.amdhsa_float_round_mode_32 0
		.amdhsa_float_round_mode_16_64 0
		.amdhsa_float_denorm_mode_32 3
		.amdhsa_float_denorm_mode_16_64 3
		.amdhsa_dx10_clamp 1
		.amdhsa_ieee_mode 1
		.amdhsa_fp16_overflow 0
		.amdhsa_workgroup_processor_mode 1
		.amdhsa_memory_ordered 1
		.amdhsa_forward_progress 0
		.amdhsa_shared_vgpr_count 0
		.amdhsa_exception_fp_ieee_invalid_op 0
		.amdhsa_exception_fp_denorm_src 0
		.amdhsa_exception_fp_ieee_div_zero 0
		.amdhsa_exception_fp_ieee_overflow 0
		.amdhsa_exception_fp_ieee_underflow 0
		.amdhsa_exception_fp_ieee_inexact 0
		.amdhsa_exception_int_div_zero 0
	.end_amdhsa_kernel
	.section	.text._ZN9rocsparseL18bsrxmvn_4x4_kernelILj128ELj4E21rocsparse_complex_numIdEiidS2_S2_EEvT3_20rocsparse_direction_NS_24const_host_device_scalarIT1_EES3_PKS3_PKT2_SC_S9_PKT4_PKT5_S7_PT6_21rocsparse_index_base_b,"axG",@progbits,_ZN9rocsparseL18bsrxmvn_4x4_kernelILj128ELj4E21rocsparse_complex_numIdEiidS2_S2_EEvT3_20rocsparse_direction_NS_24const_host_device_scalarIT1_EES3_PKS3_PKT2_SC_S9_PKT4_PKT5_S7_PT6_21rocsparse_index_base_b,comdat
.Lfunc_end135:
	.size	_ZN9rocsparseL18bsrxmvn_4x4_kernelILj128ELj4E21rocsparse_complex_numIdEiidS2_S2_EEvT3_20rocsparse_direction_NS_24const_host_device_scalarIT1_EES3_PKS3_PKT2_SC_S9_PKT4_PKT5_S7_PT6_21rocsparse_index_base_b, .Lfunc_end135-_ZN9rocsparseL18bsrxmvn_4x4_kernelILj128ELj4E21rocsparse_complex_numIdEiidS2_S2_EEvT3_20rocsparse_direction_NS_24const_host_device_scalarIT1_EES3_PKS3_PKT2_SC_S9_PKT4_PKT5_S7_PT6_21rocsparse_index_base_b
                                        ; -- End function
	.section	.AMDGPU.csdata,"",@progbits
; Kernel info:
; codeLenInByte = 10312
; NumSgprs: 20
; NumVgprs: 112
; ScratchSize: 0
; MemoryBound: 0
; FloatMode: 240
; IeeeMode: 1
; LDSByteSize: 2048 bytes/workgroup (compile time only)
; SGPRBlocks: 2
; VGPRBlocks: 13
; NumSGPRsForWavesPerEU: 20
; NumVGPRsForWavesPerEU: 112
; Occupancy: 12
; WaveLimiterHint : 1
; COMPUTE_PGM_RSRC2:SCRATCH_EN: 0
; COMPUTE_PGM_RSRC2:USER_SGPR: 15
; COMPUTE_PGM_RSRC2:TRAP_HANDLER: 0
; COMPUTE_PGM_RSRC2:TGID_X_EN: 1
; COMPUTE_PGM_RSRC2:TGID_Y_EN: 0
; COMPUTE_PGM_RSRC2:TGID_Z_EN: 0
; COMPUTE_PGM_RSRC2:TIDIG_COMP_CNT: 2
	.section	.text._ZN9rocsparseL18bsrxmvn_4x4_kernelILj128ELj8E21rocsparse_complex_numIdEiidS2_S2_EEvT3_20rocsparse_direction_NS_24const_host_device_scalarIT1_EES3_PKS3_PKT2_SC_S9_PKT4_PKT5_S7_PT6_21rocsparse_index_base_b,"axG",@progbits,_ZN9rocsparseL18bsrxmvn_4x4_kernelILj128ELj8E21rocsparse_complex_numIdEiidS2_S2_EEvT3_20rocsparse_direction_NS_24const_host_device_scalarIT1_EES3_PKS3_PKT2_SC_S9_PKT4_PKT5_S7_PT6_21rocsparse_index_base_b,comdat
	.globl	_ZN9rocsparseL18bsrxmvn_4x4_kernelILj128ELj8E21rocsparse_complex_numIdEiidS2_S2_EEvT3_20rocsparse_direction_NS_24const_host_device_scalarIT1_EES3_PKS3_PKT2_SC_S9_PKT4_PKT5_S7_PT6_21rocsparse_index_base_b ; -- Begin function _ZN9rocsparseL18bsrxmvn_4x4_kernelILj128ELj8E21rocsparse_complex_numIdEiidS2_S2_EEvT3_20rocsparse_direction_NS_24const_host_device_scalarIT1_EES3_PKS3_PKT2_SC_S9_PKT4_PKT5_S7_PT6_21rocsparse_index_base_b
	.p2align	8
	.type	_ZN9rocsparseL18bsrxmvn_4x4_kernelILj128ELj8E21rocsparse_complex_numIdEiidS2_S2_EEvT3_20rocsparse_direction_NS_24const_host_device_scalarIT1_EES3_PKS3_PKT2_SC_S9_PKT4_PKT5_S7_PT6_21rocsparse_index_base_b,@function
_ZN9rocsparseL18bsrxmvn_4x4_kernelILj128ELj8E21rocsparse_complex_numIdEiidS2_S2_EEvT3_20rocsparse_direction_NS_24const_host_device_scalarIT1_EES3_PKS3_PKT2_SC_S9_PKT4_PKT5_S7_PT6_21rocsparse_index_base_b: ; @_ZN9rocsparseL18bsrxmvn_4x4_kernelILj128ELj8E21rocsparse_complex_numIdEiidS2_S2_EEvT3_20rocsparse_direction_NS_24const_host_device_scalarIT1_EES3_PKS3_PKT2_SC_S9_PKT4_PKT5_S7_PT6_21rocsparse_index_base_b
; %bb.0:
	s_load_b64 s[12:13], s[2:3], 0x68
	s_load_b64 s[16:17], s[0:1], 0x4
	s_load_b128 s[8:11], s[2:3], 0x8
	v_bfe_u32 v2, v0, 10, 10
	s_mov_b64 s[0:1], src_shared_base
	s_load_b128 s[4:7], s[2:3], 0x50
	v_and_b32_e32 v1, 0x3ff, v0
	v_bfe_u32 v0, v0, 20, 10
	s_waitcnt lgkmcnt(0)
	s_bitcmp1_b32 s13, 0
	v_mul_u32_u24_e32 v2, s17, v2
	s_cselect_b32 s0, -1, 0
	v_mov_b32_e32 v23, s11
	s_and_b32 vcc_lo, s0, exec_lo
	s_cselect_b32 s13, s1, s9
	s_lshr_b32 s14, s16, 16
	v_dual_mov_b32 v4, s4 :: v_dual_mov_b32 v5, s5
	s_mul_i32 s14, s14, s17
	v_dual_mov_b32 v7, s13 :: v_dual_mov_b32 v22, s10
	v_mad_u32_u24 v2, s14, v1, v2
	s_xor_b32 s10, s0, -1
	s_delay_alu instid0(VALU_DEP_1) | instskip(SKIP_1) | instid1(VALU_DEP_2)
	v_add_lshl_u32 v0, v2, v0, 3
	v_dual_mov_b32 v2, s8 :: v_dual_mov_b32 v3, s9
	v_add_nc_u32_e32 v6, 0x400, v0
	ds_store_2addr_stride64_b64 v0, v[4:5], v[2:3] offset1:2
	v_cndmask_b32_e64 v6, s8, v6, s0
	flat_load_b64 v[20:21], v[6:7]
	s_cbranch_vccnz .LBB136_2
; %bb.1:
	v_dual_mov_b32 v2, s8 :: v_dual_mov_b32 v3, s9
	flat_load_b64 v[22:23], v[2:3] offset:8
.LBB136_2:
	s_and_b32 s8, s0, exec_lo
	s_cselect_b32 s1, s1, s5
	v_cndmask_b32_e64 v2, s4, v0, s0
	v_mov_b32_e32 v3, s1
	v_dual_mov_b32 v19, s7 :: v_dual_mov_b32 v18, s6
	s_and_not1_b32 vcc_lo, exec_lo, s10
	flat_load_b64 v[16:17], v[2:3]
	s_cbranch_vccnz .LBB136_4
; %bb.3:
	v_dual_mov_b32 v2, s4 :: v_dual_mov_b32 v3, s5
	flat_load_b64 v[18:19], v[2:3] offset:8
.LBB136_4:
	s_waitcnt vmcnt(1) lgkmcnt(1)
	v_cmp_eq_f64_e32 vcc_lo, 0, v[20:21]
	v_cmp_eq_f64_e64 s0, 0, v[22:23]
	s_delay_alu instid0(VALU_DEP_1)
	s_and_b32 s4, vcc_lo, s0
	s_mov_b32 s0, -1
	s_and_saveexec_b32 s1, s4
	s_cbranch_execz .LBB136_6
; %bb.5:
	s_waitcnt vmcnt(0) lgkmcnt(0)
	v_cmp_neq_f64_e32 vcc_lo, 1.0, v[16:17]
	v_cmp_neq_f64_e64 s0, 0, v[18:19]
	s_delay_alu instid0(VALU_DEP_1) | instskip(NEXT) | instid1(SALU_CYCLE_1)
	s_or_b32 s0, vcc_lo, s0
	s_or_not1_b32 s0, s0, exec_lo
.LBB136_6:
	s_or_b32 exec_lo, exec_lo, s1
	s_and_saveexec_b32 s1, s0
	s_cbranch_execz .LBB136_12
; %bb.7:
	s_clause 0x1
	s_load_b64 s[4:5], s[2:3], 0x20
	s_load_b64 s[0:1], s[2:3], 0x0
	v_lshrrev_b32_e32 v0, 3, v1
	s_delay_alu instid0(VALU_DEP_1)
	v_lshl_or_b32 v24, s15, 4, v0
	s_waitcnt lgkmcnt(0)
	s_cmp_lg_u64 s[4:5], 0
	s_cbranch_scc0 .LBB136_13
; %bb.8:
	s_load_b32 s6, s[2:3], 0x18
	s_mov_b32 s7, 0
                                        ; implicit-def: $vgpr0
	s_waitcnt lgkmcnt(0)
	v_cmp_gt_i32_e32 vcc_lo, s6, v24
	s_mov_b32 s6, 0
	s_and_saveexec_b32 s8, vcc_lo
	s_delay_alu instid0(SALU_CYCLE_1)
	s_xor_b32 s8, exec_lo, s8
	s_cbranch_execz .LBB136_10
; %bb.9:
	v_ashrrev_i32_e32 v25, 31, v24
	s_mov_b32 s6, exec_lo
	s_delay_alu instid0(VALU_DEP_1) | instskip(NEXT) | instid1(VALU_DEP_1)
	v_lshlrev_b64 v[2:3], 2, v[24:25]
	v_add_co_u32 v2, vcc_lo, s4, v2
	s_delay_alu instid0(VALU_DEP_2)
	v_add_co_ci_u32_e32 v3, vcc_lo, s5, v3, vcc_lo
	global_load_b32 v0, v[2:3], off
	s_waitcnt vmcnt(0)
	v_subrev_nc_u32_e32 v0, s12, v0
.LBB136_10:
	s_or_b32 exec_lo, exec_lo, s8
	s_delay_alu instid0(SALU_CYCLE_1)
	s_and_b32 vcc_lo, exec_lo, s7
	s_cbranch_vccz .LBB136_14
.LBB136_11:
	v_cmp_gt_i32_e32 vcc_lo, s0, v24
	s_and_not1_b32 s0, s6, exec_lo
	s_and_b32 s4, vcc_lo, exec_lo
	s_delay_alu instid0(SALU_CYCLE_1) | instskip(NEXT) | instid1(SALU_CYCLE_1)
	s_or_b32 s6, s0, s4
	s_and_b32 exec_lo, exec_lo, s6
	s_cbranch_execnz .LBB136_15
.LBB136_12:
	s_nop 0
	s_sendmsg sendmsg(MSG_DEALLOC_VGPRS)
	s_endpgm
.LBB136_13:
	s_mov_b32 s6, 0
                                        ; implicit-def: $vgpr0
	s_cbranch_execnz .LBB136_11
.LBB136_14:
	s_delay_alu instid0(VALU_DEP_1)
	v_mov_b32_e32 v24, v0
	s_and_b32 exec_lo, exec_lo, s6
	s_cbranch_execz .LBB136_12
.LBB136_15:
	s_load_b256 s[4:11], s[2:3], 0x28
	s_delay_alu instid0(VALU_DEP_1) | instskip(SKIP_1) | instid1(VALU_DEP_2)
	v_ashrrev_i32_e32 v25, 31, v24
	v_and_b32_e32 v50, 7, v1
	v_lshlrev_b64 v[2:3], 2, v[24:25]
	s_waitcnt lgkmcnt(0)
	s_delay_alu instid0(VALU_DEP_1) | instskip(NEXT) | instid1(VALU_DEP_2)
	v_add_co_u32 v4, vcc_lo, s4, v2
	v_add_co_ci_u32_e32 v5, vcc_lo, s5, v3, vcc_lo
	v_add_co_u32 v0, vcc_lo, s6, v2
	v_add_co_ci_u32_e32 v2, vcc_lo, s7, v3, vcc_lo
	global_load_b32 v52, v[4:5], off
	v_add_co_u32 v4, vcc_lo, v4, 4
	v_add_co_ci_u32_e32 v3, vcc_lo, 0, v5, vcc_lo
	s_cmp_eq_u64 s[6:7], 0
	s_load_b64 s[4:5], s[2:3], 0x48
	s_cselect_b32 vcc_lo, -1, 0
	s_cmp_eq_u32 s1, 1
	v_dual_cndmask_b32 v3, v2, v3 :: v_dual_cndmask_b32 v2, v0, v4
	global_load_b32 v2, v[2:3], off
	s_waitcnt vmcnt(1)
	v_subrev_nc_u32_e32 v0, s12, v52
	s_delay_alu instid0(VALU_DEP_1) | instskip(NEXT) | instid1(VALU_DEP_1)
	v_add_nc_u32_e32 v25, v0, v50
	v_ashrrev_i32_e32 v26, 31, v25
	s_waitcnt vmcnt(0)
	v_subrev_nc_u32_e32 v51, s12, v2
	s_delay_alu instid0(VALU_DEP_2) | instskip(NEXT) | instid1(VALU_DEP_2)
	v_lshlrev_b64 v[0:1], 7, v[25:26]
	v_cmp_lt_i32_e64 s0, v25, v51
	s_delay_alu instid0(VALU_DEP_2) | instskip(NEXT) | instid1(VALU_DEP_3)
	v_add_co_u32 v27, vcc_lo, s10, v0
	v_add_co_ci_u32_e32 v28, vcc_lo, s11, v1, vcc_lo
	s_cbranch_scc1 .LBB136_27
; %bb.16:
	v_mov_b32_e32 v35, 0
	v_mov_b32_e32 v36, 0
	s_delay_alu instid0(VALU_DEP_2) | instskip(SKIP_1) | instid1(VALU_DEP_3)
	v_mov_b32_e32 v33, v35
	v_mov_b32_e32 v31, v35
	v_dual_mov_b32 v29, v35 :: v_dual_mov_b32 v30, v36
	v_dual_mov_b32 v40, v36 :: v_dual_mov_b32 v39, v35
	;; [unrolled: 1-line block ×4, first 2 shown]
	v_mov_b32_e32 v34, v36
	v_dual_mov_b32 v38, v36 :: v_dual_mov_b32 v37, v35
	v_mov_b32_e32 v32, v36
	s_and_saveexec_b32 s6, s0
	s_cbranch_execz .LBB136_26
; %bb.17:
	v_dual_mov_b32 v29, 0 :: v_dual_add_nc_u32 v0, v52, v50
	v_mov_b32_e32 v46, v28
	v_not_b32_e32 v1, v52
	v_mov_b32_e32 v47, v25
	s_delay_alu instid0(VALU_DEP_4) | instskip(SKIP_2) | instid1(VALU_DEP_1)
	v_subrev_nc_u32_e32 v0, s12, v0
	s_mov_b32 s10, 0
	s_mov_b32 s7, exec_lo
	v_dual_mov_b32 v45, v27 :: v_dual_add_nc_u32 v0, 8, v0
	s_delay_alu instid0(VALU_DEP_1) | instskip(NEXT) | instid1(VALU_DEP_1)
	v_max_i32_e32 v0, v0, v51
	v_add3_u32 v0, v0, s12, v1
	s_delay_alu instid0(VALU_DEP_1) | instskip(NEXT) | instid1(VALU_DEP_1)
	v_sub_nc_u32_e32 v0, v0, v50
	v_lshrrev_b32_e32 v1, 3, v0
	s_delay_alu instid0(VALU_DEP_1) | instskip(NEXT) | instid1(VALU_DEP_1)
	v_dual_mov_b32 v30, 0 :: v_dual_add_nc_u32 v1, 1, v1
	v_mov_b32_e32 v32, v30
	v_mov_b32_e32 v38, v30
	v_dual_mov_b32 v34, v30 :: v_dual_mov_b32 v31, v29
	s_delay_alu instid0(VALU_DEP_4)
	v_and_b32_e32 v1, 3, v1
	v_mov_b32_e32 v37, v29
	v_dual_mov_b32 v33, v29 :: v_dual_mov_b32 v44, v30
	v_dual_mov_b32 v43, v29 :: v_dual_mov_b32 v42, v30
	;; [unrolled: 1-line block ×4, first 2 shown]
	v_mov_b32_e32 v35, v29
	v_cmpx_ne_u32_e32 0, v1
	s_cbranch_execz .LBB136_21
; %bb.18:
	v_dual_mov_b32 v35, 0 :: v_dual_mov_b32 v46, v28
	v_dual_mov_b32 v36, 0 :: v_dual_lshlrev_b32 v1, 7, v1
	v_mov_b32_e32 v47, v25
	v_mov_b32_e32 v45, v27
	s_delay_alu instid0(VALU_DEP_3)
	v_dual_mov_b32 v33, v35 :: v_dual_mov_b32 v40, v36
	v_dual_mov_b32 v39, v35 :: v_dual_mov_b32 v44, v36
	;; [unrolled: 1-line block ×4, first 2 shown]
	v_mov_b32_e32 v29, v35
	v_dual_mov_b32 v41, v35 :: v_dual_mov_b32 v34, v36
	v_dual_mov_b32 v37, v35 :: v_dual_mov_b32 v30, v36
	v_mov_b32_e32 v32, v36
.LBB136_19:                             ; =>This Inner Loop Header: Depth=1
	v_ashrrev_i32_e32 v48, 31, v47
	v_add_nc_u32_e32 v1, 0xffffff80, v1
	s_delay_alu instid0(VALU_DEP_2) | instskip(NEXT) | instid1(VALU_DEP_2)
	v_lshlrev_b64 v[2:3], 2, v[47:48]
	v_cmp_eq_u32_e64 s1, 0, v1
	v_add_nc_u32_e32 v47, 8, v47
	s_delay_alu instid0(VALU_DEP_2) | instskip(NEXT) | instid1(VALU_DEP_3)
	s_or_b32 s10, s1, s10
	v_add_co_u32 v2, vcc_lo, s8, v2
	s_delay_alu instid0(VALU_DEP_4)
	v_add_co_ci_u32_e32 v3, vcc_lo, s9, v3, vcc_lo
	global_load_b32 v14, v[2:3], off
	s_clause 0x7
	global_load_b128 v[2:5], v[45:46], off offset:48
	global_load_b128 v[6:9], v[45:46], off offset:32
	;; [unrolled: 1-line block ×3, first 2 shown]
	global_load_b128 v[53:56], v[45:46], off
	global_load_b128 v[57:60], v[45:46], off offset:112
	global_load_b128 v[61:64], v[45:46], off offset:96
	;; [unrolled: 1-line block ×4, first 2 shown]
	s_waitcnt vmcnt(8)
	v_subrev_nc_u32_e32 v14, s12, v14
	s_delay_alu instid0(VALU_DEP_1) | instskip(NEXT) | instid1(VALU_DEP_1)
	v_lshlrev_b32_e32 v14, 2, v14
	v_ashrrev_i32_e32 v15, 31, v14
	s_delay_alu instid0(VALU_DEP_1) | instskip(SKIP_1) | instid1(VALU_DEP_1)
	v_lshlrev_b64 v[14:15], 4, v[14:15]
	s_waitcnt lgkmcnt(0)
	v_add_co_u32 v14, vcc_lo, s4, v14
	s_delay_alu instid0(VALU_DEP_2)
	v_add_co_ci_u32_e32 v15, vcc_lo, s5, v15, vcc_lo
	v_add_co_u32 v45, vcc_lo, 0x400, v45
	s_clause 0x3
	global_load_b128 v[73:76], v[14:15], off
	global_load_b128 v[77:80], v[14:15], off offset:16
	global_load_b128 v[81:84], v[14:15], off offset:32
	;; [unrolled: 1-line block ×3, first 2 shown]
	v_add_co_ci_u32_e32 v46, vcc_lo, 0, v46, vcc_lo
	s_waitcnt vmcnt(3)
	v_fma_f64 v[14:15], v[53:54], v[73:74], v[39:40]
	v_fma_f64 v[35:36], v[73:74], 0, v[35:36]
	v_fma_f64 v[39:40], v[6:7], v[73:74], v[43:44]
	v_fma_f64 v[41:42], v[73:74], 0, v[41:42]
	v_fma_f64 v[37:38], v[69:70], v[73:74], v[37:38]
	v_fma_f64 v[33:34], v[73:74], 0, v[33:34]
	v_fma_f64 v[29:30], v[61:62], v[73:74], v[29:30]
	v_fma_f64 v[31:32], v[73:74], 0, v[31:32]
	v_fma_f64 v[14:15], 0x80000000, v[75:76], v[14:15]
	v_fma_f64 v[35:36], v[53:54], v[75:76], v[35:36]
	v_fma_f64 v[39:40], 0x80000000, v[75:76], v[39:40]
	v_fma_f64 v[6:7], v[6:7], v[75:76], v[41:42]
	v_fma_f64 v[37:38], 0x80000000, v[75:76], v[37:38]
	v_fma_f64 v[33:34], v[69:70], v[75:76], v[33:34]
	v_fma_f64 v[29:30], 0x80000000, v[75:76], v[29:30]
	v_fma_f64 v[31:32], v[61:62], v[75:76], v[31:32]
	s_waitcnt vmcnt(2)
	v_fma_f64 v[14:15], v[55:56], v[77:78], v[14:15]
	v_fma_f64 v[35:36], v[77:78], 0, v[35:36]
	v_fma_f64 v[39:40], v[8:9], v[77:78], v[39:40]
	v_fma_f64 v[6:7], v[77:78], 0, v[6:7]
	v_fma_f64 v[37:38], v[71:72], v[77:78], v[37:38]
	v_fma_f64 v[33:34], v[77:78], 0, v[33:34]
	v_fma_f64 v[29:30], v[63:64], v[77:78], v[29:30]
	v_fma_f64 v[31:32], v[77:78], 0, v[31:32]
	v_fma_f64 v[14:15], 0x80000000, v[79:80], v[14:15]
	v_fma_f64 v[35:36], v[55:56], v[79:80], v[35:36]
	v_fma_f64 v[39:40], 0x80000000, v[79:80], v[39:40]
	v_fma_f64 v[6:7], v[8:9], v[79:80], v[6:7]
	v_fma_f64 v[8:9], 0x80000000, v[79:80], v[37:38]
	v_fma_f64 v[33:34], v[71:72], v[79:80], v[33:34]
	v_fma_f64 v[29:30], 0x80000000, v[79:80], v[29:30]
	v_fma_f64 v[31:32], v[63:64], v[79:80], v[31:32]
	;; [unrolled: 17-line block ×4, first 2 shown]
	s_and_not1_b32 exec_lo, exec_lo, s10
	s_cbranch_execnz .LBB136_19
; %bb.20:
	s_or_b32 exec_lo, exec_lo, s10
.LBB136_21:
	s_delay_alu instid0(SALU_CYCLE_1) | instskip(NEXT) | instid1(SALU_CYCLE_1)
	s_or_b32 exec_lo, exec_lo, s7
	s_mov_b32 s7, exec_lo
	v_cmpx_lt_u32_e32 23, v0
	s_cbranch_execz .LBB136_25
; %bb.22:
	s_mov_b32 s10, 0
.LBB136_23:                             ; =>This Inner Loop Header: Depth=1
	v_ashrrev_i32_e32 v48, 31, v47
	s_delay_alu instid0(VALU_DEP_1) | instskip(SKIP_1) | instid1(VALU_DEP_2)
	v_lshlrev_b64 v[0:1], 2, v[47:48]
	v_add_nc_u32_e32 v47, 32, v47
	v_add_co_u32 v48, vcc_lo, s8, v0
	s_delay_alu instid0(VALU_DEP_3)
	v_add_co_ci_u32_e32 v49, vcc_lo, s9, v1, vcc_lo
	global_load_b32 v26, v[48:49], off
	s_clause 0x3
	global_load_b128 v[8:11], v[45:46], off offset:32
	global_load_b128 v[12:15], v[45:46], off
	global_load_b128 v[0:3], v[45:46], off offset:96
	global_load_b128 v[4:7], v[45:46], off offset:64
	s_clause 0x2
	global_load_b32 v101, v[48:49], off offset:32
	global_load_b32 v109, v[48:49], off offset:64
	;; [unrolled: 1-line block ×3, first 2 shown]
	s_waitcnt vmcnt(7)
	v_subrev_nc_u32_e32 v26, s12, v26
	s_delay_alu instid0(VALU_DEP_1) | instskip(SKIP_2) | instid1(VALU_DEP_2)
	v_lshlrev_b32_e32 v48, 2, v26
	s_waitcnt vmcnt(2)
	v_subrev_nc_u32_e32 v26, s12, v101
	v_ashrrev_i32_e32 v49, 31, v48
	s_delay_alu instid0(VALU_DEP_1) | instskip(SKIP_1) | instid1(VALU_DEP_1)
	v_lshlrev_b64 v[48:49], 4, v[48:49]
	s_waitcnt lgkmcnt(0)
	v_add_co_u32 v48, vcc_lo, s4, v48
	s_delay_alu instid0(VALU_DEP_2)
	v_add_co_ci_u32_e32 v49, vcc_lo, s5, v49, vcc_lo
	s_clause 0x1
	global_load_b128 v[53:56], v[48:49], off
	global_load_b128 v[57:60], v[48:49], off offset:16
	s_clause 0x3
	global_load_b128 v[61:64], v[45:46], off offset:48
	global_load_b128 v[65:68], v[45:46], off offset:16
	;; [unrolled: 1-line block ×4, first 2 shown]
	s_clause 0x1
	global_load_b128 v[77:80], v[48:49], off offset:32
	global_load_b128 v[81:84], v[48:49], off offset:48
	s_clause 0x3
	global_load_b128 v[85:88], v[45:46], off offset:1056
	global_load_b128 v[89:92], v[45:46], off offset:1024
	;; [unrolled: 1-line block ×4, first 2 shown]
	v_lshlrev_b32_e32 v48, 2, v26
	s_waitcnt vmcnt(13)
	v_subrev_nc_u32_e32 v26, s12, v109
	s_delay_alu instid0(VALU_DEP_2) | instskip(NEXT) | instid1(VALU_DEP_2)
	v_ashrrev_i32_e32 v49, 31, v48
	v_lshlrev_b32_e32 v109, 2, v26
	s_waitcnt vmcnt(12)
	v_subrev_nc_u32_e32 v26, s12, v111
	s_delay_alu instid0(VALU_DEP_3) | instskip(NEXT) | instid1(VALU_DEP_3)
	v_lshlrev_b64 v[48:49], 4, v[48:49]
	v_ashrrev_i32_e32 v110, 31, v109
	s_delay_alu instid0(VALU_DEP_2) | instskip(NEXT) | instid1(VALU_DEP_3)
	v_add_co_u32 v48, vcc_lo, s4, v48
	v_add_co_ci_u32_e32 v49, vcc_lo, s5, v49, vcc_lo
	global_load_b128 v[101:104], v[48:49], off
	s_waitcnt vmcnt(12)
	v_fma_f64 v[35:36], v[53:54], 0, v[35:36]
	v_fma_f64 v[41:42], v[53:54], 0, v[41:42]
	;; [unrolled: 1-line block ×16, first 2 shown]
	global_load_b128 v[29:32], v[48:49], off offset:16
	s_waitcnt vmcnt(12)
	v_fma_f64 v[12:13], v[57:58], 0, v[12:13]
	v_fma_f64 v[8:9], v[57:58], 0, v[8:9]
	;; [unrolled: 1-line block ×16, first 2 shown]
	s_clause 0x3
	global_load_b128 v[0:3], v[45:46], off offset:1072
	global_load_b128 v[4:7], v[45:46], off offset:1040
	;; [unrolled: 1-line block ×5, first 2 shown]
	s_waitcnt vmcnt(12)
	v_fma_f64 v[41:42], v[77:78], 0, v[41:42]
	v_fma_f64 v[43:44], v[77:78], 0, v[43:44]
	;; [unrolled: 1-line block ×16, first 2 shown]
	global_load_b128 v[37:40], v[48:49], off offset:48
	s_waitcnt vmcnt(12)
	v_fma_f64 v[48:49], v[81:82], 0, v[41:42]
	v_fma_f64 v[69:70], v[81:82], 0, v[43:44]
	;; [unrolled: 1-line block ×8, first 2 shown]
	s_clause 0x3
	global_load_b128 v[41:44], v[45:46], off offset:2080
	global_load_b128 v[53:56], v[45:46], off offset:2048
	global_load_b128 v[57:60], v[45:46], off offset:2144
	global_load_b128 v[77:80], v[45:46], off offset:2112
	v_fma_f64 v[48:49], v[67:68], v[83:84], v[48:49]
	v_fma_f64 v[67:68], v[63:64], v[83:84], v[69:70]
	;; [unrolled: 1-line block ×8, first 2 shown]
	v_lshlrev_b64 v[61:62], 4, v[109:110]
	s_delay_alu instid0(VALU_DEP_1) | instskip(NEXT) | instid1(VALU_DEP_2)
	v_add_co_u32 v107, vcc_lo, s4, v61
	v_add_co_ci_u32_e32 v108, vcc_lo, s5, v62, vcc_lo
	global_load_b128 v[61:64], v[107:108], off
	s_waitcnt vmcnt(12)
	v_fma_f64 v[48:49], v[101:102], 0, v[48:49]
	v_fma_f64 v[67:68], v[101:102], 0, v[67:68]
	;; [unrolled: 1-line block ×13, first 2 shown]
	global_load_b128 v[65:68], v[107:108], off offset:16
	v_fma_f64 v[75:76], v[97:98], v[103:104], v[75:76]
	v_fma_f64 v[81:82], 0x80000000, v[103:104], v[81:82]
	;; [unrolled: 1-line block ×3, first 2 shown]
	s_waitcnt vmcnt(12)
	v_fma_f64 v[48:49], v[29:30], 0, v[48:49]
	v_fma_f64 v[83:84], v[29:30], 0, v[83:84]
	;; [unrolled: 1-line block ×16, first 2 shown]
	s_clause 0x3
	global_load_b128 v[29:32], v[45:46], off offset:2096
	global_load_b128 v[69:72], v[45:46], off offset:2064
	;; [unrolled: 1-line block ×5, first 2 shown]
	s_waitcnt vmcnt(12)
	v_fma_f64 v[48:49], v[33:34], 0, v[48:49]
	v_fma_f64 v[89:90], v[33:34], 0, v[89:90]
	;; [unrolled: 1-line block ×16, first 2 shown]
	global_load_b128 v[33:36], v[107:108], off offset:48
	s_waitcnt vmcnt(12)
	v_fma_f64 v[4:5], v[37:38], 0, v[4:5]
	v_fma_f64 v[0:1], v[37:38], 0, v[0:1]
	;; [unrolled: 1-line block ×8, first 2 shown]
	v_lshlrev_b32_e32 v37, 2, v26
	s_clause 0x3
	global_load_b128 v[89:92], v[45:46], off offset:3104
	global_load_b128 v[93:96], v[45:46], off offset:3072
	;; [unrolled: 1-line block ×4, first 2 shown]
	v_ashrrev_i32_e32 v38, 31, v37
	v_fma_f64 v[4:5], v[6:7], v[39:40], v[4:5]
	v_fma_f64 v[6:7], v[2:3], v[39:40], v[0:1]
	;; [unrolled: 1-line block ×5, first 2 shown]
	v_lshlrev_b64 v[0:1], 4, v[37:38]
	v_fma_f64 v[12:13], v[14:15], v[39:40], v[12:13]
	v_fma_f64 v[14:15], 0x80000000, v[39:40], v[109:110]
	;; [unrolled: 1-line block ×3, first 2 shown]
	s_delay_alu instid0(VALU_DEP_4)
	v_add_co_u32 v109, vcc_lo, s4, v0
	v_add_co_ci_u32_e32 v110, vcc_lo, s5, v1, vcc_lo
	v_cmp_ge_i32_e32 vcc_lo, v47, v51
	global_load_b128 v[0:3], v[109:110], off
	s_or_b32 s10, vcc_lo, s10
	s_waitcnt vmcnt(12)
	v_fma_f64 v[4:5], v[61:62], 0, v[4:5]
	v_fma_f64 v[6:7], v[61:62], 0, v[6:7]
	;; [unrolled: 1-line block ×10, first 2 shown]
	global_load_b128 v[4:7], v[109:110], off offset:16
	v_fma_f64 v[10:11], 0x80000000, v[63:64], v[10:11]
	v_fma_f64 v[37:38], 0x80000000, v[63:64], v[37:38]
	v_fma_f64 v[39:40], 0x80000000, v[63:64], v[39:40]
	v_fma_f64 v[12:13], v[77:78], v[63:64], v[12:13]
	v_fma_f64 v[14:15], 0x80000000, v[63:64], v[14:15]
	v_fma_f64 v[8:9], v[57:58], v[63:64], v[8:9]
	s_waitcnt vmcnt(12)
	v_fma_f64 v[48:49], v[65:66], 0, v[48:49]
	v_fma_f64 v[41:42], v[65:66], 0, v[41:42]
	;; [unrolled: 1-line block ×16, first 2 shown]
	s_clause 0x3
	global_load_b128 v[8:11], v[45:46], off offset:3120
	global_load_b128 v[12:15], v[45:46], off offset:3088
	;; [unrolled: 1-line block ×5, first 2 shown]
	v_add_co_u32 v45, s1, 0x1000, v45
	s_delay_alu instid0(VALU_DEP_1)
	v_add_co_ci_u32_e64 v46, s1, 0, v46, s1
	s_waitcnt vmcnt(12)
	v_fma_f64 v[48:49], v[85:86], 0, v[48:49]
	v_fma_f64 v[41:42], v[85:86], 0, v[41:42]
	;; [unrolled: 1-line block ×16, first 2 shown]
	global_load_b128 v[61:64], v[109:110], off offset:48
	s_waitcnt vmcnt(12)
	v_fma_f64 v[48:49], v[33:34], 0, v[48:49]
	v_fma_f64 v[29:30], v[33:34], 0, v[29:30]
	v_fma_f64 v[73:74], v[71:72], v[33:34], v[79:80]
	v_fma_f64 v[69:70], v[31:32], v[33:34], v[69:70]
	v_fma_f64 v[41:42], v[83:84], v[33:34], v[41:42]
	v_fma_f64 v[43:44], v[33:34], 0, v[43:44]
	v_fma_f64 v[65:66], v[75:76], v[33:34], v[65:66]
	v_fma_f64 v[33:34], v[33:34], 0, v[67:68]
	v_fma_f64 v[48:49], v[71:72], v[35:36], v[48:49]
	v_fma_f64 v[29:30], v[31:32], v[35:36], v[29:30]
	v_fma_f64 v[67:68], 0x80000000, v[35:36], v[73:74]
	v_fma_f64 v[69:70], 0x80000000, v[35:36], v[69:70]
	v_fma_f64 v[31:32], 0x80000000, v[35:36], v[41:42]
	v_fma_f64 v[41:42], v[83:84], v[35:36], v[43:44]
	v_fma_f64 v[43:44], 0x80000000, v[35:36], v[65:66]
	v_fma_f64 v[33:34], v[75:76], v[35:36], v[33:34]
	s_waitcnt vmcnt(7)
	v_fma_f64 v[48:49], v[0:1], 0, v[48:49]
	v_fma_f64 v[29:30], v[0:1], 0, v[29:30]
	v_fma_f64 v[35:36], v[93:94], v[0:1], v[67:68]
	v_fma_f64 v[65:66], v[89:90], v[0:1], v[69:70]
	v_fma_f64 v[31:32], v[101:102], v[0:1], v[31:32]
	v_fma_f64 v[41:42], v[0:1], 0, v[41:42]
	v_fma_f64 v[43:44], v[97:98], v[0:1], v[43:44]
	v_fma_f64 v[0:1], v[0:1], 0, v[33:34]
	v_fma_f64 v[29:30], v[89:90], v[2:3], v[29:30]
	v_fma_f64 v[33:34], 0x80000000, v[2:3], v[35:36]
	v_fma_f64 v[35:36], v[93:94], v[2:3], v[48:49]
	v_fma_f64 v[48:49], 0x80000000, v[2:3], v[65:66]
	v_fma_f64 v[31:32], 0x80000000, v[2:3], v[31:32]
	v_fma_f64 v[41:42], v[101:102], v[2:3], v[41:42]
	v_fma_f64 v[43:44], 0x80000000, v[2:3], v[43:44]
	v_fma_f64 v[0:1], v[97:98], v[2:3], v[0:1]
	;; [unrolled: 17-line block ×5, first 2 shown]
	s_and_not1_b32 exec_lo, exec_lo, s10
	s_cbranch_execnz .LBB136_23
; %bb.24:
	s_or_b32 exec_lo, exec_lo, s10
.LBB136_25:
	s_delay_alu instid0(SALU_CYCLE_1)
	s_or_b32 exec_lo, exec_lo, s7
.LBB136_26:
	s_delay_alu instid0(SALU_CYCLE_1)
	s_or_b32 exec_lo, exec_lo, s6
	s_cbranch_execz .LBB136_28
	s_branch .LBB136_39
.LBB136_27:
                                        ; implicit-def: $vgpr35_vgpr36
                                        ; implicit-def: $vgpr39_vgpr40
                                        ; implicit-def: $vgpr41_vgpr42
                                        ; implicit-def: $vgpr43_vgpr44
                                        ; implicit-def: $vgpr33_vgpr34
                                        ; implicit-def: $vgpr37_vgpr38
                                        ; implicit-def: $vgpr31_vgpr32
                                        ; implicit-def: $vgpr29_vgpr30
.LBB136_28:
	v_mov_b32_e32 v35, 0
	v_mov_b32_e32 v36, 0
	s_delay_alu instid0(VALU_DEP_2) | instskip(SKIP_1) | instid1(VALU_DEP_3)
	v_mov_b32_e32 v33, v35
	v_mov_b32_e32 v31, v35
	v_dual_mov_b32 v29, v35 :: v_dual_mov_b32 v30, v36
	v_dual_mov_b32 v40, v36 :: v_dual_mov_b32 v39, v35
	;; [unrolled: 1-line block ×4, first 2 shown]
	v_mov_b32_e32 v34, v36
	v_dual_mov_b32 v38, v36 :: v_dual_mov_b32 v37, v35
	v_mov_b32_e32 v32, v36
	s_and_saveexec_b32 s1, s0
	s_cbranch_execz .LBB136_38
; %bb.29:
	v_dual_mov_b32 v29, 0 :: v_dual_add_nc_u32 v0, v52, v50
	v_mov_b32_e32 v30, 0
	v_not_b32_e32 v1, v52
	s_mov_b32 s7, 0
	s_delay_alu instid0(VALU_DEP_3) | instskip(SKIP_2) | instid1(VALU_DEP_2)
	v_subrev_nc_u32_e32 v0, s12, v0
	s_mov_b32 s6, exec_lo
	v_dual_mov_b32 v32, v30 :: v_dual_mov_b32 v31, v29
	v_add_nc_u32_e32 v0, 8, v0
	s_delay_alu instid0(VALU_DEP_1) | instskip(NEXT) | instid1(VALU_DEP_1)
	v_max_i32_e32 v0, v0, v51
	v_add3_u32 v0, v0, s12, v1
	s_delay_alu instid0(VALU_DEP_1) | instskip(NEXT) | instid1(VALU_DEP_1)
	v_sub_nc_u32_e32 v0, v0, v50
	v_lshrrev_b32_e32 v1, 3, v0
	s_delay_alu instid0(VALU_DEP_1) | instskip(SKIP_2) | instid1(VALU_DEP_3)
	v_dual_mov_b32 v38, v30 :: v_dual_add_nc_u32 v1, 1, v1
	v_dual_mov_b32 v37, v29 :: v_dual_mov_b32 v34, v30
	v_mov_b32_e32 v33, v29
	v_dual_mov_b32 v44, v30 :: v_dual_and_b32 v1, 3, v1
	v_dual_mov_b32 v43, v29 :: v_dual_mov_b32 v42, v30
	v_dual_mov_b32 v41, v29 :: v_dual_mov_b32 v40, v30
	;; [unrolled: 1-line block ×3, first 2 shown]
	v_mov_b32_e32 v35, v29
	v_cmpx_ne_u32_e32 0, v1
	s_cbranch_execz .LBB136_33
; %bb.30:
	v_mov_b32_e32 v35, 0
	v_dual_mov_b32 v36, 0 :: v_dual_lshlrev_b32 v1, 7, v1
	s_delay_alu instid0(VALU_DEP_2) | instskip(SKIP_1) | instid1(VALU_DEP_3)
	v_mov_b32_e32 v33, v35
	v_mov_b32_e32 v31, v35
	v_dual_mov_b32 v29, v35 :: v_dual_mov_b32 v30, v36
	v_dual_mov_b32 v40, v36 :: v_dual_mov_b32 v39, v35
	;; [unrolled: 1-line block ×4, first 2 shown]
	v_mov_b32_e32 v34, v36
	v_dual_mov_b32 v38, v36 :: v_dual_mov_b32 v37, v35
	v_mov_b32_e32 v32, v36
.LBB136_31:                             ; =>This Inner Loop Header: Depth=1
	v_ashrrev_i32_e32 v26, 31, v25
	v_add_nc_u32_e32 v1, 0xffffff80, v1
	s_delay_alu instid0(VALU_DEP_2) | instskip(NEXT) | instid1(VALU_DEP_2)
	v_lshlrev_b64 v[2:3], 2, v[25:26]
	v_cmp_eq_u32_e64 s0, 0, v1
	v_add_nc_u32_e32 v25, 8, v25
	s_delay_alu instid0(VALU_DEP_2) | instskip(NEXT) | instid1(VALU_DEP_3)
	s_or_b32 s7, s0, s7
	v_add_co_u32 v2, vcc_lo, s8, v2
	s_delay_alu instid0(VALU_DEP_4)
	v_add_co_ci_u32_e32 v3, vcc_lo, s9, v3, vcc_lo
	global_load_b32 v10, v[2:3], off
	s_clause 0x1
	global_load_b128 v[2:5], v[27:28], off offset:16
	global_load_b128 v[6:9], v[27:28], off
	s_waitcnt vmcnt(2)
	v_subrev_nc_u32_e32 v10, s12, v10
	s_delay_alu instid0(VALU_DEP_1) | instskip(NEXT) | instid1(VALU_DEP_1)
	v_lshlrev_b32_e32 v10, 2, v10
	v_ashrrev_i32_e32 v11, 31, v10
	s_delay_alu instid0(VALU_DEP_1) | instskip(SKIP_1) | instid1(VALU_DEP_1)
	v_lshlrev_b64 v[10:11], 4, v[10:11]
	s_waitcnt lgkmcnt(0)
	v_add_co_u32 v14, vcc_lo, s4, v10
	s_delay_alu instid0(VALU_DEP_2)
	v_add_co_ci_u32_e32 v15, vcc_lo, s5, v11, vcc_lo
	s_clause 0x1
	global_load_b128 v[10:13], v[14:15], off
	global_load_b128 v[45:48], v[14:15], off offset:16
	s_clause 0x3
	global_load_b128 v[52:55], v[27:28], off offset:32
	global_load_b128 v[56:59], v[27:28], off offset:48
	global_load_b128 v[60:63], v[27:28], off offset:80
	global_load_b128 v[64:67], v[27:28], off offset:64
	s_clause 0x1
	global_load_b128 v[68:71], v[14:15], off offset:32
	global_load_b128 v[72:75], v[14:15], off offset:48
	s_clause 0x1
	global_load_b128 v[76:79], v[27:28], off offset:96
	global_load_b128 v[80:83], v[27:28], off offset:112
	v_add_co_u32 v27, vcc_lo, 0x400, v27
	v_add_co_ci_u32_e32 v28, vcc_lo, 0, v28, vcc_lo
	s_waitcnt vmcnt(9)
	v_fma_f64 v[14:15], v[6:7], v[10:11], v[39:40]
	v_fma_f64 v[35:36], v[10:11], 0, v[35:36]
	;; [unrolled: 1-line block ×16, first 2 shown]
	s_waitcnt vmcnt(7)
	v_fma_f64 v[10:11], v[52:53], v[45:46], v[14:15]
	v_fma_f64 v[6:7], v[45:46], 0, v[6:7]
	;; [unrolled: 1-line block ×4, first 2 shown]
	s_waitcnt vmcnt(6)
	v_fma_f64 v[14:15], v[56:57], v[45:46], v[35:36]
	v_fma_f64 v[2:3], v[45:46], 0, v[2:3]
	v_fma_f64 v[29:30], v[58:59], v[45:46], v[29:30]
	v_fma_f64 v[4:5], v[45:46], 0, v[4:5]
	v_fma_f64 v[10:11], 0x80000000, v[47:48], v[10:11]
	v_fma_f64 v[6:7], v[52:53], v[47:48], v[6:7]
	v_fma_f64 v[12:13], 0x80000000, v[47:48], v[12:13]
	v_fma_f64 v[8:9], v[54:55], v[47:48], v[8:9]
	v_fma_f64 v[14:15], 0x80000000, v[47:48], v[14:15]
	v_fma_f64 v[2:3], v[56:57], v[47:48], v[2:3]
	v_fma_f64 v[29:30], 0x80000000, v[47:48], v[29:30]
	v_fma_f64 v[4:5], v[58:59], v[47:48], v[4:5]
	s_waitcnt vmcnt(3)
	v_fma_f64 v[10:11], v[64:65], v[68:69], v[10:11]
	v_fma_f64 v[6:7], v[68:69], 0, v[6:7]
	;; [unrolled: 1-line block ×16, first 2 shown]
	s_waitcnt vmcnt(1)
	v_fma_f64 v[10:11], v[76:77], v[72:73], v[10:11]
	v_fma_f64 v[6:7], v[72:73], 0, v[6:7]
	;; [unrolled: 1-line block ×4, first 2 shown]
	s_waitcnt vmcnt(0)
	v_fma_f64 v[14:15], v[80:81], v[72:73], v[14:15]
	v_fma_f64 v[2:3], v[72:73], 0, v[2:3]
	;; [unrolled: 1-line block ×12, first 2 shown]
	s_and_not1_b32 exec_lo, exec_lo, s7
	s_cbranch_execnz .LBB136_31
; %bb.32:
	s_or_b32 exec_lo, exec_lo, s7
.LBB136_33:
	s_delay_alu instid0(SALU_CYCLE_1) | instskip(NEXT) | instid1(SALU_CYCLE_1)
	s_or_b32 exec_lo, exec_lo, s6
	s_mov_b32 s6, exec_lo
	v_cmpx_lt_u32_e32 23, v0
	s_cbranch_execz .LBB136_37
; %bb.34:
	s_mov_b32 s7, 0
.LBB136_35:                             ; =>This Inner Loop Header: Depth=1
	v_ashrrev_i32_e32 v26, 31, v25
	s_delay_alu instid0(VALU_DEP_1) | instskip(SKIP_1) | instid1(VALU_DEP_2)
	v_lshlrev_b64 v[0:1], 2, v[25:26]
	v_add_nc_u32_e32 v25, 32, v25
	v_add_co_u32 v8, vcc_lo, s8, v0
	s_delay_alu instid0(VALU_DEP_3)
	v_add_co_ci_u32_e32 v9, vcc_lo, s9, v1, vcc_lo
	global_load_b32 v10, v[8:9], off
	s_clause 0x1
	global_load_b128 v[0:3], v[27:28], off offset:16
	global_load_b128 v[4:7], v[27:28], off
	s_clause 0x2
	global_load_b32 v26, v[8:9], off offset:32
	global_load_b32 v49, v[8:9], off offset:64
	;; [unrolled: 1-line block ×3, first 2 shown]
	s_waitcnt vmcnt(5)
	v_subrev_nc_u32_e32 v8, s12, v10
	s_waitcnt vmcnt(2)
	v_subrev_nc_u32_e32 v26, s12, v26
	s_delay_alu instid0(VALU_DEP_2) | instskip(NEXT) | instid1(VALU_DEP_2)
	v_lshlrev_b32_e32 v8, 2, v8
	v_lshlrev_b32_e32 v88, 2, v26
	s_waitcnt vmcnt(1)
	v_subrev_nc_u32_e32 v26, s12, v49
	s_delay_alu instid0(VALU_DEP_3) | instskip(NEXT) | instid1(VALU_DEP_3)
	v_ashrrev_i32_e32 v9, 31, v8
	v_ashrrev_i32_e32 v89, 31, v88
	s_delay_alu instid0(VALU_DEP_3) | instskip(NEXT) | instid1(VALU_DEP_3)
	v_lshlrev_b32_e32 v98, 2, v26
	v_lshlrev_b64 v[8:9], 4, v[8:9]
	s_waitcnt vmcnt(0)
	v_subrev_nc_u32_e32 v26, s12, v100
	v_lshlrev_b64 v[88:89], 4, v[88:89]
	v_ashrrev_i32_e32 v99, 31, v98
	s_waitcnt lgkmcnt(0)
	v_add_co_u32 v76, vcc_lo, s4, v8
	v_add_co_ci_u32_e32 v77, vcc_lo, s5, v9, vcc_lo
	s_delay_alu instid0(VALU_DEP_4)
	v_add_co_u32 v92, vcc_lo, s4, v88
	v_add_co_ci_u32_e32 v93, vcc_lo, s5, v89, vcc_lo
	global_load_b128 v[8:11], v[76:77], off
	s_clause 0x1
	global_load_b128 v[12:15], v[27:28], off offset:32
	global_load_b128 v[45:48], v[27:28], off offset:48
	global_load_b128 v[52:55], v[76:77], off offset:16
	s_clause 0x1
	global_load_b128 v[56:59], v[27:28], off offset:80
	global_load_b128 v[60:63], v[27:28], off offset:64
	global_load_b128 v[64:67], v[76:77], off offset:32
	;; [unrolled: 4-line block ×3, first 2 shown]
	s_clause 0x1
	global_load_b128 v[80:83], v[27:28], off offset:1040
	global_load_b128 v[84:87], v[27:28], off offset:1024
	global_load_b128 v[88:91], v[92:93], off
	s_waitcnt vmcnt(12)
	v_fma_f64 v[39:40], v[4:5], v[8:9], v[39:40]
	v_fma_f64 v[35:36], v[8:9], 0, v[35:36]
	v_fma_f64 v[43:44], v[6:7], v[8:9], v[43:44]
	v_fma_f64 v[41:42], v[8:9], 0, v[41:42]
	v_fma_f64 v[37:38], v[0:1], v[8:9], v[37:38]
	v_fma_f64 v[33:34], v[8:9], 0, v[33:34]
	v_fma_f64 v[29:30], v[2:3], v[8:9], v[29:30]
	v_fma_f64 v[8:9], v[8:9], 0, v[31:32]
	v_fma_f64 v[31:32], 0x80000000, v[10:11], v[39:40]
	v_fma_f64 v[35:36], v[4:5], v[10:11], v[35:36]
	v_fma_f64 v[39:40], 0x80000000, v[10:11], v[43:44]
	v_fma_f64 v[41:42], v[6:7], v[10:11], v[41:42]
	v_fma_f64 v[37:38], 0x80000000, v[10:11], v[37:38]
	v_fma_f64 v[33:34], v[0:1], v[10:11], v[33:34]
	v_fma_f64 v[29:30], 0x80000000, v[10:11], v[29:30]
	v_fma_f64 v[43:44], v[2:3], v[10:11], v[8:9]
	s_clause 0x1
	global_load_b128 v[0:3], v[27:28], off offset:1056
	global_load_b128 v[4:7], v[27:28], off offset:1072
	global_load_b128 v[8:11], v[92:93], off offset:16
	s_waitcnt vmcnt(12)
	v_fma_f64 v[31:32], v[12:13], v[52:53], v[31:32]
	v_fma_f64 v[35:36], v[52:53], 0, v[35:36]
	v_fma_f64 v[39:40], v[14:15], v[52:53], v[39:40]
	v_fma_f64 v[41:42], v[52:53], 0, v[41:42]
	v_fma_f64 v[37:38], v[45:46], v[52:53], v[37:38]
	v_fma_f64 v[33:34], v[52:53], 0, v[33:34]
	v_fma_f64 v[29:30], v[47:48], v[52:53], v[29:30]
	v_fma_f64 v[43:44], v[52:53], 0, v[43:44]
	v_fma_f64 v[52:53], 0x80000000, v[54:55], v[31:32]
	v_fma_f64 v[94:95], v[12:13], v[54:55], v[35:36]
	v_fma_f64 v[39:40], 0x80000000, v[54:55], v[39:40]
	v_fma_f64 v[41:42], v[14:15], v[54:55], v[41:42]
	v_fma_f64 v[37:38], 0x80000000, v[54:55], v[37:38]
	v_fma_f64 v[45:46], v[45:46], v[54:55], v[33:34]
	v_fma_f64 v[96:97], 0x80000000, v[54:55], v[29:30]
	v_fma_f64 v[43:44], v[47:48], v[54:55], v[43:44]
	s_clause 0x1
	global_load_b128 v[12:15], v[27:28], off offset:1104
	global_load_b128 v[29:32], v[27:28], off offset:1088
	global_load_b128 v[33:36], v[92:93], off offset:32
	;; [unrolled: 21-line block ×3, first 2 shown]
	s_waitcnt vmcnt(12)
	v_fma_f64 v[64:65], v[68:69], v[76:77], v[64:65]
	v_fma_f64 v[66:67], v[76:77], 0, v[52:53]
	;; [unrolled: 1-line block ×8, first 2 shown]
	s_clause 0x1
	global_load_b128 v[52:55], v[27:28], off offset:2064
	global_load_b128 v[56:59], v[27:28], off offset:2048
	v_fma_f64 v[64:65], 0x80000000, v[78:79], v[64:65]
	v_fma_f64 v[66:67], v[68:69], v[78:79], v[66:67]
	;; [unrolled: 1-line block ×8, first 2 shown]
	v_lshlrev_b64 v[60:61], 4, v[98:99]
	s_delay_alu instid0(VALU_DEP_1) | instskip(NEXT) | instid1(VALU_DEP_2)
	v_add_co_u32 v76, vcc_lo, s4, v60
	v_add_co_ci_u32_e32 v77, vcc_lo, s5, v61, vcc_lo
	global_load_b128 v[60:63], v[76:77], off
	s_waitcnt vmcnt(12)
	v_fma_f64 v[64:65], v[84:85], v[88:89], v[64:65]
	v_fma_f64 v[66:67], v[88:89], 0, v[66:67]
	v_fma_f64 v[68:69], v[86:87], v[88:89], v[68:69]
	v_fma_f64 v[70:71], v[88:89], 0, v[70:71]
	v_fma_f64 v[78:79], v[80:81], v[88:89], v[92:93]
	v_fma_f64 v[72:73], v[88:89], 0, v[72:73]
	v_fma_f64 v[92:93], v[82:83], v[88:89], v[94:95]
	v_fma_f64 v[74:75], v[88:89], 0, v[74:75]
	v_fma_f64 v[88:89], 0x80000000, v[90:91], v[64:65]
	v_fma_f64 v[84:85], v[84:85], v[90:91], v[66:67]
	v_fma_f64 v[94:95], 0x80000000, v[90:91], v[68:69]
	v_fma_f64 v[86:87], v[86:87], v[90:91], v[70:71]
	v_fma_f64 v[78:79], 0x80000000, v[90:91], v[78:79]
	v_fma_f64 v[80:81], v[80:81], v[90:91], v[72:73]
	v_fma_f64 v[92:93], 0x80000000, v[90:91], v[92:93]
	v_fma_f64 v[82:83], v[82:83], v[90:91], v[74:75]
	s_clause 0x1
	global_load_b128 v[64:67], v[27:28], off offset:2080
	global_load_b128 v[68:71], v[27:28], off offset:2096
	global_load_b128 v[72:75], v[76:77], off offset:16
	s_waitcnt vmcnt(12)
	v_fma_f64 v[88:89], v[0:1], v[8:9], v[88:89]
	v_fma_f64 v[84:85], v[8:9], 0, v[84:85]
	v_fma_f64 v[90:91], v[2:3], v[8:9], v[94:95]
	v_fma_f64 v[86:87], v[8:9], 0, v[86:87]
	v_fma_f64 v[78:79], v[4:5], v[8:9], v[78:79]
	v_fma_f64 v[80:81], v[8:9], 0, v[80:81]
	v_fma_f64 v[92:93], v[6:7], v[8:9], v[92:93]
	v_fma_f64 v[8:9], v[8:9], 0, v[82:83]
	v_fma_f64 v[82:83], 0x80000000, v[10:11], v[88:89]
	v_fma_f64 v[84:85], v[0:1], v[10:11], v[84:85]
	v_fma_f64 v[88:89], 0x80000000, v[10:11], v[90:91]
	v_fma_f64 v[86:87], v[2:3], v[10:11], v[86:87]
	v_fma_f64 v[78:79], 0x80000000, v[10:11], v[78:79]
	v_fma_f64 v[80:81], v[4:5], v[10:11], v[80:81]
	v_fma_f64 v[90:91], 0x80000000, v[10:11], v[92:93]
	v_fma_f64 v[92:93], v[6:7], v[10:11], v[8:9]
	s_clause 0x1
	global_load_b128 v[0:3], v[27:28], off offset:2128
	global_load_b128 v[4:7], v[27:28], off offset:2112
	global_load_b128 v[8:11], v[76:77], off offset:32
	;; [unrolled: 21-line block ×3, first 2 shown]
	s_waitcnt vmcnt(12)
	v_fma_f64 v[94:95], v[37:38], v[45:46], v[82:83]
	v_fma_f64 v[84:85], v[45:46], 0, v[84:85]
	;; [unrolled: 1-line block ×8, first 2 shown]
	v_lshlrev_b32_e32 v92, 2, v26
	s_clause 0x1
	global_load_b128 v[76:79], v[27:28], off offset:3088
	global_load_b128 v[80:83], v[27:28], off offset:3072
	v_ashrrev_i32_e32 v93, 31, v92
	v_fma_f64 v[94:95], 0x80000000, v[47:48], v[94:95]
	v_fma_f64 v[84:85], v[37:38], v[47:48], v[84:85]
	;; [unrolled: 1-line block ×8, first 2 shown]
	v_lshlrev_b64 v[37:38], 4, v[92:93]
	s_delay_alu instid0(VALU_DEP_1) | instskip(NEXT) | instid1(VALU_DEP_2)
	v_add_co_u32 v92, vcc_lo, s4, v37
	v_add_co_ci_u32_e32 v93, vcc_lo, s5, v38, vcc_lo
	v_cmp_ge_i32_e32 vcc_lo, v25, v51
	global_load_b128 v[37:40], v[92:93], off
	s_or_b32 s7, vcc_lo, s7
	s_waitcnt vmcnt(12)
	v_fma_f64 v[45:46], v[56:57], v[60:61], v[94:95]
	v_fma_f64 v[47:48], v[60:61], 0, v[84:85]
	v_fma_f64 v[84:85], v[58:59], v[60:61], v[88:89]
	v_fma_f64 v[86:87], v[60:61], 0, v[86:87]
	v_fma_f64 v[88:89], v[52:53], v[60:61], v[96:97]
	v_fma_f64 v[41:42], v[60:61], 0, v[41:42]
	v_fma_f64 v[90:91], v[54:55], v[60:61], v[90:91]
	v_fma_f64 v[43:44], v[60:61], 0, v[43:44]
	v_fma_f64 v[60:61], 0x80000000, v[62:63], v[45:46]
	v_fma_f64 v[56:57], v[56:57], v[62:63], v[47:48]
	v_fma_f64 v[84:85], 0x80000000, v[62:63], v[84:85]
	v_fma_f64 v[58:59], v[58:59], v[62:63], v[86:87]
	v_fma_f64 v[86:87], 0x80000000, v[62:63], v[88:89]
	v_fma_f64 v[88:89], v[52:53], v[62:63], v[41:42]
	v_fma_f64 v[90:91], 0x80000000, v[62:63], v[90:91]
	v_fma_f64 v[62:63], v[54:55], v[62:63], v[43:44]
	s_clause 0x1
	global_load_b128 v[41:44], v[27:28], off offset:3104
	global_load_b128 v[45:48], v[27:28], off offset:3120
	global_load_b128 v[52:55], v[92:93], off offset:16
	s_waitcnt vmcnt(12)
	v_fma_f64 v[60:61], v[64:65], v[72:73], v[60:61]
	v_fma_f64 v[56:57], v[72:73], 0, v[56:57]
	v_fma_f64 v[84:85], v[66:67], v[72:73], v[84:85]
	v_fma_f64 v[58:59], v[72:73], 0, v[58:59]
	v_fma_f64 v[86:87], v[68:69], v[72:73], v[86:87]
	v_fma_f64 v[88:89], v[72:73], 0, v[88:89]
	v_fma_f64 v[90:91], v[70:71], v[72:73], v[90:91]
	v_fma_f64 v[62:63], v[72:73], 0, v[62:63]
	v_fma_f64 v[72:73], 0x80000000, v[74:75], v[60:61]
	v_fma_f64 v[94:95], v[64:65], v[74:75], v[56:57]
	v_fma_f64 v[84:85], 0x80000000, v[74:75], v[84:85]
	v_fma_f64 v[96:97], v[66:67], v[74:75], v[58:59]
	v_fma_f64 v[86:87], 0x80000000, v[74:75], v[86:87]
	v_fma_f64 v[68:69], v[68:69], v[74:75], v[88:89]
	v_fma_f64 v[88:89], 0x80000000, v[74:75], v[90:91]
	v_fma_f64 v[70:71], v[70:71], v[74:75], v[62:63]
	s_clause 0x1
	global_load_b128 v[56:59], v[27:28], off offset:3152
	global_load_b128 v[60:63], v[27:28], off offset:3136
	global_load_b128 v[64:67], v[92:93], off offset:32
	;; [unrolled: 21-line block ×3, first 2 shown]
	v_add_co_u32 v27, s0, 0x1000, v27
	s_delay_alu instid0(VALU_DEP_1)
	v_add_co_ci_u32_e64 v28, s0, 0, v28, s0
	s_waitcnt vmcnt(12)
	v_fma_f64 v[70:71], v[12:13], v[33:34], v[70:71]
	v_fma_f64 v[72:73], v[33:34], 0, v[72:73]
	v_fma_f64 v[74:75], v[14:15], v[33:34], v[74:75]
	v_fma_f64 v[84:85], v[33:34], 0, v[84:85]
	v_fma_f64 v[86:87], v[29:30], v[33:34], v[86:87]
	v_fma_f64 v[68:69], v[33:34], 0, v[68:69]
	v_fma_f64 v[88:89], v[31:32], v[33:34], v[88:89]
	v_fma_f64 v[33:34], v[33:34], 0, v[90:91]
	v_fma_f64 v[70:71], 0x80000000, v[35:36], v[70:71]
	v_fma_f64 v[12:13], v[12:13], v[35:36], v[72:73]
	v_fma_f64 v[72:73], 0x80000000, v[35:36], v[74:75]
	v_fma_f64 v[14:15], v[14:15], v[35:36], v[84:85]
	v_fma_f64 v[74:75], 0x80000000, v[35:36], v[86:87]
	v_fma_f64 v[29:30], v[29:30], v[35:36], v[68:69]
	v_fma_f64 v[68:69], 0x80000000, v[35:36], v[88:89]
	v_fma_f64 v[31:32], v[31:32], v[35:36], v[33:34]
	s_waitcnt vmcnt(9)
	v_fma_f64 v[33:34], v[80:81], v[37:38], v[70:71]
	v_fma_f64 v[12:13], v[37:38], 0, v[12:13]
	v_fma_f64 v[35:36], v[82:83], v[37:38], v[72:73]
	v_fma_f64 v[14:15], v[37:38], 0, v[14:15]
	v_fma_f64 v[70:71], v[76:77], v[37:38], v[74:75]
	v_fma_f64 v[29:30], v[37:38], 0, v[29:30]
	v_fma_f64 v[68:69], v[78:79], v[37:38], v[68:69]
	v_fma_f64 v[31:32], v[37:38], 0, v[31:32]
	v_fma_f64 v[33:34], 0x80000000, v[39:40], v[33:34]
	v_fma_f64 v[12:13], v[80:81], v[39:40], v[12:13]
	v_fma_f64 v[35:36], 0x80000000, v[39:40], v[35:36]
	v_fma_f64 v[14:15], v[82:83], v[39:40], v[14:15]
	v_fma_f64 v[37:38], 0x80000000, v[39:40], v[70:71]
	v_fma_f64 v[29:30], v[76:77], v[39:40], v[29:30]
	v_fma_f64 v[68:69], 0x80000000, v[39:40], v[68:69]
	v_fma_f64 v[31:32], v[78:79], v[39:40], v[31:32]
	;; [unrolled: 17-line block ×5, first 2 shown]
	s_and_not1_b32 exec_lo, exec_lo, s7
	s_cbranch_execnz .LBB136_35
; %bb.36:
	s_or_b32 exec_lo, exec_lo, s7
.LBB136_37:
	s_delay_alu instid0(SALU_CYCLE_1)
	s_or_b32 exec_lo, exec_lo, s6
.LBB136_38:
	s_delay_alu instid0(SALU_CYCLE_1)
	s_or_b32 exec_lo, exec_lo, s1
.LBB136_39:
	v_mbcnt_lo_u32_b32 v45, -1, 0
	s_delay_alu instid0(VALU_DEP_1) | instskip(NEXT) | instid1(VALU_DEP_1)
	v_xor_b32_e32 v0, 4, v45
	v_cmp_gt_i32_e32 vcc_lo, 32, v0
	v_cndmask_b32_e32 v0, v45, v0, vcc_lo
	s_delay_alu instid0(VALU_DEP_1)
	v_lshlrev_b32_e32 v15, 2, v0
	ds_bpermute_b32 v0, v15, v39
	ds_bpermute_b32 v1, v15, v40
	;; [unrolled: 1-line block ×16, first 2 shown]
	s_waitcnt lgkmcnt(0)
	v_add_f64 v[0:1], v[39:40], v[0:1]
	v_add_f64 v[2:3], v[35:36], v[2:3]
	;; [unrolled: 1-line block ×8, first 2 shown]
	v_xor_b32_e32 v14, 2, v45
	s_delay_alu instid0(VALU_DEP_1) | instskip(SKIP_1) | instid1(VALU_DEP_1)
	v_cmp_gt_i32_e32 vcc_lo, 32, v14
	v_cndmask_b32_e32 v14, v45, v14, vcc_lo
	v_lshlrev_b32_e32 v40, 2, v14
	ds_bpermute_b32 v14, v40, v0
	ds_bpermute_b32 v15, v40, v1
	;; [unrolled: 1-line block ×16, first 2 shown]
	s_waitcnt lgkmcnt(14)
	v_add_f64 v[0:1], v[0:1], v[14:15]
	s_waitcnt lgkmcnt(12)
	v_add_f64 v[27:28], v[2:3], v[27:28]
	;; [unrolled: 2-line block ×7, first 2 shown]
	v_xor_b32_e32 v12, 1, v45
	s_waitcnt lgkmcnt(0)
	v_add_f64 v[8:9], v[25:26], v[39:40]
	s_delay_alu instid0(VALU_DEP_2) | instskip(SKIP_2) | instid1(VALU_DEP_2)
	v_cmp_gt_i32_e32 vcc_lo, 32, v12
	v_cndmask_b32_e32 v12, v45, v12, vcc_lo
	v_cmp_eq_u32_e32 vcc_lo, 7, v50
	v_lshlrev_b32_e32 v34, 2, v12
	ds_bpermute_b32 v12, v34, v0
	ds_bpermute_b32 v13, v34, v1
	;; [unrolled: 1-line block ×16, first 2 shown]
	s_and_b32 exec_lo, exec_lo, vcc_lo
	s_cbranch_execz .LBB136_12
; %bb.40:
	s_waitcnt lgkmcnt(12)
	v_add_f64 v[27:28], v[27:28], v[39:40]
	s_waitcnt lgkmcnt(8)
	v_add_f64 v[14:15], v[14:15], v[37:38]
	;; [unrolled: 2-line block ×4, first 2 shown]
	v_add_f64 v[0:1], v[0:1], v[12:13]
	v_add_f64 v[2:3], v[2:3], v[25:26]
	;; [unrolled: 1-line block ×4, first 2 shown]
	v_cmp_eq_f64_e32 vcc_lo, 0, v[16:17]
	v_cmp_eq_f64_e64 s0, 0, v[18:19]
	s_load_b64 s[2:3], s[2:3], 0x60
	v_mul_f64 v[4:5], v[27:28], -v[22:23]
	v_mul_f64 v[6:7], v[20:21], v[27:28]
	v_mul_f64 v[27:28], v[14:15], -v[22:23]
	v_mul_f64 v[31:32], v[20:21], v[14:15]
	;; [unrolled: 2-line block ×4, first 2 shown]
	s_and_b32 s0, vcc_lo, s0
	v_fma_f64 v[12:13], v[20:21], v[0:1], v[4:5]
	v_fma_f64 v[14:15], v[22:23], v[0:1], v[6:7]
	;; [unrolled: 1-line block ×8, first 2 shown]
	v_lshlrev_b32_e32 v20, 2, v24
	s_and_saveexec_b32 s1, s0
	s_delay_alu instid0(SALU_CYCLE_1)
	s_xor_b32 s0, exec_lo, s1
	s_cbranch_execz .LBB136_42
; %bb.41:
	s_delay_alu instid0(VALU_DEP_1) | instskip(NEXT) | instid1(VALU_DEP_1)
	v_ashrrev_i32_e32 v21, 31, v20
                                        ; implicit-def: $vgpr18_vgpr19
	v_lshlrev_b64 v[16:17], 4, v[20:21]
                                        ; implicit-def: $vgpr20
	s_waitcnt lgkmcnt(0)
	s_delay_alu instid0(VALU_DEP_1) | instskip(NEXT) | instid1(VALU_DEP_2)
	v_add_co_u32 v16, vcc_lo, s2, v16
	v_add_co_ci_u32_e32 v17, vcc_lo, s3, v17, vcc_lo
	s_clause 0x3
	global_store_b128 v[16:17], v[12:15], off
	global_store_b128 v[16:17], v[8:11], off offset:16
	global_store_b128 v[16:17], v[4:7], off offset:32
	;; [unrolled: 1-line block ×3, first 2 shown]
                                        ; implicit-def: $vgpr16_vgpr17
                                        ; implicit-def: $vgpr12_vgpr13
                                        ; implicit-def: $vgpr8_vgpr9
                                        ; implicit-def: $vgpr4_vgpr5
                                        ; implicit-def: $vgpr0_vgpr1
.LBB136_42:
	s_and_not1_saveexec_b32 s0, s0
	s_cbranch_execz .LBB136_12
; %bb.43:
	v_ashrrev_i32_e32 v21, 31, v20
	s_delay_alu instid0(VALU_DEP_1) | instskip(SKIP_1) | instid1(VALU_DEP_1)
	v_lshlrev_b64 v[20:21], 4, v[20:21]
	s_waitcnt lgkmcnt(0)
	v_add_co_u32 v36, vcc_lo, s2, v20
	s_delay_alu instid0(VALU_DEP_2)
	v_add_co_ci_u32_e32 v37, vcc_lo, s3, v21, vcc_lo
	s_clause 0x3
	global_load_b128 v[20:23], v[36:37], off
	global_load_b128 v[24:27], v[36:37], off offset:16
	global_load_b128 v[28:31], v[36:37], off offset:32
	global_load_b128 v[32:35], v[36:37], off offset:48
	s_waitcnt vmcnt(3)
	v_fma_f64 v[12:13], v[16:17], v[20:21], v[12:13]
	v_fma_f64 v[14:15], v[18:19], v[20:21], v[14:15]
	s_waitcnt vmcnt(2)
	v_fma_f64 v[8:9], v[16:17], v[24:25], v[8:9]
	v_fma_f64 v[10:11], v[18:19], v[24:25], v[10:11]
	;; [unrolled: 3-line block ×4, first 2 shown]
	v_fma_f64 v[0:1], -v[18:19], v[22:23], v[12:13]
	v_fma_f64 v[2:3], v[16:17], v[22:23], v[14:15]
	v_fma_f64 v[4:5], -v[18:19], v[26:27], v[8:9]
	v_fma_f64 v[6:7], v[16:17], v[26:27], v[10:11]
	;; [unrolled: 2-line block ×4, first 2 shown]
	s_clause 0x3
	global_store_b128 v[36:37], v[0:3], off
	global_store_b128 v[36:37], v[4:7], off offset:16
	global_store_b128 v[36:37], v[8:11], off offset:32
	global_store_b128 v[36:37], v[12:15], off offset:48
	s_nop 0
	s_sendmsg sendmsg(MSG_DEALLOC_VGPRS)
	s_endpgm
	.section	.rodata,"a",@progbits
	.p2align	6, 0x0
	.amdhsa_kernel _ZN9rocsparseL18bsrxmvn_4x4_kernelILj128ELj8E21rocsparse_complex_numIdEiidS2_S2_EEvT3_20rocsparse_direction_NS_24const_host_device_scalarIT1_EES3_PKS3_PKT2_SC_S9_PKT4_PKT5_S7_PT6_21rocsparse_index_base_b
		.amdhsa_group_segment_fixed_size 2048
		.amdhsa_private_segment_fixed_size 0
		.amdhsa_kernarg_size 112
		.amdhsa_user_sgpr_count 15
		.amdhsa_user_sgpr_dispatch_ptr 1
		.amdhsa_user_sgpr_queue_ptr 0
		.amdhsa_user_sgpr_kernarg_segment_ptr 1
		.amdhsa_user_sgpr_dispatch_id 0
		.amdhsa_user_sgpr_private_segment_size 0
		.amdhsa_wavefront_size32 1
		.amdhsa_uses_dynamic_stack 0
		.amdhsa_enable_private_segment 0
		.amdhsa_system_sgpr_workgroup_id_x 1
		.amdhsa_system_sgpr_workgroup_id_y 0
		.amdhsa_system_sgpr_workgroup_id_z 0
		.amdhsa_system_sgpr_workgroup_info 0
		.amdhsa_system_vgpr_workitem_id 2
		.amdhsa_next_free_vgpr 112
		.amdhsa_next_free_sgpr 18
		.amdhsa_reserve_vcc 1
		.amdhsa_float_round_mode_32 0
		.amdhsa_float_round_mode_16_64 0
		.amdhsa_float_denorm_mode_32 3
		.amdhsa_float_denorm_mode_16_64 3
		.amdhsa_dx10_clamp 1
		.amdhsa_ieee_mode 1
		.amdhsa_fp16_overflow 0
		.amdhsa_workgroup_processor_mode 1
		.amdhsa_memory_ordered 1
		.amdhsa_forward_progress 0
		.amdhsa_shared_vgpr_count 0
		.amdhsa_exception_fp_ieee_invalid_op 0
		.amdhsa_exception_fp_denorm_src 0
		.amdhsa_exception_fp_ieee_div_zero 0
		.amdhsa_exception_fp_ieee_overflow 0
		.amdhsa_exception_fp_ieee_underflow 0
		.amdhsa_exception_fp_ieee_inexact 0
		.amdhsa_exception_int_div_zero 0
	.end_amdhsa_kernel
	.section	.text._ZN9rocsparseL18bsrxmvn_4x4_kernelILj128ELj8E21rocsparse_complex_numIdEiidS2_S2_EEvT3_20rocsparse_direction_NS_24const_host_device_scalarIT1_EES3_PKS3_PKT2_SC_S9_PKT4_PKT5_S7_PT6_21rocsparse_index_base_b,"axG",@progbits,_ZN9rocsparseL18bsrxmvn_4x4_kernelILj128ELj8E21rocsparse_complex_numIdEiidS2_S2_EEvT3_20rocsparse_direction_NS_24const_host_device_scalarIT1_EES3_PKS3_PKT2_SC_S9_PKT4_PKT5_S7_PT6_21rocsparse_index_base_b,comdat
.Lfunc_end136:
	.size	_ZN9rocsparseL18bsrxmvn_4x4_kernelILj128ELj8E21rocsparse_complex_numIdEiidS2_S2_EEvT3_20rocsparse_direction_NS_24const_host_device_scalarIT1_EES3_PKS3_PKT2_SC_S9_PKT4_PKT5_S7_PT6_21rocsparse_index_base_b, .Lfunc_end136-_ZN9rocsparseL18bsrxmvn_4x4_kernelILj128ELj8E21rocsparse_complex_numIdEiidS2_S2_EEvT3_20rocsparse_direction_NS_24const_host_device_scalarIT1_EES3_PKS3_PKT2_SC_S9_PKT4_PKT5_S7_PT6_21rocsparse_index_base_b
                                        ; -- End function
	.section	.AMDGPU.csdata,"",@progbits
; Kernel info:
; codeLenInByte = 10556
; NumSgprs: 20
; NumVgprs: 112
; ScratchSize: 0
; MemoryBound: 0
; FloatMode: 240
; IeeeMode: 1
; LDSByteSize: 2048 bytes/workgroup (compile time only)
; SGPRBlocks: 2
; VGPRBlocks: 13
; NumSGPRsForWavesPerEU: 20
; NumVGPRsForWavesPerEU: 112
; Occupancy: 12
; WaveLimiterHint : 1
; COMPUTE_PGM_RSRC2:SCRATCH_EN: 0
; COMPUTE_PGM_RSRC2:USER_SGPR: 15
; COMPUTE_PGM_RSRC2:TRAP_HANDLER: 0
; COMPUTE_PGM_RSRC2:TGID_X_EN: 1
; COMPUTE_PGM_RSRC2:TGID_Y_EN: 0
; COMPUTE_PGM_RSRC2:TGID_Z_EN: 0
; COMPUTE_PGM_RSRC2:TIDIG_COMP_CNT: 2
	.section	.text._ZN9rocsparseL18bsrxmvn_4x4_kernelILj128ELj16E21rocsparse_complex_numIdEiidS2_S2_EEvT3_20rocsparse_direction_NS_24const_host_device_scalarIT1_EES3_PKS3_PKT2_SC_S9_PKT4_PKT5_S7_PT6_21rocsparse_index_base_b,"axG",@progbits,_ZN9rocsparseL18bsrxmvn_4x4_kernelILj128ELj16E21rocsparse_complex_numIdEiidS2_S2_EEvT3_20rocsparse_direction_NS_24const_host_device_scalarIT1_EES3_PKS3_PKT2_SC_S9_PKT4_PKT5_S7_PT6_21rocsparse_index_base_b,comdat
	.globl	_ZN9rocsparseL18bsrxmvn_4x4_kernelILj128ELj16E21rocsparse_complex_numIdEiidS2_S2_EEvT3_20rocsparse_direction_NS_24const_host_device_scalarIT1_EES3_PKS3_PKT2_SC_S9_PKT4_PKT5_S7_PT6_21rocsparse_index_base_b ; -- Begin function _ZN9rocsparseL18bsrxmvn_4x4_kernelILj128ELj16E21rocsparse_complex_numIdEiidS2_S2_EEvT3_20rocsparse_direction_NS_24const_host_device_scalarIT1_EES3_PKS3_PKT2_SC_S9_PKT4_PKT5_S7_PT6_21rocsparse_index_base_b
	.p2align	8
	.type	_ZN9rocsparseL18bsrxmvn_4x4_kernelILj128ELj16E21rocsparse_complex_numIdEiidS2_S2_EEvT3_20rocsparse_direction_NS_24const_host_device_scalarIT1_EES3_PKS3_PKT2_SC_S9_PKT4_PKT5_S7_PT6_21rocsparse_index_base_b,@function
_ZN9rocsparseL18bsrxmvn_4x4_kernelILj128ELj16E21rocsparse_complex_numIdEiidS2_S2_EEvT3_20rocsparse_direction_NS_24const_host_device_scalarIT1_EES3_PKS3_PKT2_SC_S9_PKT4_PKT5_S7_PT6_21rocsparse_index_base_b: ; @_ZN9rocsparseL18bsrxmvn_4x4_kernelILj128ELj16E21rocsparse_complex_numIdEiidS2_S2_EEvT3_20rocsparse_direction_NS_24const_host_device_scalarIT1_EES3_PKS3_PKT2_SC_S9_PKT4_PKT5_S7_PT6_21rocsparse_index_base_b
; %bb.0:
	s_load_b64 s[12:13], s[2:3], 0x68
	s_load_b64 s[16:17], s[0:1], 0x4
	s_load_b128 s[8:11], s[2:3], 0x8
	v_bfe_u32 v2, v0, 10, 10
	s_mov_b64 s[0:1], src_shared_base
	s_load_b128 s[4:7], s[2:3], 0x50
	v_and_b32_e32 v1, 0x3ff, v0
	v_bfe_u32 v0, v0, 20, 10
	s_waitcnt lgkmcnt(0)
	s_bitcmp1_b32 s13, 0
	v_mul_u32_u24_e32 v2, s17, v2
	s_cselect_b32 s0, -1, 0
	v_mov_b32_e32 v23, s11
	s_and_b32 vcc_lo, s0, exec_lo
	s_cselect_b32 s13, s1, s9
	s_lshr_b32 s14, s16, 16
	v_dual_mov_b32 v4, s4 :: v_dual_mov_b32 v5, s5
	s_mul_i32 s14, s14, s17
	v_dual_mov_b32 v7, s13 :: v_dual_mov_b32 v22, s10
	v_mad_u32_u24 v2, s14, v1, v2
	s_xor_b32 s10, s0, -1
	s_delay_alu instid0(VALU_DEP_1) | instskip(SKIP_1) | instid1(VALU_DEP_2)
	v_add_lshl_u32 v0, v2, v0, 3
	v_dual_mov_b32 v2, s8 :: v_dual_mov_b32 v3, s9
	v_add_nc_u32_e32 v6, 0x400, v0
	ds_store_2addr_stride64_b64 v0, v[4:5], v[2:3] offset1:2
	v_cndmask_b32_e64 v6, s8, v6, s0
	flat_load_b64 v[20:21], v[6:7]
	s_cbranch_vccnz .LBB137_2
; %bb.1:
	v_dual_mov_b32 v2, s8 :: v_dual_mov_b32 v3, s9
	flat_load_b64 v[22:23], v[2:3] offset:8
.LBB137_2:
	s_and_b32 s8, s0, exec_lo
	s_cselect_b32 s1, s1, s5
	v_cndmask_b32_e64 v2, s4, v0, s0
	v_mov_b32_e32 v3, s1
	v_dual_mov_b32 v19, s7 :: v_dual_mov_b32 v18, s6
	s_and_not1_b32 vcc_lo, exec_lo, s10
	flat_load_b64 v[16:17], v[2:3]
	s_cbranch_vccnz .LBB137_4
; %bb.3:
	v_dual_mov_b32 v2, s4 :: v_dual_mov_b32 v3, s5
	flat_load_b64 v[18:19], v[2:3] offset:8
.LBB137_4:
	s_waitcnt vmcnt(1) lgkmcnt(1)
	v_cmp_eq_f64_e32 vcc_lo, 0, v[20:21]
	v_cmp_eq_f64_e64 s0, 0, v[22:23]
	s_delay_alu instid0(VALU_DEP_1)
	s_and_b32 s4, vcc_lo, s0
	s_mov_b32 s0, -1
	s_and_saveexec_b32 s1, s4
	s_cbranch_execz .LBB137_6
; %bb.5:
	s_waitcnt vmcnt(0) lgkmcnt(0)
	v_cmp_neq_f64_e32 vcc_lo, 1.0, v[16:17]
	v_cmp_neq_f64_e64 s0, 0, v[18:19]
	s_delay_alu instid0(VALU_DEP_1) | instskip(NEXT) | instid1(SALU_CYCLE_1)
	s_or_b32 s0, vcc_lo, s0
	s_or_not1_b32 s0, s0, exec_lo
.LBB137_6:
	s_or_b32 exec_lo, exec_lo, s1
	s_and_saveexec_b32 s1, s0
	s_cbranch_execz .LBB137_12
; %bb.7:
	s_clause 0x1
	s_load_b64 s[4:5], s[2:3], 0x20
	s_load_b64 s[0:1], s[2:3], 0x0
	v_lshrrev_b32_e32 v0, 4, v1
	s_delay_alu instid0(VALU_DEP_1)
	v_lshl_or_b32 v24, s15, 3, v0
	s_waitcnt lgkmcnt(0)
	s_cmp_lg_u64 s[4:5], 0
	s_cbranch_scc0 .LBB137_13
; %bb.8:
	s_load_b32 s6, s[2:3], 0x18
	s_mov_b32 s7, 0
                                        ; implicit-def: $vgpr0
	s_waitcnt lgkmcnt(0)
	v_cmp_gt_i32_e32 vcc_lo, s6, v24
	s_mov_b32 s6, 0
	s_and_saveexec_b32 s8, vcc_lo
	s_delay_alu instid0(SALU_CYCLE_1)
	s_xor_b32 s8, exec_lo, s8
	s_cbranch_execz .LBB137_10
; %bb.9:
	v_ashrrev_i32_e32 v25, 31, v24
	s_mov_b32 s6, exec_lo
	s_delay_alu instid0(VALU_DEP_1) | instskip(NEXT) | instid1(VALU_DEP_1)
	v_lshlrev_b64 v[2:3], 2, v[24:25]
	v_add_co_u32 v2, vcc_lo, s4, v2
	s_delay_alu instid0(VALU_DEP_2)
	v_add_co_ci_u32_e32 v3, vcc_lo, s5, v3, vcc_lo
	global_load_b32 v0, v[2:3], off
	s_waitcnt vmcnt(0)
	v_subrev_nc_u32_e32 v0, s12, v0
.LBB137_10:
	s_or_b32 exec_lo, exec_lo, s8
	s_delay_alu instid0(SALU_CYCLE_1)
	s_and_b32 vcc_lo, exec_lo, s7
	s_cbranch_vccz .LBB137_14
.LBB137_11:
	v_cmp_gt_i32_e32 vcc_lo, s0, v24
	s_and_not1_b32 s0, s6, exec_lo
	s_and_b32 s4, vcc_lo, exec_lo
	s_delay_alu instid0(SALU_CYCLE_1) | instskip(NEXT) | instid1(SALU_CYCLE_1)
	s_or_b32 s6, s0, s4
	s_and_b32 exec_lo, exec_lo, s6
	s_cbranch_execnz .LBB137_15
.LBB137_12:
	s_nop 0
	s_sendmsg sendmsg(MSG_DEALLOC_VGPRS)
	s_endpgm
.LBB137_13:
	s_mov_b32 s6, 0
                                        ; implicit-def: $vgpr0
	s_cbranch_execnz .LBB137_11
.LBB137_14:
	s_delay_alu instid0(VALU_DEP_1)
	v_mov_b32_e32 v24, v0
	s_and_b32 exec_lo, exec_lo, s6
	s_cbranch_execz .LBB137_12
.LBB137_15:
	s_load_b256 s[4:11], s[2:3], 0x28
	s_delay_alu instid0(VALU_DEP_1) | instskip(SKIP_1) | instid1(VALU_DEP_2)
	v_ashrrev_i32_e32 v25, 31, v24
	v_and_b32_e32 v50, 15, v1
	v_lshlrev_b64 v[2:3], 2, v[24:25]
	s_waitcnt lgkmcnt(0)
	s_delay_alu instid0(VALU_DEP_1) | instskip(NEXT) | instid1(VALU_DEP_2)
	v_add_co_u32 v4, vcc_lo, s4, v2
	v_add_co_ci_u32_e32 v5, vcc_lo, s5, v3, vcc_lo
	v_add_co_u32 v0, vcc_lo, s6, v2
	v_add_co_ci_u32_e32 v2, vcc_lo, s7, v3, vcc_lo
	global_load_b32 v52, v[4:5], off
	v_add_co_u32 v4, vcc_lo, v4, 4
	v_add_co_ci_u32_e32 v3, vcc_lo, 0, v5, vcc_lo
	s_cmp_eq_u64 s[6:7], 0
	s_load_b64 s[4:5], s[2:3], 0x48
	s_cselect_b32 vcc_lo, -1, 0
	s_cmp_eq_u32 s1, 1
	v_dual_cndmask_b32 v3, v2, v3 :: v_dual_cndmask_b32 v2, v0, v4
	global_load_b32 v2, v[2:3], off
	s_waitcnt vmcnt(1)
	v_subrev_nc_u32_e32 v0, s12, v52
	s_delay_alu instid0(VALU_DEP_1) | instskip(NEXT) | instid1(VALU_DEP_1)
	v_add_nc_u32_e32 v25, v0, v50
	v_ashrrev_i32_e32 v26, 31, v25
	s_waitcnt vmcnt(0)
	v_subrev_nc_u32_e32 v51, s12, v2
	s_delay_alu instid0(VALU_DEP_2) | instskip(NEXT) | instid1(VALU_DEP_2)
	v_lshlrev_b64 v[0:1], 7, v[25:26]
	v_cmp_lt_i32_e64 s0, v25, v51
	s_delay_alu instid0(VALU_DEP_2) | instskip(NEXT) | instid1(VALU_DEP_3)
	v_add_co_u32 v27, vcc_lo, s10, v0
	v_add_co_ci_u32_e32 v28, vcc_lo, s11, v1, vcc_lo
	s_cbranch_scc1 .LBB137_27
; %bb.16:
	v_mov_b32_e32 v35, 0
	v_mov_b32_e32 v36, 0
	s_delay_alu instid0(VALU_DEP_2) | instskip(SKIP_1) | instid1(VALU_DEP_3)
	v_mov_b32_e32 v33, v35
	v_mov_b32_e32 v31, v35
	v_dual_mov_b32 v29, v35 :: v_dual_mov_b32 v30, v36
	v_dual_mov_b32 v40, v36 :: v_dual_mov_b32 v39, v35
	;; [unrolled: 1-line block ×4, first 2 shown]
	v_mov_b32_e32 v34, v36
	v_dual_mov_b32 v38, v36 :: v_dual_mov_b32 v37, v35
	v_mov_b32_e32 v32, v36
	s_and_saveexec_b32 s6, s0
	s_cbranch_execz .LBB137_26
; %bb.17:
	v_dual_mov_b32 v29, 0 :: v_dual_add_nc_u32 v0, v52, v50
	v_mov_b32_e32 v46, v28
	v_not_b32_e32 v1, v52
	v_mov_b32_e32 v47, v25
	s_delay_alu instid0(VALU_DEP_4) | instskip(SKIP_2) | instid1(VALU_DEP_1)
	v_subrev_nc_u32_e32 v0, s12, v0
	s_mov_b32 s10, 0
	s_mov_b32 s7, exec_lo
	v_dual_mov_b32 v45, v27 :: v_dual_add_nc_u32 v0, 16, v0
	s_delay_alu instid0(VALU_DEP_1) | instskip(NEXT) | instid1(VALU_DEP_1)
	v_max_i32_e32 v0, v0, v51
	v_add3_u32 v0, v0, s12, v1
	s_delay_alu instid0(VALU_DEP_1) | instskip(NEXT) | instid1(VALU_DEP_1)
	v_sub_nc_u32_e32 v0, v0, v50
	v_lshrrev_b32_e32 v1, 4, v0
	s_delay_alu instid0(VALU_DEP_1) | instskip(NEXT) | instid1(VALU_DEP_1)
	v_dual_mov_b32 v30, 0 :: v_dual_add_nc_u32 v1, 1, v1
	v_mov_b32_e32 v32, v30
	v_mov_b32_e32 v38, v30
	v_dual_mov_b32 v34, v30 :: v_dual_mov_b32 v31, v29
	s_delay_alu instid0(VALU_DEP_4)
	v_and_b32_e32 v1, 3, v1
	v_mov_b32_e32 v37, v29
	v_dual_mov_b32 v33, v29 :: v_dual_mov_b32 v42, v30
	v_dual_mov_b32 v41, v29 :: v_dual_mov_b32 v44, v30
	;; [unrolled: 1-line block ×4, first 2 shown]
	v_mov_b32_e32 v35, v29
	v_cmpx_ne_u32_e32 0, v1
	s_cbranch_execz .LBB137_21
; %bb.18:
	v_dual_mov_b32 v35, 0 :: v_dual_mov_b32 v46, v28
	v_dual_mov_b32 v36, 0 :: v_dual_lshlrev_b32 v1, 7, v1
	v_mov_b32_e32 v47, v25
	v_mov_b32_e32 v45, v27
	s_delay_alu instid0(VALU_DEP_3)
	v_dual_mov_b32 v33, v35 :: v_dual_mov_b32 v40, v36
	v_dual_mov_b32 v39, v35 :: v_dual_mov_b32 v42, v36
	;; [unrolled: 1-line block ×4, first 2 shown]
	v_mov_b32_e32 v29, v35
	v_dual_mov_b32 v43, v35 :: v_dual_mov_b32 v34, v36
	v_dual_mov_b32 v37, v35 :: v_dual_mov_b32 v30, v36
	v_mov_b32_e32 v32, v36
.LBB137_19:                             ; =>This Inner Loop Header: Depth=1
	v_ashrrev_i32_e32 v48, 31, v47
	v_add_nc_u32_e32 v1, 0xffffff80, v1
	s_delay_alu instid0(VALU_DEP_2) | instskip(NEXT) | instid1(VALU_DEP_2)
	v_lshlrev_b64 v[2:3], 2, v[47:48]
	v_cmp_eq_u32_e64 s1, 0, v1
	v_add_nc_u32_e32 v47, 16, v47
	s_delay_alu instid0(VALU_DEP_2) | instskip(NEXT) | instid1(VALU_DEP_3)
	s_or_b32 s10, s1, s10
	v_add_co_u32 v2, vcc_lo, s8, v2
	s_delay_alu instid0(VALU_DEP_4)
	v_add_co_ci_u32_e32 v3, vcc_lo, s9, v3, vcc_lo
	global_load_b32 v14, v[2:3], off
	s_clause 0x7
	global_load_b128 v[2:5], v[45:46], off offset:48
	global_load_b128 v[6:9], v[45:46], off offset:32
	;; [unrolled: 1-line block ×3, first 2 shown]
	global_load_b128 v[53:56], v[45:46], off
	global_load_b128 v[57:60], v[45:46], off offset:112
	global_load_b128 v[61:64], v[45:46], off offset:96
	;; [unrolled: 1-line block ×4, first 2 shown]
	s_waitcnt vmcnt(8)
	v_subrev_nc_u32_e32 v14, s12, v14
	s_delay_alu instid0(VALU_DEP_1) | instskip(NEXT) | instid1(VALU_DEP_1)
	v_lshlrev_b32_e32 v14, 2, v14
	v_ashrrev_i32_e32 v15, 31, v14
	s_delay_alu instid0(VALU_DEP_1) | instskip(SKIP_1) | instid1(VALU_DEP_1)
	v_lshlrev_b64 v[14:15], 4, v[14:15]
	s_waitcnt lgkmcnt(0)
	v_add_co_u32 v14, vcc_lo, s4, v14
	s_delay_alu instid0(VALU_DEP_2)
	v_add_co_ci_u32_e32 v15, vcc_lo, s5, v15, vcc_lo
	v_add_co_u32 v45, vcc_lo, 0x800, v45
	s_clause 0x3
	global_load_b128 v[73:76], v[14:15], off
	global_load_b128 v[77:80], v[14:15], off offset:16
	global_load_b128 v[81:84], v[14:15], off offset:32
	;; [unrolled: 1-line block ×3, first 2 shown]
	v_add_co_ci_u32_e32 v46, vcc_lo, 0, v46, vcc_lo
	s_waitcnt vmcnt(3)
	v_fma_f64 v[14:15], v[53:54], v[73:74], v[39:40]
	v_fma_f64 v[35:36], v[73:74], 0, v[35:36]
	v_fma_f64 v[39:40], v[6:7], v[73:74], v[41:42]
	v_fma_f64 v[41:42], v[73:74], 0, v[43:44]
	v_fma_f64 v[37:38], v[69:70], v[73:74], v[37:38]
	v_fma_f64 v[33:34], v[73:74], 0, v[33:34]
	v_fma_f64 v[29:30], v[61:62], v[73:74], v[29:30]
	v_fma_f64 v[31:32], v[73:74], 0, v[31:32]
	v_fma_f64 v[14:15], 0x80000000, v[75:76], v[14:15]
	v_fma_f64 v[35:36], v[53:54], v[75:76], v[35:36]
	v_fma_f64 v[39:40], 0x80000000, v[75:76], v[39:40]
	v_fma_f64 v[6:7], v[6:7], v[75:76], v[41:42]
	v_fma_f64 v[37:38], 0x80000000, v[75:76], v[37:38]
	v_fma_f64 v[33:34], v[69:70], v[75:76], v[33:34]
	v_fma_f64 v[29:30], 0x80000000, v[75:76], v[29:30]
	v_fma_f64 v[31:32], v[61:62], v[75:76], v[31:32]
	s_waitcnt vmcnt(2)
	v_fma_f64 v[14:15], v[55:56], v[77:78], v[14:15]
	v_fma_f64 v[35:36], v[77:78], 0, v[35:36]
	v_fma_f64 v[39:40], v[8:9], v[77:78], v[39:40]
	v_fma_f64 v[6:7], v[77:78], 0, v[6:7]
	v_fma_f64 v[37:38], v[71:72], v[77:78], v[37:38]
	v_fma_f64 v[33:34], v[77:78], 0, v[33:34]
	v_fma_f64 v[29:30], v[63:64], v[77:78], v[29:30]
	v_fma_f64 v[31:32], v[77:78], 0, v[31:32]
	v_fma_f64 v[14:15], 0x80000000, v[79:80], v[14:15]
	v_fma_f64 v[35:36], v[55:56], v[79:80], v[35:36]
	v_fma_f64 v[39:40], 0x80000000, v[79:80], v[39:40]
	v_fma_f64 v[6:7], v[8:9], v[79:80], v[6:7]
	v_fma_f64 v[8:9], 0x80000000, v[79:80], v[37:38]
	v_fma_f64 v[33:34], v[71:72], v[79:80], v[33:34]
	v_fma_f64 v[29:30], 0x80000000, v[79:80], v[29:30]
	v_fma_f64 v[31:32], v[63:64], v[79:80], v[31:32]
	;; [unrolled: 17-line block ×4, first 2 shown]
	s_and_not1_b32 exec_lo, exec_lo, s10
	s_cbranch_execnz .LBB137_19
; %bb.20:
	s_or_b32 exec_lo, exec_lo, s10
.LBB137_21:
	s_delay_alu instid0(SALU_CYCLE_1) | instskip(NEXT) | instid1(SALU_CYCLE_1)
	s_or_b32 exec_lo, exec_lo, s7
	s_mov_b32 s7, exec_lo
	v_cmpx_lt_u32_e32 47, v0
	s_cbranch_execz .LBB137_25
; %bb.22:
	s_mov_b32 s10, 0
.LBB137_23:                             ; =>This Inner Loop Header: Depth=1
	v_ashrrev_i32_e32 v48, 31, v47
	s_delay_alu instid0(VALU_DEP_1) | instskip(SKIP_1) | instid1(VALU_DEP_2)
	v_lshlrev_b64 v[0:1], 2, v[47:48]
	v_add_nc_u32_e32 v47, 64, v47
	v_add_co_u32 v48, vcc_lo, s8, v0
	s_delay_alu instid0(VALU_DEP_3)
	v_add_co_ci_u32_e32 v49, vcc_lo, s9, v1, vcc_lo
	global_load_b32 v26, v[48:49], off
	s_clause 0x3
	global_load_b128 v[0:3], v[45:46], off offset:32
	global_load_b128 v[12:15], v[45:46], off
	global_load_b128 v[4:7], v[45:46], off offset:96
	global_load_b128 v[8:11], v[45:46], off offset:64
	s_clause 0x2
	global_load_b32 v101, v[48:49], off offset:64
	global_load_b32 v111, v[48:49], off offset:128
	;; [unrolled: 1-line block ×3, first 2 shown]
	s_waitcnt vmcnt(7)
	v_subrev_nc_u32_e32 v26, s12, v26
	s_delay_alu instid0(VALU_DEP_1) | instskip(SKIP_2) | instid1(VALU_DEP_2)
	v_lshlrev_b32_e32 v48, 2, v26
	s_waitcnt vmcnt(2)
	v_subrev_nc_u32_e32 v26, s12, v101
	v_ashrrev_i32_e32 v49, 31, v48
	s_delay_alu instid0(VALU_DEP_1) | instskip(SKIP_1) | instid1(VALU_DEP_1)
	v_lshlrev_b64 v[48:49], 4, v[48:49]
	s_waitcnt lgkmcnt(0)
	v_add_co_u32 v48, vcc_lo, s4, v48
	s_delay_alu instid0(VALU_DEP_2)
	v_add_co_ci_u32_e32 v49, vcc_lo, s5, v49, vcc_lo
	s_clause 0x1
	global_load_b128 v[53:56], v[48:49], off
	global_load_b128 v[57:60], v[48:49], off offset:16
	s_clause 0x3
	global_load_b128 v[61:64], v[45:46], off offset:48
	global_load_b128 v[65:68], v[45:46], off offset:16
	;; [unrolled: 1-line block ×4, first 2 shown]
	s_clause 0x1
	global_load_b128 v[77:80], v[48:49], off offset:32
	global_load_b128 v[81:84], v[48:49], off offset:48
	s_clause 0x3
	global_load_b128 v[85:88], v[45:46], off offset:2080
	global_load_b128 v[89:92], v[45:46], off offset:2048
	;; [unrolled: 1-line block ×4, first 2 shown]
	v_lshlrev_b32_e32 v48, 2, v26
	s_waitcnt vmcnt(13)
	v_subrev_nc_u32_e32 v26, s12, v111
	s_delay_alu instid0(VALU_DEP_2) | instskip(NEXT) | instid1(VALU_DEP_2)
	v_ashrrev_i32_e32 v49, 31, v48
	v_lshlrev_b32_e32 v111, 2, v26
	s_waitcnt vmcnt(12)
	v_subrev_nc_u32_e32 v26, s12, v113
	s_delay_alu instid0(VALU_DEP_3) | instskip(NEXT) | instid1(VALU_DEP_3)
	v_lshlrev_b64 v[48:49], 4, v[48:49]
	v_ashrrev_i32_e32 v112, 31, v111
	s_delay_alu instid0(VALU_DEP_2) | instskip(NEXT) | instid1(VALU_DEP_3)
	v_add_co_u32 v48, vcc_lo, s4, v48
	v_add_co_ci_u32_e32 v49, vcc_lo, s5, v49, vcc_lo
	v_add_co_u32 v109, vcc_lo, 0x1000, v45
	v_add_co_ci_u32_e32 v110, vcc_lo, 0, v46, vcc_lo
	global_load_b128 v[101:104], v[48:49], off
	s_waitcnt vmcnt(12)
	v_fma_f64 v[35:36], v[53:54], 0, v[35:36]
	v_fma_f64 v[43:44], v[53:54], 0, v[43:44]
	;; [unrolled: 1-line block ×16, first 2 shown]
	global_load_b128 v[29:32], v[48:49], off offset:16
	s_waitcnt vmcnt(12)
	v_fma_f64 v[12:13], v[57:58], 0, v[12:13]
	v_fma_f64 v[0:1], v[57:58], 0, v[0:1]
	v_fma_f64 v[35:36], v[14:15], v[57:58], v[35:36]
	v_fma_f64 v[39:40], v[2:3], v[57:58], v[39:40]
	v_fma_f64 v[37:38], v[10:11], v[57:58], v[37:38]
	v_fma_f64 v[8:9], v[57:58], 0, v[8:9]
	v_fma_f64 v[33:34], v[6:7], v[57:58], v[33:34]
	v_fma_f64 v[4:5], v[57:58], 0, v[4:5]
	v_fma_f64 v[41:42], v[14:15], v[59:60], v[12:13]
	v_fma_f64 v[43:44], v[2:3], v[59:60], v[0:1]
	v_fma_f64 v[53:54], 0x80000000, v[59:60], v[35:36]
	v_fma_f64 v[39:40], 0x80000000, v[59:60], v[39:40]
	v_fma_f64 v[37:38], 0x80000000, v[59:60], v[37:38]
	v_fma_f64 v[55:56], v[10:11], v[59:60], v[8:9]
	v_fma_f64 v[57:58], 0x80000000, v[59:60], v[33:34]
	v_fma_f64 v[59:60], v[6:7], v[59:60], v[4:5]
	s_clause 0x3
	global_load_b128 v[0:3], v[45:46], off offset:2096
	global_load_b128 v[4:7], v[45:46], off offset:2064
	;; [unrolled: 1-line block ×5, first 2 shown]
	v_add_co_u32 v45, s1, 0x2000, v45
	s_delay_alu instid0(VALU_DEP_1)
	v_add_co_ci_u32_e64 v46, s1, 0, v46, s1
	s_waitcnt vmcnt(12)
	v_fma_f64 v[41:42], v[77:78], 0, v[41:42]
	v_fma_f64 v[43:44], v[77:78], 0, v[43:44]
	;; [unrolled: 1-line block ×16, first 2 shown]
	global_load_b128 v[37:40], v[48:49], off offset:48
	s_waitcnt vmcnt(12)
	v_fma_f64 v[48:49], v[81:82], 0, v[41:42]
	v_fma_f64 v[69:70], v[81:82], 0, v[43:44]
	;; [unrolled: 1-line block ×8, first 2 shown]
	s_clause 0x3
	global_load_b128 v[41:44], v[109:110], off
	global_load_b128 v[53:56], v[109:110], off offset:32
	global_load_b128 v[57:60], v[109:110], off offset:96
	;; [unrolled: 1-line block ×3, first 2 shown]
	v_fma_f64 v[48:49], v[67:68], v[83:84], v[48:49]
	v_fma_f64 v[67:68], v[63:64], v[83:84], v[69:70]
	;; [unrolled: 1-line block ×8, first 2 shown]
	v_lshlrev_b64 v[61:62], 4, v[111:112]
	s_delay_alu instid0(VALU_DEP_1) | instskip(NEXT) | instid1(VALU_DEP_2)
	v_add_co_u32 v107, vcc_lo, s4, v61
	v_add_co_ci_u32_e32 v108, vcc_lo, s5, v62, vcc_lo
	global_load_b128 v[61:64], v[107:108], off
	s_waitcnt vmcnt(12)
	v_fma_f64 v[48:49], v[101:102], 0, v[48:49]
	v_fma_f64 v[67:68], v[101:102], 0, v[67:68]
	;; [unrolled: 1-line block ×13, first 2 shown]
	global_load_b128 v[65:68], v[107:108], off offset:16
	v_fma_f64 v[75:76], v[97:98], v[103:104], v[75:76]
	v_fma_f64 v[81:82], 0x80000000, v[103:104], v[81:82]
	;; [unrolled: 1-line block ×3, first 2 shown]
	s_waitcnt vmcnt(12)
	v_fma_f64 v[48:49], v[29:30], 0, v[48:49]
	v_fma_f64 v[83:84], v[29:30], 0, v[83:84]
	;; [unrolled: 1-line block ×16, first 2 shown]
	s_clause 0x3
	global_load_b128 v[29:32], v[109:110], off offset:48
	global_load_b128 v[69:72], v[109:110], off offset:112
	;; [unrolled: 1-line block ×5, first 2 shown]
	s_waitcnt vmcnt(12)
	v_fma_f64 v[48:49], v[33:34], 0, v[48:49]
	v_fma_f64 v[89:90], v[33:34], 0, v[89:90]
	v_fma_f64 v[91:92], v[4:5], v[33:34], v[91:92]
	v_fma_f64 v[93:94], v[0:1], v[33:34], v[93:94]
	v_fma_f64 v[97:98], v[12:13], v[33:34], v[97:98]
	v_fma_f64 v[99:100], v[33:34], 0, v[99:100]
	v_fma_f64 v[101:102], v[8:9], v[33:34], v[101:102]
	v_fma_f64 v[33:34], v[33:34], 0, v[95:96]
	v_fma_f64 v[4:5], v[4:5], v[35:36], v[48:49]
	v_fma_f64 v[0:1], v[0:1], v[35:36], v[89:90]
	v_fma_f64 v[48:49], 0x80000000, v[35:36], v[91:92]
	v_fma_f64 v[89:90], 0x80000000, v[35:36], v[93:94]
	v_fma_f64 v[91:92], 0x80000000, v[35:36], v[97:98]
	v_fma_f64 v[12:13], v[12:13], v[35:36], v[99:100]
	v_fma_f64 v[93:94], 0x80000000, v[35:36], v[101:102]
	v_fma_f64 v[8:9], v[8:9], v[35:36], v[33:34]
	global_load_b128 v[33:36], v[107:108], off offset:48
	s_waitcnt vmcnt(12)
	v_fma_f64 v[4:5], v[37:38], 0, v[4:5]
	v_fma_f64 v[0:1], v[37:38], 0, v[0:1]
	;; [unrolled: 1-line block ×8, first 2 shown]
	v_lshlrev_b32_e32 v37, 2, v26
	s_clause 0x3
	global_load_b128 v[89:92], v[109:110], off offset:2080
	global_load_b128 v[93:96], v[109:110], off offset:2048
	;; [unrolled: 1-line block ×4, first 2 shown]
	v_ashrrev_i32_e32 v38, 31, v37
	v_fma_f64 v[4:5], v[6:7], v[39:40], v[4:5]
	v_fma_f64 v[6:7], v[2:3], v[39:40], v[0:1]
	;; [unrolled: 1-line block ×5, first 2 shown]
	v_lshlrev_b64 v[0:1], 4, v[37:38]
	v_fma_f64 v[12:13], v[14:15], v[39:40], v[12:13]
	v_fma_f64 v[14:15], 0x80000000, v[39:40], v[111:112]
	;; [unrolled: 1-line block ×3, first 2 shown]
	s_delay_alu instid0(VALU_DEP_4)
	v_add_co_u32 v111, vcc_lo, s4, v0
	v_add_co_ci_u32_e32 v112, vcc_lo, s5, v1, vcc_lo
	v_cmp_ge_i32_e32 vcc_lo, v47, v51
	global_load_b128 v[0:3], v[111:112], off
	s_or_b32 s10, vcc_lo, s10
	s_waitcnt vmcnt(12)
	v_fma_f64 v[4:5], v[61:62], 0, v[4:5]
	v_fma_f64 v[6:7], v[61:62], 0, v[6:7]
	;; [unrolled: 1-line block ×10, first 2 shown]
	global_load_b128 v[4:7], v[111:112], off offset:16
	v_fma_f64 v[10:11], 0x80000000, v[63:64], v[10:11]
	v_fma_f64 v[37:38], 0x80000000, v[63:64], v[37:38]
	;; [unrolled: 1-line block ×6, first 2 shown]
	s_waitcnt vmcnt(12)
	v_fma_f64 v[41:42], v[65:66], 0, v[41:42]
	v_fma_f64 v[48:49], v[65:66], 0, v[48:49]
	;; [unrolled: 1-line block ×16, first 2 shown]
	s_clause 0x3
	global_load_b128 v[8:11], v[109:110], off offset:2096
	global_load_b128 v[12:15], v[109:110], off offset:2064
	;; [unrolled: 1-line block ×5, first 2 shown]
	s_waitcnt vmcnt(12)
	v_fma_f64 v[41:42], v[85:86], 0, v[41:42]
	v_fma_f64 v[48:49], v[85:86], 0, v[48:49]
	;; [unrolled: 1-line block ×16, first 2 shown]
	global_load_b128 v[61:64], v[111:112], off offset:48
	s_waitcnt vmcnt(12)
	v_fma_f64 v[41:42], v[33:34], 0, v[41:42]
	v_fma_f64 v[29:30], v[33:34], 0, v[29:30]
	v_fma_f64 v[69:70], v[83:84], v[33:34], v[79:80]
	v_fma_f64 v[43:44], v[31:32], v[33:34], v[43:44]
	v_fma_f64 v[48:49], v[75:76], v[33:34], v[48:49]
	v_fma_f64 v[65:66], v[33:34], 0, v[65:66]
	v_fma_f64 v[73:74], v[71:72], v[33:34], v[73:74]
	v_fma_f64 v[33:34], v[33:34], 0, v[67:68]
	v_fma_f64 v[41:42], v[83:84], v[35:36], v[41:42]
	v_fma_f64 v[29:30], v[31:32], v[35:36], v[29:30]
	v_fma_f64 v[67:68], 0x80000000, v[35:36], v[69:70]
	v_fma_f64 v[43:44], 0x80000000, v[35:36], v[43:44]
	v_fma_f64 v[31:32], 0x80000000, v[35:36], v[48:49]
	v_fma_f64 v[48:49], v[75:76], v[35:36], v[65:66]
	v_fma_f64 v[65:66], 0x80000000, v[35:36], v[73:74]
	v_fma_f64 v[33:34], v[71:72], v[35:36], v[33:34]
	s_waitcnt vmcnt(7)
	v_fma_f64 v[41:42], v[0:1], 0, v[41:42]
	v_fma_f64 v[29:30], v[0:1], 0, v[29:30]
	v_fma_f64 v[35:36], v[93:94], v[0:1], v[67:68]
	v_fma_f64 v[43:44], v[89:90], v[0:1], v[43:44]
	v_fma_f64 v[31:32], v[101:102], v[0:1], v[31:32]
	v_fma_f64 v[48:49], v[0:1], 0, v[48:49]
	v_fma_f64 v[65:66], v[97:98], v[0:1], v[65:66]
	v_fma_f64 v[0:1], v[0:1], 0, v[33:34]
	v_fma_f64 v[29:30], v[89:90], v[2:3], v[29:30]
	v_fma_f64 v[33:34], 0x80000000, v[2:3], v[35:36]
	v_fma_f64 v[35:36], v[93:94], v[2:3], v[41:42]
	v_fma_f64 v[41:42], 0x80000000, v[2:3], v[43:44]
	v_fma_f64 v[31:32], 0x80000000, v[2:3], v[31:32]
	v_fma_f64 v[43:44], v[101:102], v[2:3], v[48:49]
	v_fma_f64 v[48:49], 0x80000000, v[2:3], v[65:66]
	v_fma_f64 v[0:1], v[97:98], v[2:3], v[0:1]
	;; [unrolled: 17-line block ×5, first 2 shown]
	s_and_not1_b32 exec_lo, exec_lo, s10
	s_cbranch_execnz .LBB137_23
; %bb.24:
	s_or_b32 exec_lo, exec_lo, s10
.LBB137_25:
	s_delay_alu instid0(SALU_CYCLE_1)
	s_or_b32 exec_lo, exec_lo, s7
.LBB137_26:
	s_delay_alu instid0(SALU_CYCLE_1)
	s_or_b32 exec_lo, exec_lo, s6
	s_cbranch_execz .LBB137_28
	s_branch .LBB137_39
.LBB137_27:
                                        ; implicit-def: $vgpr35_vgpr36
                                        ; implicit-def: $vgpr39_vgpr40
                                        ; implicit-def: $vgpr43_vgpr44
                                        ; implicit-def: $vgpr41_vgpr42
                                        ; implicit-def: $vgpr33_vgpr34
                                        ; implicit-def: $vgpr37_vgpr38
                                        ; implicit-def: $vgpr31_vgpr32
                                        ; implicit-def: $vgpr29_vgpr30
.LBB137_28:
	v_mov_b32_e32 v35, 0
	v_mov_b32_e32 v36, 0
	s_delay_alu instid0(VALU_DEP_2) | instskip(SKIP_1) | instid1(VALU_DEP_3)
	v_mov_b32_e32 v33, v35
	v_mov_b32_e32 v31, v35
	v_dual_mov_b32 v29, v35 :: v_dual_mov_b32 v30, v36
	v_dual_mov_b32 v40, v36 :: v_dual_mov_b32 v39, v35
	;; [unrolled: 1-line block ×4, first 2 shown]
	v_mov_b32_e32 v34, v36
	v_dual_mov_b32 v38, v36 :: v_dual_mov_b32 v37, v35
	v_mov_b32_e32 v32, v36
	s_and_saveexec_b32 s1, s0
	s_cbranch_execz .LBB137_38
; %bb.29:
	v_dual_mov_b32 v29, 0 :: v_dual_add_nc_u32 v0, v52, v50
	v_mov_b32_e32 v30, 0
	v_not_b32_e32 v1, v52
	s_mov_b32 s7, 0
	s_delay_alu instid0(VALU_DEP_3) | instskip(SKIP_2) | instid1(VALU_DEP_2)
	v_subrev_nc_u32_e32 v0, s12, v0
	s_mov_b32 s6, exec_lo
	v_dual_mov_b32 v32, v30 :: v_dual_mov_b32 v31, v29
	v_add_nc_u32_e32 v0, 16, v0
	s_delay_alu instid0(VALU_DEP_1) | instskip(NEXT) | instid1(VALU_DEP_1)
	v_max_i32_e32 v0, v0, v51
	v_add3_u32 v0, v0, s12, v1
	s_delay_alu instid0(VALU_DEP_1) | instskip(NEXT) | instid1(VALU_DEP_1)
	v_sub_nc_u32_e32 v0, v0, v50
	v_lshrrev_b32_e32 v1, 4, v0
	s_delay_alu instid0(VALU_DEP_1) | instskip(SKIP_2) | instid1(VALU_DEP_3)
	v_dual_mov_b32 v38, v30 :: v_dual_add_nc_u32 v1, 1, v1
	v_dual_mov_b32 v37, v29 :: v_dual_mov_b32 v34, v30
	v_mov_b32_e32 v33, v29
	v_dual_mov_b32 v42, v30 :: v_dual_and_b32 v1, 3, v1
	v_dual_mov_b32 v41, v29 :: v_dual_mov_b32 v44, v30
	v_dual_mov_b32 v43, v29 :: v_dual_mov_b32 v40, v30
	;; [unrolled: 1-line block ×3, first 2 shown]
	v_mov_b32_e32 v35, v29
	v_cmpx_ne_u32_e32 0, v1
	s_cbranch_execz .LBB137_33
; %bb.30:
	v_mov_b32_e32 v35, 0
	v_dual_mov_b32 v36, 0 :: v_dual_lshlrev_b32 v1, 7, v1
	s_delay_alu instid0(VALU_DEP_2) | instskip(SKIP_1) | instid1(VALU_DEP_3)
	v_mov_b32_e32 v33, v35
	v_mov_b32_e32 v31, v35
	v_dual_mov_b32 v29, v35 :: v_dual_mov_b32 v30, v36
	v_dual_mov_b32 v40, v36 :: v_dual_mov_b32 v39, v35
	;; [unrolled: 1-line block ×4, first 2 shown]
	v_mov_b32_e32 v34, v36
	v_dual_mov_b32 v38, v36 :: v_dual_mov_b32 v37, v35
	v_mov_b32_e32 v32, v36
.LBB137_31:                             ; =>This Inner Loop Header: Depth=1
	v_ashrrev_i32_e32 v26, 31, v25
	v_add_nc_u32_e32 v1, 0xffffff80, v1
	s_delay_alu instid0(VALU_DEP_2) | instskip(NEXT) | instid1(VALU_DEP_2)
	v_lshlrev_b64 v[2:3], 2, v[25:26]
	v_cmp_eq_u32_e64 s0, 0, v1
	v_add_nc_u32_e32 v25, 16, v25
	s_delay_alu instid0(VALU_DEP_2) | instskip(NEXT) | instid1(VALU_DEP_3)
	s_or_b32 s7, s0, s7
	v_add_co_u32 v2, vcc_lo, s8, v2
	s_delay_alu instid0(VALU_DEP_4)
	v_add_co_ci_u32_e32 v3, vcc_lo, s9, v3, vcc_lo
	global_load_b32 v10, v[2:3], off
	s_clause 0x1
	global_load_b128 v[2:5], v[27:28], off offset:16
	global_load_b128 v[6:9], v[27:28], off
	s_waitcnt vmcnt(2)
	v_subrev_nc_u32_e32 v10, s12, v10
	s_delay_alu instid0(VALU_DEP_1) | instskip(NEXT) | instid1(VALU_DEP_1)
	v_lshlrev_b32_e32 v10, 2, v10
	v_ashrrev_i32_e32 v11, 31, v10
	s_delay_alu instid0(VALU_DEP_1) | instskip(SKIP_1) | instid1(VALU_DEP_1)
	v_lshlrev_b64 v[10:11], 4, v[10:11]
	s_waitcnt lgkmcnt(0)
	v_add_co_u32 v14, vcc_lo, s4, v10
	s_delay_alu instid0(VALU_DEP_2)
	v_add_co_ci_u32_e32 v15, vcc_lo, s5, v11, vcc_lo
	s_clause 0x1
	global_load_b128 v[10:13], v[14:15], off
	global_load_b128 v[45:48], v[14:15], off offset:16
	s_clause 0x3
	global_load_b128 v[52:55], v[27:28], off offset:32
	global_load_b128 v[56:59], v[27:28], off offset:48
	;; [unrolled: 1-line block ×4, first 2 shown]
	s_clause 0x1
	global_load_b128 v[68:71], v[14:15], off offset:32
	global_load_b128 v[72:75], v[14:15], off offset:48
	s_clause 0x1
	global_load_b128 v[76:79], v[27:28], off offset:96
	global_load_b128 v[80:83], v[27:28], off offset:112
	v_add_co_u32 v27, vcc_lo, 0x800, v27
	v_add_co_ci_u32_e32 v28, vcc_lo, 0, v28, vcc_lo
	s_waitcnt vmcnt(9)
	v_fma_f64 v[14:15], v[6:7], v[10:11], v[39:40]
	v_fma_f64 v[35:36], v[10:11], 0, v[35:36]
	;; [unrolled: 1-line block ×16, first 2 shown]
	s_waitcnt vmcnt(7)
	v_fma_f64 v[10:11], v[52:53], v[45:46], v[14:15]
	v_fma_f64 v[6:7], v[45:46], 0, v[6:7]
	;; [unrolled: 1-line block ×4, first 2 shown]
	s_waitcnt vmcnt(6)
	v_fma_f64 v[14:15], v[56:57], v[45:46], v[35:36]
	v_fma_f64 v[2:3], v[45:46], 0, v[2:3]
	;; [unrolled: 1-line block ×12, first 2 shown]
	s_waitcnt vmcnt(3)
	v_fma_f64 v[10:11], v[64:65], v[68:69], v[10:11]
	v_fma_f64 v[6:7], v[68:69], 0, v[6:7]
	;; [unrolled: 1-line block ×16, first 2 shown]
	s_waitcnt vmcnt(1)
	v_fma_f64 v[10:11], v[76:77], v[72:73], v[10:11]
	v_fma_f64 v[6:7], v[72:73], 0, v[6:7]
	;; [unrolled: 1-line block ×4, first 2 shown]
	s_waitcnt vmcnt(0)
	v_fma_f64 v[14:15], v[80:81], v[72:73], v[14:15]
	v_fma_f64 v[2:3], v[72:73], 0, v[2:3]
	;; [unrolled: 1-line block ×12, first 2 shown]
	s_and_not1_b32 exec_lo, exec_lo, s7
	s_cbranch_execnz .LBB137_31
; %bb.32:
	s_or_b32 exec_lo, exec_lo, s7
.LBB137_33:
	s_delay_alu instid0(SALU_CYCLE_1) | instskip(NEXT) | instid1(SALU_CYCLE_1)
	s_or_b32 exec_lo, exec_lo, s6
	s_mov_b32 s6, exec_lo
	v_cmpx_lt_u32_e32 47, v0
	s_cbranch_execz .LBB137_37
; %bb.34:
	s_mov_b32 s7, 0
.LBB137_35:                             ; =>This Inner Loop Header: Depth=1
	v_ashrrev_i32_e32 v26, 31, v25
	s_delay_alu instid0(VALU_DEP_1) | instskip(SKIP_1) | instid1(VALU_DEP_2)
	v_lshlrev_b64 v[0:1], 2, v[25:26]
	v_add_nc_u32_e32 v25, 64, v25
	v_add_co_u32 v8, vcc_lo, s8, v0
	s_delay_alu instid0(VALU_DEP_3)
	v_add_co_ci_u32_e32 v9, vcc_lo, s9, v1, vcc_lo
	global_load_b32 v10, v[8:9], off
	s_clause 0x1
	global_load_b128 v[0:3], v[27:28], off offset:16
	global_load_b128 v[4:7], v[27:28], off
	s_clause 0x2
	global_load_b32 v26, v[8:9], off offset:64
	global_load_b32 v49, v[8:9], off offset:128
	;; [unrolled: 1-line block ×3, first 2 shown]
	s_waitcnt vmcnt(5)
	v_subrev_nc_u32_e32 v8, s12, v10
	s_waitcnt vmcnt(2)
	v_subrev_nc_u32_e32 v26, s12, v26
	s_delay_alu instid0(VALU_DEP_2) | instskip(NEXT) | instid1(VALU_DEP_2)
	v_lshlrev_b32_e32 v8, 2, v8
	v_lshlrev_b32_e32 v88, 2, v26
	s_waitcnt vmcnt(1)
	v_subrev_nc_u32_e32 v26, s12, v49
	s_delay_alu instid0(VALU_DEP_3) | instskip(NEXT) | instid1(VALU_DEP_3)
	v_ashrrev_i32_e32 v9, 31, v8
	v_ashrrev_i32_e32 v89, 31, v88
	s_delay_alu instid0(VALU_DEP_3) | instskip(NEXT) | instid1(VALU_DEP_3)
	v_lshlrev_b32_e32 v100, 2, v26
	v_lshlrev_b64 v[8:9], 4, v[8:9]
	s_waitcnt vmcnt(0)
	v_subrev_nc_u32_e32 v26, s12, v102
	v_lshlrev_b64 v[88:89], 4, v[88:89]
	v_ashrrev_i32_e32 v101, 31, v100
	s_waitcnt lgkmcnt(0)
	v_add_co_u32 v76, vcc_lo, s4, v8
	v_add_co_ci_u32_e32 v77, vcc_lo, s5, v9, vcc_lo
	s_delay_alu instid0(VALU_DEP_4)
	v_add_co_u32 v92, vcc_lo, s4, v88
	v_add_co_ci_u32_e32 v93, vcc_lo, s5, v89, vcc_lo
	global_load_b128 v[8:11], v[76:77], off
	s_clause 0x1
	global_load_b128 v[12:15], v[27:28], off offset:32
	global_load_b128 v[45:48], v[27:28], off offset:48
	global_load_b128 v[52:55], v[76:77], off offset:16
	s_clause 0x1
	global_load_b128 v[56:59], v[27:28], off offset:80
	global_load_b128 v[60:63], v[27:28], off offset:64
	global_load_b128 v[64:67], v[76:77], off offset:32
	;; [unrolled: 4-line block ×3, first 2 shown]
	s_clause 0x1
	global_load_b128 v[80:83], v[27:28], off offset:2064
	global_load_b128 v[84:87], v[27:28], off offset:2048
	v_add_co_u32 v98, vcc_lo, 0x1000, v27
	global_load_b128 v[88:91], v[92:93], off
	v_add_co_ci_u32_e32 v99, vcc_lo, 0, v28, vcc_lo
	s_waitcnt vmcnt(12)
	v_fma_f64 v[35:36], v[8:9], 0, v[35:36]
	v_fma_f64 v[43:44], v[8:9], 0, v[43:44]
	v_fma_f64 v[39:40], v[4:5], v[8:9], v[39:40]
	v_fma_f64 v[41:42], v[6:7], v[8:9], v[41:42]
	v_fma_f64 v[37:38], v[0:1], v[8:9], v[37:38]
	v_fma_f64 v[33:34], v[8:9], 0, v[33:34]
	v_fma_f64 v[29:30], v[2:3], v[8:9], v[29:30]
	v_fma_f64 v[8:9], v[8:9], 0, v[31:32]
	v_fma_f64 v[31:32], v[4:5], v[10:11], v[35:36]
	v_fma_f64 v[35:36], v[6:7], v[10:11], v[43:44]
	v_fma_f64 v[39:40], 0x80000000, v[10:11], v[39:40]
	v_fma_f64 v[41:42], 0x80000000, v[10:11], v[41:42]
	v_fma_f64 v[37:38], 0x80000000, v[10:11], v[37:38]
	v_fma_f64 v[33:34], v[0:1], v[10:11], v[33:34]
	v_fma_f64 v[29:30], 0x80000000, v[10:11], v[29:30]
	v_fma_f64 v[43:44], v[2:3], v[10:11], v[8:9]
	s_clause 0x1
	global_load_b128 v[0:3], v[27:28], off offset:2080
	global_load_b128 v[4:7], v[27:28], off offset:2096
	global_load_b128 v[8:11], v[92:93], off offset:16
	s_waitcnt vmcnt(12)
	v_fma_f64 v[31:32], v[52:53], 0, v[31:32]
	v_fma_f64 v[35:36], v[52:53], 0, v[35:36]
	v_fma_f64 v[39:40], v[12:13], v[52:53], v[39:40]
	v_fma_f64 v[41:42], v[14:15], v[52:53], v[41:42]
	v_fma_f64 v[37:38], v[45:46], v[52:53], v[37:38]
	v_fma_f64 v[33:34], v[52:53], 0, v[33:34]
	v_fma_f64 v[29:30], v[47:48], v[52:53], v[29:30]
	v_fma_f64 v[43:44], v[52:53], 0, v[43:44]
	v_fma_f64 v[52:53], v[12:13], v[54:55], v[31:32]
	v_fma_f64 v[94:95], v[14:15], v[54:55], v[35:36]
	v_fma_f64 v[39:40], 0x80000000, v[54:55], v[39:40]
	v_fma_f64 v[41:42], 0x80000000, v[54:55], v[41:42]
	v_fma_f64 v[37:38], 0x80000000, v[54:55], v[37:38]
	v_fma_f64 v[45:46], v[45:46], v[54:55], v[33:34]
	v_fma_f64 v[96:97], 0x80000000, v[54:55], v[29:30]
	v_fma_f64 v[43:44], v[47:48], v[54:55], v[43:44]
	s_clause 0x1
	global_load_b128 v[12:15], v[27:28], off offset:2128
	global_load_b128 v[29:32], v[27:28], off offset:2112
	global_load_b128 v[33:36], v[92:93], off offset:32
	;; [unrolled: 21-line block ×3, first 2 shown]
	v_add_co_u32 v27, s0, 0x2000, v27
	s_delay_alu instid0(VALU_DEP_1)
	v_add_co_ci_u32_e64 v28, s0, 0, v28, s0
	s_waitcnt vmcnt(12)
	v_fma_f64 v[60:61], v[76:77], 0, v[60:61]
	v_fma_f64 v[66:67], v[76:77], 0, v[52:53]
	;; [unrolled: 1-line block ×8, first 2 shown]
	s_clause 0x1
	global_load_b128 v[52:55], v[98:99], off
	global_load_b128 v[56:59], v[98:99], off offset:16
	v_fma_f64 v[68:69], v[68:69], v[78:79], v[60:61]
	v_fma_f64 v[66:67], v[70:71], v[78:79], v[66:67]
	;; [unrolled: 1-line block ×8, first 2 shown]
	v_lshlrev_b64 v[60:61], 4, v[100:101]
	s_delay_alu instid0(VALU_DEP_1) | instskip(NEXT) | instid1(VALU_DEP_2)
	v_add_co_u32 v76, vcc_lo, s4, v60
	v_add_co_ci_u32_e32 v77, vcc_lo, s5, v61, vcc_lo
	global_load_b128 v[60:63], v[76:77], off
	s_waitcnt vmcnt(12)
	v_fma_f64 v[68:69], v[88:89], 0, v[68:69]
	v_fma_f64 v[66:67], v[88:89], 0, v[66:67]
	v_fma_f64 v[70:71], v[84:85], v[88:89], v[70:71]
	v_fma_f64 v[64:65], v[86:87], v[88:89], v[64:65]
	v_fma_f64 v[78:79], v[80:81], v[88:89], v[92:93]
	v_fma_f64 v[72:73], v[88:89], 0, v[72:73]
	v_fma_f64 v[92:93], v[82:83], v[88:89], v[94:95]
	v_fma_f64 v[74:75], v[88:89], 0, v[74:75]
	v_fma_f64 v[84:85], v[84:85], v[90:91], v[68:69]
	v_fma_f64 v[86:87], v[86:87], v[90:91], v[66:67]
	v_fma_f64 v[88:89], 0x80000000, v[90:91], v[70:71]
	v_fma_f64 v[94:95], 0x80000000, v[90:91], v[64:65]
	v_fma_f64 v[78:79], 0x80000000, v[90:91], v[78:79]
	v_fma_f64 v[80:81], v[80:81], v[90:91], v[72:73]
	v_fma_f64 v[92:93], 0x80000000, v[90:91], v[92:93]
	v_fma_f64 v[82:83], v[82:83], v[90:91], v[74:75]
	s_clause 0x1
	global_load_b128 v[64:67], v[98:99], off offset:32
	global_load_b128 v[68:71], v[98:99], off offset:48
	global_load_b128 v[72:75], v[76:77], off offset:16
	s_waitcnt vmcnt(12)
	v_fma_f64 v[84:85], v[8:9], 0, v[84:85]
	v_fma_f64 v[86:87], v[8:9], 0, v[86:87]
	v_fma_f64 v[88:89], v[0:1], v[8:9], v[88:89]
	v_fma_f64 v[90:91], v[2:3], v[8:9], v[94:95]
	v_fma_f64 v[78:79], v[4:5], v[8:9], v[78:79]
	v_fma_f64 v[80:81], v[8:9], 0, v[80:81]
	v_fma_f64 v[92:93], v[6:7], v[8:9], v[92:93]
	v_fma_f64 v[8:9], v[8:9], 0, v[82:83]
	v_fma_f64 v[82:83], v[0:1], v[10:11], v[84:85]
	v_fma_f64 v[84:85], v[2:3], v[10:11], v[86:87]
	v_fma_f64 v[86:87], 0x80000000, v[10:11], v[88:89]
	v_fma_f64 v[88:89], 0x80000000, v[10:11], v[90:91]
	v_fma_f64 v[78:79], 0x80000000, v[10:11], v[78:79]
	v_fma_f64 v[80:81], v[4:5], v[10:11], v[80:81]
	v_fma_f64 v[90:91], 0x80000000, v[10:11], v[92:93]
	v_fma_f64 v[92:93], v[6:7], v[10:11], v[8:9]
	s_clause 0x1
	global_load_b128 v[0:3], v[98:99], off offset:80
	global_load_b128 v[4:7], v[98:99], off offset:64
	global_load_b128 v[8:11], v[76:77], off offset:32
	;; [unrolled: 21-line block ×3, first 2 shown]
	s_waitcnt vmcnt(12)
	v_fma_f64 v[94:95], v[45:46], 0, v[82:83]
	v_fma_f64 v[84:85], v[45:46], 0, v[84:85]
	v_fma_f64 v[86:87], v[37:38], v[45:46], v[86:87]
	v_fma_f64 v[88:89], v[39:40], v[45:46], v[88:89]
	v_fma_f64 v[96:97], v[41:42], v[45:46], v[78:79]
	v_fma_f64 v[100:101], v[45:46], 0, v[80:81]
	v_fma_f64 v[90:91], v[43:44], v[45:46], v[90:91]
	v_fma_f64 v[45:46], v[45:46], 0, v[92:93]
	v_lshlrev_b32_e32 v92, 2, v26
	s_clause 0x1
	global_load_b128 v[76:79], v[98:99], off offset:2064
	global_load_b128 v[80:83], v[98:99], off offset:2048
	v_ashrrev_i32_e32 v93, 31, v92
	v_fma_f64 v[94:95], v[37:38], v[47:48], v[94:95]
	v_fma_f64 v[84:85], v[39:40], v[47:48], v[84:85]
	;; [unrolled: 1-line block ×8, first 2 shown]
	v_lshlrev_b64 v[37:38], 4, v[92:93]
	s_delay_alu instid0(VALU_DEP_1) | instskip(NEXT) | instid1(VALU_DEP_2)
	v_add_co_u32 v92, vcc_lo, s4, v37
	v_add_co_ci_u32_e32 v93, vcc_lo, s5, v38, vcc_lo
	v_cmp_ge_i32_e32 vcc_lo, v25, v51
	global_load_b128 v[37:40], v[92:93], off
	s_or_b32 s7, vcc_lo, s7
	s_waitcnt vmcnt(12)
	v_fma_f64 v[47:48], v[60:61], 0, v[94:95]
	v_fma_f64 v[84:85], v[60:61], 0, v[84:85]
	v_fma_f64 v[45:46], v[52:53], v[60:61], v[86:87]
	v_fma_f64 v[86:87], v[54:55], v[60:61], v[88:89]
	v_fma_f64 v[88:89], v[56:57], v[60:61], v[96:97]
	v_fma_f64 v[41:42], v[60:61], 0, v[41:42]
	v_fma_f64 v[90:91], v[58:59], v[60:61], v[90:91]
	v_fma_f64 v[43:44], v[60:61], 0, v[43:44]
	v_fma_f64 v[94:95], v[52:53], v[62:63], v[47:48]
	v_fma_f64 v[84:85], v[54:55], v[62:63], v[84:85]
	v_fma_f64 v[60:61], 0x80000000, v[62:63], v[45:46]
	v_fma_f64 v[86:87], 0x80000000, v[62:63], v[86:87]
	v_fma_f64 v[88:89], 0x80000000, v[62:63], v[88:89]
	v_fma_f64 v[56:57], v[56:57], v[62:63], v[41:42]
	v_fma_f64 v[90:91], 0x80000000, v[62:63], v[90:91]
	v_fma_f64 v[58:59], v[58:59], v[62:63], v[43:44]
	s_clause 0x1
	global_load_b128 v[41:44], v[98:99], off offset:2080
	global_load_b128 v[45:48], v[98:99], off offset:2096
	global_load_b128 v[52:55], v[92:93], off offset:16
	s_waitcnt vmcnt(12)
	v_fma_f64 v[62:63], v[72:73], 0, v[94:95]
	v_fma_f64 v[84:85], v[72:73], 0, v[84:85]
	v_fma_f64 v[60:61], v[64:65], v[72:73], v[60:61]
	v_fma_f64 v[86:87], v[66:67], v[72:73], v[86:87]
	v_fma_f64 v[88:89], v[68:69], v[72:73], v[88:89]
	v_fma_f64 v[56:57], v[72:73], 0, v[56:57]
	v_fma_f64 v[90:91], v[70:71], v[72:73], v[90:91]
	v_fma_f64 v[58:59], v[72:73], 0, v[58:59]
	v_fma_f64 v[94:95], v[64:65], v[74:75], v[62:63]
	v_fma_f64 v[84:85], v[66:67], v[74:75], v[84:85]
	v_fma_f64 v[72:73], 0x80000000, v[74:75], v[60:61]
	v_fma_f64 v[86:87], 0x80000000, v[74:75], v[86:87]
	v_fma_f64 v[88:89], 0x80000000, v[74:75], v[88:89]
	v_fma_f64 v[68:69], v[68:69], v[74:75], v[56:57]
	v_fma_f64 v[90:91], 0x80000000, v[74:75], v[90:91]
	v_fma_f64 v[70:71], v[70:71], v[74:75], v[58:59]
	s_clause 0x1
	global_load_b128 v[56:59], v[98:99], off offset:2128
	global_load_b128 v[60:63], v[98:99], off offset:2112
	global_load_b128 v[64:67], v[92:93], off offset:32
	;; [unrolled: 21-line block ×3, first 2 shown]
	s_waitcnt vmcnt(12)
	v_fma_f64 v[84:85], v[33:34], 0, v[84:85]
	v_fma_f64 v[70:71], v[12:13], v[33:34], v[70:71]
	v_fma_f64 v[72:73], v[33:34], 0, v[72:73]
	v_fma_f64 v[74:75], v[14:15], v[33:34], v[74:75]
	v_fma_f64 v[86:87], v[29:30], v[33:34], v[86:87]
	v_fma_f64 v[68:69], v[33:34], 0, v[68:69]
	v_fma_f64 v[88:89], v[31:32], v[33:34], v[88:89]
	v_fma_f64 v[33:34], v[33:34], 0, v[90:91]
	v_fma_f64 v[14:15], v[14:15], v[35:36], v[84:85]
	v_fma_f64 v[70:71], 0x80000000, v[35:36], v[70:71]
	v_fma_f64 v[12:13], v[12:13], v[35:36], v[72:73]
	v_fma_f64 v[72:73], 0x80000000, v[35:36], v[74:75]
	v_fma_f64 v[74:75], 0x80000000, v[35:36], v[86:87]
	v_fma_f64 v[29:30], v[29:30], v[35:36], v[68:69]
	v_fma_f64 v[68:69], 0x80000000, v[35:36], v[88:89]
	v_fma_f64 v[31:32], v[31:32], v[35:36], v[33:34]
	s_waitcnt vmcnt(9)
	v_fma_f64 v[14:15], v[37:38], 0, v[14:15]
	v_fma_f64 v[33:34], v[80:81], v[37:38], v[70:71]
	v_fma_f64 v[12:13], v[37:38], 0, v[12:13]
	v_fma_f64 v[35:36], v[82:83], v[37:38], v[72:73]
	v_fma_f64 v[70:71], v[76:77], v[37:38], v[74:75]
	v_fma_f64 v[29:30], v[37:38], 0, v[29:30]
	v_fma_f64 v[68:69], v[78:79], v[37:38], v[68:69]
	v_fma_f64 v[31:32], v[37:38], 0, v[31:32]
	v_fma_f64 v[14:15], v[82:83], v[39:40], v[14:15]
	v_fma_f64 v[33:34], 0x80000000, v[39:40], v[33:34]
	v_fma_f64 v[12:13], v[80:81], v[39:40], v[12:13]
	v_fma_f64 v[35:36], 0x80000000, v[39:40], v[35:36]
	v_fma_f64 v[37:38], 0x80000000, v[39:40], v[70:71]
	v_fma_f64 v[29:30], v[76:77], v[39:40], v[29:30]
	v_fma_f64 v[68:69], 0x80000000, v[39:40], v[68:69]
	v_fma_f64 v[31:32], v[78:79], v[39:40], v[31:32]
	;; [unrolled: 17-line block ×5, first 2 shown]
	s_and_not1_b32 exec_lo, exec_lo, s7
	s_cbranch_execnz .LBB137_35
; %bb.36:
	s_or_b32 exec_lo, exec_lo, s7
.LBB137_37:
	s_delay_alu instid0(SALU_CYCLE_1)
	s_or_b32 exec_lo, exec_lo, s6
.LBB137_38:
	s_delay_alu instid0(SALU_CYCLE_1)
	s_or_b32 exec_lo, exec_lo, s1
.LBB137_39:
	v_mbcnt_lo_u32_b32 v45, -1, 0
	s_delay_alu instid0(VALU_DEP_1) | instskip(SKIP_1) | instid1(VALU_DEP_2)
	v_xor_b32_e32 v0, 8, v45
	v_xor_b32_e32 v25, 4, v45
	v_cmp_gt_i32_e32 vcc_lo, 32, v0
	v_cndmask_b32_e32 v0, v45, v0, vcc_lo
	s_delay_alu instid0(VALU_DEP_3) | instskip(NEXT) | instid1(VALU_DEP_2)
	v_cmp_gt_i32_e32 vcc_lo, 32, v25
	v_lshlrev_b32_e32 v15, 2, v0
	v_cndmask_b32_e32 v25, v45, v25, vcc_lo
	ds_bpermute_b32 v0, v15, v39
	ds_bpermute_b32 v1, v15, v40
	;; [unrolled: 1-line block ×16, first 2 shown]
	s_waitcnt lgkmcnt(0)
	v_add_f64 v[0:1], v[39:40], v[0:1]
	v_lshlrev_b32_e32 v40, 2, v25
	v_add_f64 v[2:3], v[35:36], v[2:3]
	v_add_f64 v[4:5], v[41:42], v[4:5]
	;; [unrolled: 1-line block ×7, first 2 shown]
	ds_bpermute_b32 v25, v40, v0
	ds_bpermute_b32 v26, v40, v1
	;; [unrolled: 1-line block ×16, first 2 shown]
	s_waitcnt lgkmcnt(14)
	v_add_f64 v[0:1], v[0:1], v[25:26]
	s_waitcnt lgkmcnt(12)
	v_add_f64 v[2:3], v[2:3], v[27:28]
	;; [unrolled: 2-line block ×8, first 2 shown]
	v_xor_b32_e32 v14, 2, v45
	s_delay_alu instid0(VALU_DEP_1) | instskip(SKIP_1) | instid1(VALU_DEP_1)
	v_cmp_gt_i32_e32 vcc_lo, 32, v14
	v_cndmask_b32_e32 v14, v45, v14, vcc_lo
	v_lshlrev_b32_e32 v40, 2, v14
	ds_bpermute_b32 v14, v40, v0
	ds_bpermute_b32 v15, v40, v1
	ds_bpermute_b32 v27, v40, v2
	ds_bpermute_b32 v28, v40, v3
	ds_bpermute_b32 v29, v40, v4
	ds_bpermute_b32 v30, v40, v5
	ds_bpermute_b32 v31, v40, v6
	ds_bpermute_b32 v32, v40, v7
	ds_bpermute_b32 v33, v40, v8
	ds_bpermute_b32 v34, v40, v9
	ds_bpermute_b32 v35, v40, v10
	ds_bpermute_b32 v36, v40, v11
	ds_bpermute_b32 v37, v40, v12
	ds_bpermute_b32 v38, v40, v13
	ds_bpermute_b32 v39, v40, v25
	ds_bpermute_b32 v40, v40, v26
	s_waitcnt lgkmcnt(14)
	v_add_f64 v[0:1], v[0:1], v[14:15]
	s_waitcnt lgkmcnt(12)
	v_add_f64 v[27:28], v[2:3], v[27:28]
	;; [unrolled: 2-line block ×7, first 2 shown]
	v_xor_b32_e32 v12, 1, v45
	s_waitcnt lgkmcnt(0)
	v_add_f64 v[8:9], v[25:26], v[39:40]
	s_delay_alu instid0(VALU_DEP_2) | instskip(SKIP_2) | instid1(VALU_DEP_2)
	v_cmp_gt_i32_e32 vcc_lo, 32, v12
	v_cndmask_b32_e32 v12, v45, v12, vcc_lo
	v_cmp_eq_u32_e32 vcc_lo, 15, v50
	v_lshlrev_b32_e32 v34, 2, v12
	ds_bpermute_b32 v12, v34, v0
	ds_bpermute_b32 v13, v34, v1
	ds_bpermute_b32 v39, v34, v27
	ds_bpermute_b32 v40, v34, v28
	ds_bpermute_b32 v25, v34, v2
	ds_bpermute_b32 v26, v34, v3
	ds_bpermute_b32 v37, v34, v14
	ds_bpermute_b32 v38, v34, v15
	ds_bpermute_b32 v29, v34, v4
	ds_bpermute_b32 v30, v34, v5
	ds_bpermute_b32 v35, v34, v10
	ds_bpermute_b32 v36, v34, v11
	ds_bpermute_b32 v31, v34, v6
	ds_bpermute_b32 v32, v34, v7
	ds_bpermute_b32 v33, v34, v8
	ds_bpermute_b32 v34, v34, v9
	s_and_b32 exec_lo, exec_lo, vcc_lo
	s_cbranch_execz .LBB137_12
; %bb.40:
	s_waitcnt lgkmcnt(12)
	v_add_f64 v[27:28], v[27:28], v[39:40]
	s_waitcnt lgkmcnt(8)
	v_add_f64 v[14:15], v[14:15], v[37:38]
	;; [unrolled: 2-line block ×4, first 2 shown]
	v_add_f64 v[0:1], v[0:1], v[12:13]
	v_add_f64 v[2:3], v[2:3], v[25:26]
	;; [unrolled: 1-line block ×4, first 2 shown]
	v_cmp_eq_f64_e32 vcc_lo, 0, v[16:17]
	v_cmp_eq_f64_e64 s0, 0, v[18:19]
	s_load_b64 s[2:3], s[2:3], 0x60
	v_mul_f64 v[4:5], v[27:28], -v[22:23]
	v_mul_f64 v[6:7], v[20:21], v[27:28]
	v_mul_f64 v[27:28], v[14:15], -v[22:23]
	v_mul_f64 v[31:32], v[20:21], v[14:15]
	;; [unrolled: 2-line block ×4, first 2 shown]
	s_and_b32 s0, vcc_lo, s0
	v_fma_f64 v[12:13], v[20:21], v[0:1], v[4:5]
	v_fma_f64 v[14:15], v[22:23], v[0:1], v[6:7]
	;; [unrolled: 1-line block ×8, first 2 shown]
	v_lshlrev_b32_e32 v20, 2, v24
	s_and_saveexec_b32 s1, s0
	s_delay_alu instid0(SALU_CYCLE_1)
	s_xor_b32 s0, exec_lo, s1
	s_cbranch_execz .LBB137_42
; %bb.41:
	s_delay_alu instid0(VALU_DEP_1) | instskip(NEXT) | instid1(VALU_DEP_1)
	v_ashrrev_i32_e32 v21, 31, v20
                                        ; implicit-def: $vgpr18_vgpr19
	v_lshlrev_b64 v[16:17], 4, v[20:21]
                                        ; implicit-def: $vgpr20
	s_waitcnt lgkmcnt(0)
	s_delay_alu instid0(VALU_DEP_1) | instskip(NEXT) | instid1(VALU_DEP_2)
	v_add_co_u32 v16, vcc_lo, s2, v16
	v_add_co_ci_u32_e32 v17, vcc_lo, s3, v17, vcc_lo
	s_clause 0x3
	global_store_b128 v[16:17], v[12:15], off
	global_store_b128 v[16:17], v[8:11], off offset:16
	global_store_b128 v[16:17], v[4:7], off offset:32
	;; [unrolled: 1-line block ×3, first 2 shown]
                                        ; implicit-def: $vgpr16_vgpr17
                                        ; implicit-def: $vgpr12_vgpr13
                                        ; implicit-def: $vgpr8_vgpr9
                                        ; implicit-def: $vgpr4_vgpr5
                                        ; implicit-def: $vgpr0_vgpr1
.LBB137_42:
	s_and_not1_saveexec_b32 s0, s0
	s_cbranch_execz .LBB137_12
; %bb.43:
	v_ashrrev_i32_e32 v21, 31, v20
	s_delay_alu instid0(VALU_DEP_1) | instskip(SKIP_1) | instid1(VALU_DEP_1)
	v_lshlrev_b64 v[20:21], 4, v[20:21]
	s_waitcnt lgkmcnt(0)
	v_add_co_u32 v36, vcc_lo, s2, v20
	s_delay_alu instid0(VALU_DEP_2)
	v_add_co_ci_u32_e32 v37, vcc_lo, s3, v21, vcc_lo
	s_clause 0x3
	global_load_b128 v[20:23], v[36:37], off
	global_load_b128 v[24:27], v[36:37], off offset:16
	global_load_b128 v[28:31], v[36:37], off offset:32
	;; [unrolled: 1-line block ×3, first 2 shown]
	s_waitcnt vmcnt(3)
	v_fma_f64 v[12:13], v[16:17], v[20:21], v[12:13]
	v_fma_f64 v[14:15], v[18:19], v[20:21], v[14:15]
	s_waitcnt vmcnt(2)
	v_fma_f64 v[8:9], v[16:17], v[24:25], v[8:9]
	v_fma_f64 v[10:11], v[18:19], v[24:25], v[10:11]
	;; [unrolled: 3-line block ×4, first 2 shown]
	v_fma_f64 v[0:1], -v[18:19], v[22:23], v[12:13]
	v_fma_f64 v[2:3], v[16:17], v[22:23], v[14:15]
	v_fma_f64 v[4:5], -v[18:19], v[26:27], v[8:9]
	v_fma_f64 v[6:7], v[16:17], v[26:27], v[10:11]
	;; [unrolled: 2-line block ×4, first 2 shown]
	s_clause 0x3
	global_store_b128 v[36:37], v[0:3], off
	global_store_b128 v[36:37], v[4:7], off offset:16
	global_store_b128 v[36:37], v[8:11], off offset:32
	;; [unrolled: 1-line block ×3, first 2 shown]
	s_nop 0
	s_sendmsg sendmsg(MSG_DEALLOC_VGPRS)
	s_endpgm
	.section	.rodata,"a",@progbits
	.p2align	6, 0x0
	.amdhsa_kernel _ZN9rocsparseL18bsrxmvn_4x4_kernelILj128ELj16E21rocsparse_complex_numIdEiidS2_S2_EEvT3_20rocsparse_direction_NS_24const_host_device_scalarIT1_EES3_PKS3_PKT2_SC_S9_PKT4_PKT5_S7_PT6_21rocsparse_index_base_b
		.amdhsa_group_segment_fixed_size 2048
		.amdhsa_private_segment_fixed_size 0
		.amdhsa_kernarg_size 112
		.amdhsa_user_sgpr_count 15
		.amdhsa_user_sgpr_dispatch_ptr 1
		.amdhsa_user_sgpr_queue_ptr 0
		.amdhsa_user_sgpr_kernarg_segment_ptr 1
		.amdhsa_user_sgpr_dispatch_id 0
		.amdhsa_user_sgpr_private_segment_size 0
		.amdhsa_wavefront_size32 1
		.amdhsa_uses_dynamic_stack 0
		.amdhsa_enable_private_segment 0
		.amdhsa_system_sgpr_workgroup_id_x 1
		.amdhsa_system_sgpr_workgroup_id_y 0
		.amdhsa_system_sgpr_workgroup_id_z 0
		.amdhsa_system_sgpr_workgroup_info 0
		.amdhsa_system_vgpr_workitem_id 2
		.amdhsa_next_free_vgpr 114
		.amdhsa_next_free_sgpr 18
		.amdhsa_reserve_vcc 1
		.amdhsa_float_round_mode_32 0
		.amdhsa_float_round_mode_16_64 0
		.amdhsa_float_denorm_mode_32 3
		.amdhsa_float_denorm_mode_16_64 3
		.amdhsa_dx10_clamp 1
		.amdhsa_ieee_mode 1
		.amdhsa_fp16_overflow 0
		.amdhsa_workgroup_processor_mode 1
		.amdhsa_memory_ordered 1
		.amdhsa_forward_progress 0
		.amdhsa_shared_vgpr_count 0
		.amdhsa_exception_fp_ieee_invalid_op 0
		.amdhsa_exception_fp_denorm_src 0
		.amdhsa_exception_fp_ieee_div_zero 0
		.amdhsa_exception_fp_ieee_overflow 0
		.amdhsa_exception_fp_ieee_underflow 0
		.amdhsa_exception_fp_ieee_inexact 0
		.amdhsa_exception_int_div_zero 0
	.end_amdhsa_kernel
	.section	.text._ZN9rocsparseL18bsrxmvn_4x4_kernelILj128ELj16E21rocsparse_complex_numIdEiidS2_S2_EEvT3_20rocsparse_direction_NS_24const_host_device_scalarIT1_EES3_PKS3_PKT2_SC_S9_PKT4_PKT5_S7_PT6_21rocsparse_index_base_b,"axG",@progbits,_ZN9rocsparseL18bsrxmvn_4x4_kernelILj128ELj16E21rocsparse_complex_numIdEiidS2_S2_EEvT3_20rocsparse_direction_NS_24const_host_device_scalarIT1_EES3_PKS3_PKT2_SC_S9_PKT4_PKT5_S7_PT6_21rocsparse_index_base_b,comdat
.Lfunc_end137:
	.size	_ZN9rocsparseL18bsrxmvn_4x4_kernelILj128ELj16E21rocsparse_complex_numIdEiidS2_S2_EEvT3_20rocsparse_direction_NS_24const_host_device_scalarIT1_EES3_PKS3_PKT2_SC_S9_PKT4_PKT5_S7_PT6_21rocsparse_index_base_b, .Lfunc_end137-_ZN9rocsparseL18bsrxmvn_4x4_kernelILj128ELj16E21rocsparse_complex_numIdEiidS2_S2_EEvT3_20rocsparse_direction_NS_24const_host_device_scalarIT1_EES3_PKS3_PKT2_SC_S9_PKT4_PKT5_S7_PT6_21rocsparse_index_base_b
                                        ; -- End function
	.section	.AMDGPU.csdata,"",@progbits
; Kernel info:
; codeLenInByte = 10828
; NumSgprs: 20
; NumVgprs: 114
; ScratchSize: 0
; MemoryBound: 0
; FloatMode: 240
; IeeeMode: 1
; LDSByteSize: 2048 bytes/workgroup (compile time only)
; SGPRBlocks: 2
; VGPRBlocks: 14
; NumSGPRsForWavesPerEU: 20
; NumVGPRsForWavesPerEU: 114
; Occupancy: 12
; WaveLimiterHint : 1
; COMPUTE_PGM_RSRC2:SCRATCH_EN: 0
; COMPUTE_PGM_RSRC2:USER_SGPR: 15
; COMPUTE_PGM_RSRC2:TRAP_HANDLER: 0
; COMPUTE_PGM_RSRC2:TGID_X_EN: 1
; COMPUTE_PGM_RSRC2:TGID_Y_EN: 0
; COMPUTE_PGM_RSRC2:TGID_Z_EN: 0
; COMPUTE_PGM_RSRC2:TIDIG_COMP_CNT: 2
	.section	.text._ZN9rocsparseL18bsrxmvn_4x4_kernelILj128ELj32E21rocsparse_complex_numIdEiidS2_S2_EEvT3_20rocsparse_direction_NS_24const_host_device_scalarIT1_EES3_PKS3_PKT2_SC_S9_PKT4_PKT5_S7_PT6_21rocsparse_index_base_b,"axG",@progbits,_ZN9rocsparseL18bsrxmvn_4x4_kernelILj128ELj32E21rocsparse_complex_numIdEiidS2_S2_EEvT3_20rocsparse_direction_NS_24const_host_device_scalarIT1_EES3_PKS3_PKT2_SC_S9_PKT4_PKT5_S7_PT6_21rocsparse_index_base_b,comdat
	.globl	_ZN9rocsparseL18bsrxmvn_4x4_kernelILj128ELj32E21rocsparse_complex_numIdEiidS2_S2_EEvT3_20rocsparse_direction_NS_24const_host_device_scalarIT1_EES3_PKS3_PKT2_SC_S9_PKT4_PKT5_S7_PT6_21rocsparse_index_base_b ; -- Begin function _ZN9rocsparseL18bsrxmvn_4x4_kernelILj128ELj32E21rocsparse_complex_numIdEiidS2_S2_EEvT3_20rocsparse_direction_NS_24const_host_device_scalarIT1_EES3_PKS3_PKT2_SC_S9_PKT4_PKT5_S7_PT6_21rocsparse_index_base_b
	.p2align	8
	.type	_ZN9rocsparseL18bsrxmvn_4x4_kernelILj128ELj32E21rocsparse_complex_numIdEiidS2_S2_EEvT3_20rocsparse_direction_NS_24const_host_device_scalarIT1_EES3_PKS3_PKT2_SC_S9_PKT4_PKT5_S7_PT6_21rocsparse_index_base_b,@function
_ZN9rocsparseL18bsrxmvn_4x4_kernelILj128ELj32E21rocsparse_complex_numIdEiidS2_S2_EEvT3_20rocsparse_direction_NS_24const_host_device_scalarIT1_EES3_PKS3_PKT2_SC_S9_PKT4_PKT5_S7_PT6_21rocsparse_index_base_b: ; @_ZN9rocsparseL18bsrxmvn_4x4_kernelILj128ELj32E21rocsparse_complex_numIdEiidS2_S2_EEvT3_20rocsparse_direction_NS_24const_host_device_scalarIT1_EES3_PKS3_PKT2_SC_S9_PKT4_PKT5_S7_PT6_21rocsparse_index_base_b
; %bb.0:
	s_load_b64 s[12:13], s[2:3], 0x68
	s_load_b64 s[16:17], s[0:1], 0x4
	s_load_b128 s[8:11], s[2:3], 0x8
	v_bfe_u32 v2, v0, 10, 10
	s_mov_b64 s[0:1], src_shared_base
	s_load_b128 s[4:7], s[2:3], 0x50
	v_and_b32_e32 v1, 0x3ff, v0
	v_bfe_u32 v0, v0, 20, 10
	s_waitcnt lgkmcnt(0)
	s_bitcmp1_b32 s13, 0
	v_mul_u32_u24_e32 v2, s17, v2
	s_cselect_b32 s0, -1, 0
	v_mov_b32_e32 v23, s11
	s_and_b32 vcc_lo, s0, exec_lo
	s_cselect_b32 s13, s1, s9
	s_lshr_b32 s14, s16, 16
	v_dual_mov_b32 v4, s4 :: v_dual_mov_b32 v5, s5
	s_mul_i32 s14, s14, s17
	v_dual_mov_b32 v7, s13 :: v_dual_mov_b32 v22, s10
	v_mad_u32_u24 v2, s14, v1, v2
	s_xor_b32 s10, s0, -1
	s_delay_alu instid0(VALU_DEP_1) | instskip(SKIP_1) | instid1(VALU_DEP_2)
	v_add_lshl_u32 v0, v2, v0, 3
	v_dual_mov_b32 v2, s8 :: v_dual_mov_b32 v3, s9
	v_add_nc_u32_e32 v6, 0x400, v0
	ds_store_2addr_stride64_b64 v0, v[4:5], v[2:3] offset1:2
	v_cndmask_b32_e64 v6, s8, v6, s0
	flat_load_b64 v[20:21], v[6:7]
	s_cbranch_vccnz .LBB138_2
; %bb.1:
	v_dual_mov_b32 v2, s8 :: v_dual_mov_b32 v3, s9
	flat_load_b64 v[22:23], v[2:3] offset:8
.LBB138_2:
	s_and_b32 s8, s0, exec_lo
	s_cselect_b32 s1, s1, s5
	v_cndmask_b32_e64 v2, s4, v0, s0
	v_mov_b32_e32 v3, s1
	v_dual_mov_b32 v19, s7 :: v_dual_mov_b32 v18, s6
	s_and_not1_b32 vcc_lo, exec_lo, s10
	flat_load_b64 v[16:17], v[2:3]
	s_cbranch_vccnz .LBB138_4
; %bb.3:
	v_dual_mov_b32 v2, s4 :: v_dual_mov_b32 v3, s5
	flat_load_b64 v[18:19], v[2:3] offset:8
.LBB138_4:
	s_waitcnt vmcnt(1) lgkmcnt(1)
	v_cmp_eq_f64_e32 vcc_lo, 0, v[20:21]
	v_cmp_eq_f64_e64 s0, 0, v[22:23]
	s_delay_alu instid0(VALU_DEP_1)
	s_and_b32 s4, vcc_lo, s0
	s_mov_b32 s0, -1
	s_and_saveexec_b32 s1, s4
	s_cbranch_execz .LBB138_6
; %bb.5:
	s_waitcnt vmcnt(0) lgkmcnt(0)
	v_cmp_neq_f64_e32 vcc_lo, 1.0, v[16:17]
	v_cmp_neq_f64_e64 s0, 0, v[18:19]
	s_delay_alu instid0(VALU_DEP_1) | instskip(NEXT) | instid1(SALU_CYCLE_1)
	s_or_b32 s0, vcc_lo, s0
	s_or_not1_b32 s0, s0, exec_lo
.LBB138_6:
	s_or_b32 exec_lo, exec_lo, s1
	s_and_saveexec_b32 s1, s0
	s_cbranch_execz .LBB138_12
; %bb.7:
	s_clause 0x1
	s_load_b64 s[4:5], s[2:3], 0x20
	s_load_b64 s[0:1], s[2:3], 0x0
	v_lshrrev_b32_e32 v0, 5, v1
	s_delay_alu instid0(VALU_DEP_1)
	v_lshl_or_b32 v24, s15, 2, v0
	s_waitcnt lgkmcnt(0)
	s_cmp_lg_u64 s[4:5], 0
	s_cbranch_scc0 .LBB138_13
; %bb.8:
	s_load_b32 s6, s[2:3], 0x18
	s_mov_b32 s7, 0
                                        ; implicit-def: $vgpr0
	s_waitcnt lgkmcnt(0)
	v_cmp_gt_i32_e32 vcc_lo, s6, v24
	s_mov_b32 s6, 0
	s_and_saveexec_b32 s8, vcc_lo
	s_delay_alu instid0(SALU_CYCLE_1)
	s_xor_b32 s8, exec_lo, s8
	s_cbranch_execz .LBB138_10
; %bb.9:
	v_ashrrev_i32_e32 v25, 31, v24
	s_mov_b32 s6, exec_lo
	s_delay_alu instid0(VALU_DEP_1) | instskip(NEXT) | instid1(VALU_DEP_1)
	v_lshlrev_b64 v[2:3], 2, v[24:25]
	v_add_co_u32 v2, vcc_lo, s4, v2
	s_delay_alu instid0(VALU_DEP_2)
	v_add_co_ci_u32_e32 v3, vcc_lo, s5, v3, vcc_lo
	global_load_b32 v0, v[2:3], off
	s_waitcnt vmcnt(0)
	v_subrev_nc_u32_e32 v0, s12, v0
.LBB138_10:
	s_or_b32 exec_lo, exec_lo, s8
	s_delay_alu instid0(SALU_CYCLE_1)
	s_and_b32 vcc_lo, exec_lo, s7
	s_cbranch_vccz .LBB138_14
.LBB138_11:
	v_cmp_gt_i32_e32 vcc_lo, s0, v24
	s_and_not1_b32 s0, s6, exec_lo
	s_and_b32 s4, vcc_lo, exec_lo
	s_delay_alu instid0(SALU_CYCLE_1) | instskip(NEXT) | instid1(SALU_CYCLE_1)
	s_or_b32 s6, s0, s4
	s_and_b32 exec_lo, exec_lo, s6
	s_cbranch_execnz .LBB138_15
.LBB138_12:
	s_nop 0
	s_sendmsg sendmsg(MSG_DEALLOC_VGPRS)
	s_endpgm
.LBB138_13:
	s_mov_b32 s6, 0
                                        ; implicit-def: $vgpr0
	s_cbranch_execnz .LBB138_11
.LBB138_14:
	s_delay_alu instid0(VALU_DEP_1)
	v_mov_b32_e32 v24, v0
	s_and_b32 exec_lo, exec_lo, s6
	s_cbranch_execz .LBB138_12
.LBB138_15:
	s_load_b256 s[4:11], s[2:3], 0x28
	s_delay_alu instid0(VALU_DEP_1) | instskip(SKIP_1) | instid1(VALU_DEP_2)
	v_ashrrev_i32_e32 v25, 31, v24
	v_and_b32_e32 v50, 31, v1
	v_lshlrev_b64 v[2:3], 2, v[24:25]
	s_waitcnt lgkmcnt(0)
	s_delay_alu instid0(VALU_DEP_1) | instskip(NEXT) | instid1(VALU_DEP_2)
	v_add_co_u32 v4, vcc_lo, s4, v2
	v_add_co_ci_u32_e32 v5, vcc_lo, s5, v3, vcc_lo
	v_add_co_u32 v0, vcc_lo, s6, v2
	v_add_co_ci_u32_e32 v2, vcc_lo, s7, v3, vcc_lo
	global_load_b32 v52, v[4:5], off
	v_add_co_u32 v4, vcc_lo, v4, 4
	v_add_co_ci_u32_e32 v3, vcc_lo, 0, v5, vcc_lo
	s_cmp_eq_u64 s[6:7], 0
	s_load_b64 s[4:5], s[2:3], 0x48
	s_cselect_b32 vcc_lo, -1, 0
	s_cmp_eq_u32 s1, 1
	v_dual_cndmask_b32 v3, v2, v3 :: v_dual_cndmask_b32 v2, v0, v4
	global_load_b32 v2, v[2:3], off
	s_waitcnt vmcnt(1)
	v_subrev_nc_u32_e32 v0, s12, v52
	s_delay_alu instid0(VALU_DEP_1) | instskip(NEXT) | instid1(VALU_DEP_1)
	v_add_nc_u32_e32 v25, v0, v50
	v_ashrrev_i32_e32 v26, 31, v25
	s_waitcnt vmcnt(0)
	v_subrev_nc_u32_e32 v51, s12, v2
	s_delay_alu instid0(VALU_DEP_2) | instskip(NEXT) | instid1(VALU_DEP_2)
	v_lshlrev_b64 v[0:1], 7, v[25:26]
	v_cmp_lt_i32_e64 s0, v25, v51
	s_delay_alu instid0(VALU_DEP_2) | instskip(NEXT) | instid1(VALU_DEP_3)
	v_add_co_u32 v27, vcc_lo, s10, v0
	v_add_co_ci_u32_e32 v28, vcc_lo, s11, v1, vcc_lo
	s_cbranch_scc1 .LBB138_27
; %bb.16:
	v_mov_b32_e32 v35, 0
	v_mov_b32_e32 v36, 0
	s_delay_alu instid0(VALU_DEP_2) | instskip(SKIP_1) | instid1(VALU_DEP_3)
	v_mov_b32_e32 v33, v35
	v_mov_b32_e32 v31, v35
	v_dual_mov_b32 v29, v35 :: v_dual_mov_b32 v30, v36
	v_dual_mov_b32 v40, v36 :: v_dual_mov_b32 v39, v35
	;; [unrolled: 1-line block ×4, first 2 shown]
	v_mov_b32_e32 v34, v36
	v_dual_mov_b32 v38, v36 :: v_dual_mov_b32 v37, v35
	v_mov_b32_e32 v32, v36
	s_and_saveexec_b32 s6, s0
	s_cbranch_execz .LBB138_26
; %bb.17:
	v_dual_mov_b32 v29, 0 :: v_dual_add_nc_u32 v0, v52, v50
	v_mov_b32_e32 v46, v28
	v_not_b32_e32 v1, v52
	v_mov_b32_e32 v47, v25
	s_delay_alu instid0(VALU_DEP_4) | instskip(SKIP_2) | instid1(VALU_DEP_1)
	v_subrev_nc_u32_e32 v0, s12, v0
	s_mov_b32 s10, 0
	s_mov_b32 s7, exec_lo
	v_dual_mov_b32 v45, v27 :: v_dual_add_nc_u32 v0, 32, v0
	s_delay_alu instid0(VALU_DEP_1) | instskip(NEXT) | instid1(VALU_DEP_1)
	v_max_i32_e32 v0, v0, v51
	v_add3_u32 v0, v0, s12, v1
	s_delay_alu instid0(VALU_DEP_1) | instskip(NEXT) | instid1(VALU_DEP_1)
	v_sub_nc_u32_e32 v0, v0, v50
	v_lshrrev_b32_e32 v1, 5, v0
	s_delay_alu instid0(VALU_DEP_1) | instskip(NEXT) | instid1(VALU_DEP_1)
	v_dual_mov_b32 v30, 0 :: v_dual_add_nc_u32 v1, 1, v1
	v_mov_b32_e32 v32, v30
	v_mov_b32_e32 v38, v30
	v_dual_mov_b32 v34, v30 :: v_dual_mov_b32 v31, v29
	s_delay_alu instid0(VALU_DEP_4)
	v_and_b32_e32 v1, 3, v1
	v_mov_b32_e32 v37, v29
	v_dual_mov_b32 v33, v29 :: v_dual_mov_b32 v42, v30
	v_dual_mov_b32 v41, v29 :: v_dual_mov_b32 v44, v30
	;; [unrolled: 1-line block ×4, first 2 shown]
	v_mov_b32_e32 v35, v29
	v_cmpx_ne_u32_e32 0, v1
	s_cbranch_execz .LBB138_21
; %bb.18:
	v_dual_mov_b32 v35, 0 :: v_dual_mov_b32 v46, v28
	v_dual_mov_b32 v36, 0 :: v_dual_lshlrev_b32 v1, 7, v1
	v_mov_b32_e32 v47, v25
	v_mov_b32_e32 v45, v27
	s_delay_alu instid0(VALU_DEP_3)
	v_dual_mov_b32 v33, v35 :: v_dual_mov_b32 v40, v36
	v_dual_mov_b32 v39, v35 :: v_dual_mov_b32 v42, v36
	;; [unrolled: 1-line block ×4, first 2 shown]
	v_mov_b32_e32 v29, v35
	v_dual_mov_b32 v43, v35 :: v_dual_mov_b32 v34, v36
	v_dual_mov_b32 v37, v35 :: v_dual_mov_b32 v30, v36
	v_mov_b32_e32 v32, v36
.LBB138_19:                             ; =>This Inner Loop Header: Depth=1
	v_ashrrev_i32_e32 v48, 31, v47
	v_add_nc_u32_e32 v1, 0xffffff80, v1
	s_delay_alu instid0(VALU_DEP_2) | instskip(NEXT) | instid1(VALU_DEP_2)
	v_lshlrev_b64 v[2:3], 2, v[47:48]
	v_cmp_eq_u32_e64 s1, 0, v1
	v_add_nc_u32_e32 v47, 32, v47
	s_delay_alu instid0(VALU_DEP_2) | instskip(NEXT) | instid1(VALU_DEP_3)
	s_or_b32 s10, s1, s10
	v_add_co_u32 v2, vcc_lo, s8, v2
	s_delay_alu instid0(VALU_DEP_4)
	v_add_co_ci_u32_e32 v3, vcc_lo, s9, v3, vcc_lo
	global_load_b32 v14, v[2:3], off
	s_clause 0x7
	global_load_b128 v[2:5], v[45:46], off offset:48
	global_load_b128 v[6:9], v[45:46], off offset:32
	;; [unrolled: 1-line block ×3, first 2 shown]
	global_load_b128 v[53:56], v[45:46], off
	global_load_b128 v[57:60], v[45:46], off offset:112
	global_load_b128 v[61:64], v[45:46], off offset:96
	;; [unrolled: 1-line block ×4, first 2 shown]
	s_waitcnt vmcnt(8)
	v_subrev_nc_u32_e32 v14, s12, v14
	s_delay_alu instid0(VALU_DEP_1) | instskip(NEXT) | instid1(VALU_DEP_1)
	v_lshlrev_b32_e32 v14, 2, v14
	v_ashrrev_i32_e32 v15, 31, v14
	s_delay_alu instid0(VALU_DEP_1) | instskip(SKIP_1) | instid1(VALU_DEP_1)
	v_lshlrev_b64 v[14:15], 4, v[14:15]
	s_waitcnt lgkmcnt(0)
	v_add_co_u32 v14, vcc_lo, s4, v14
	s_delay_alu instid0(VALU_DEP_2)
	v_add_co_ci_u32_e32 v15, vcc_lo, s5, v15, vcc_lo
	v_add_co_u32 v45, vcc_lo, 0x1000, v45
	s_clause 0x3
	global_load_b128 v[73:76], v[14:15], off
	global_load_b128 v[77:80], v[14:15], off offset:16
	global_load_b128 v[81:84], v[14:15], off offset:32
	;; [unrolled: 1-line block ×3, first 2 shown]
	v_add_co_ci_u32_e32 v46, vcc_lo, 0, v46, vcc_lo
	s_waitcnt vmcnt(3)
	v_fma_f64 v[14:15], v[53:54], v[73:74], v[39:40]
	v_fma_f64 v[35:36], v[73:74], 0, v[35:36]
	v_fma_f64 v[39:40], v[6:7], v[73:74], v[41:42]
	v_fma_f64 v[41:42], v[73:74], 0, v[43:44]
	v_fma_f64 v[37:38], v[69:70], v[73:74], v[37:38]
	v_fma_f64 v[33:34], v[73:74], 0, v[33:34]
	v_fma_f64 v[29:30], v[61:62], v[73:74], v[29:30]
	v_fma_f64 v[31:32], v[73:74], 0, v[31:32]
	v_fma_f64 v[14:15], 0x80000000, v[75:76], v[14:15]
	v_fma_f64 v[35:36], v[53:54], v[75:76], v[35:36]
	v_fma_f64 v[39:40], 0x80000000, v[75:76], v[39:40]
	v_fma_f64 v[6:7], v[6:7], v[75:76], v[41:42]
	v_fma_f64 v[37:38], 0x80000000, v[75:76], v[37:38]
	v_fma_f64 v[33:34], v[69:70], v[75:76], v[33:34]
	v_fma_f64 v[29:30], 0x80000000, v[75:76], v[29:30]
	v_fma_f64 v[31:32], v[61:62], v[75:76], v[31:32]
	s_waitcnt vmcnt(2)
	v_fma_f64 v[14:15], v[55:56], v[77:78], v[14:15]
	v_fma_f64 v[35:36], v[77:78], 0, v[35:36]
	v_fma_f64 v[39:40], v[8:9], v[77:78], v[39:40]
	v_fma_f64 v[6:7], v[77:78], 0, v[6:7]
	v_fma_f64 v[37:38], v[71:72], v[77:78], v[37:38]
	v_fma_f64 v[33:34], v[77:78], 0, v[33:34]
	v_fma_f64 v[29:30], v[63:64], v[77:78], v[29:30]
	v_fma_f64 v[31:32], v[77:78], 0, v[31:32]
	v_fma_f64 v[14:15], 0x80000000, v[79:80], v[14:15]
	v_fma_f64 v[35:36], v[55:56], v[79:80], v[35:36]
	v_fma_f64 v[39:40], 0x80000000, v[79:80], v[39:40]
	v_fma_f64 v[6:7], v[8:9], v[79:80], v[6:7]
	v_fma_f64 v[8:9], 0x80000000, v[79:80], v[37:38]
	v_fma_f64 v[33:34], v[71:72], v[79:80], v[33:34]
	v_fma_f64 v[29:30], 0x80000000, v[79:80], v[29:30]
	v_fma_f64 v[31:32], v[63:64], v[79:80], v[31:32]
	;; [unrolled: 17-line block ×4, first 2 shown]
	s_and_not1_b32 exec_lo, exec_lo, s10
	s_cbranch_execnz .LBB138_19
; %bb.20:
	s_or_b32 exec_lo, exec_lo, s10
.LBB138_21:
	s_delay_alu instid0(SALU_CYCLE_1) | instskip(NEXT) | instid1(SALU_CYCLE_1)
	s_or_b32 exec_lo, exec_lo, s7
	s_mov_b32 s7, exec_lo
	v_cmpx_lt_u32_e32 0x5f, v0
	s_cbranch_execz .LBB138_25
; %bb.22:
	s_mov_b32 s10, 0
.LBB138_23:                             ; =>This Inner Loop Header: Depth=1
	v_ashrrev_i32_e32 v48, 31, v47
	s_delay_alu instid0(VALU_DEP_1) | instskip(SKIP_1) | instid1(VALU_DEP_2)
	v_lshlrev_b64 v[0:1], 2, v[47:48]
	v_add_nc_u32_e32 v47, 0x80, v47
	v_add_co_u32 v48, vcc_lo, s8, v0
	s_delay_alu instid0(VALU_DEP_3)
	v_add_co_ci_u32_e32 v49, vcc_lo, s9, v1, vcc_lo
	global_load_b32 v26, v[48:49], off
	s_clause 0x3
	global_load_b128 v[0:3], v[45:46], off offset:32
	global_load_b128 v[12:15], v[45:46], off
	global_load_b128 v[4:7], v[45:46], off offset:96
	global_load_b128 v[8:11], v[45:46], off offset:64
	s_clause 0x2
	global_load_b32 v101, v[48:49], off offset:128
	global_load_b32 v113, v[48:49], off offset:256
	;; [unrolled: 1-line block ×3, first 2 shown]
	s_waitcnt vmcnt(7)
	v_subrev_nc_u32_e32 v26, s12, v26
	s_delay_alu instid0(VALU_DEP_1) | instskip(SKIP_2) | instid1(VALU_DEP_2)
	v_lshlrev_b32_e32 v48, 2, v26
	s_waitcnt vmcnt(2)
	v_subrev_nc_u32_e32 v26, s12, v101
	v_ashrrev_i32_e32 v49, 31, v48
	s_delay_alu instid0(VALU_DEP_2) | instskip(SKIP_2) | instid1(VALU_DEP_3)
	v_lshlrev_b32_e32 v101, 2, v26
	s_waitcnt vmcnt(1)
	v_subrev_nc_u32_e32 v26, s12, v113
	v_lshlrev_b64 v[48:49], 4, v[48:49]
	s_delay_alu instid0(VALU_DEP_3) | instskip(NEXT) | instid1(VALU_DEP_1)
	v_ashrrev_i32_e32 v102, 31, v101
	v_lshlrev_b64 v[101:102], 4, v[101:102]
	s_waitcnt lgkmcnt(0)
	s_delay_alu instid0(VALU_DEP_3) | instskip(NEXT) | instid1(VALU_DEP_4)
	v_add_co_u32 v48, vcc_lo, s4, v48
	v_add_co_ci_u32_e32 v49, vcc_lo, s5, v49, vcc_lo
	s_clause 0x1
	global_load_b128 v[53:56], v[48:49], off
	global_load_b128 v[57:60], v[48:49], off offset:16
	s_clause 0x3
	global_load_b128 v[61:64], v[45:46], off offset:48
	global_load_b128 v[65:68], v[45:46], off offset:16
	;; [unrolled: 1-line block ×4, first 2 shown]
	s_clause 0x1
	global_load_b128 v[77:80], v[48:49], off offset:32
	global_load_b128 v[81:84], v[48:49], off offset:48
	v_add_co_u32 v48, vcc_lo, v45, 0x2000
	v_add_co_ci_u32_e32 v49, vcc_lo, 0, v46, vcc_lo
	v_add_co_u32 v105, vcc_lo, 0x1000, v45
	v_add_co_ci_u32_e32 v106, vcc_lo, 0, v46, vcc_lo
	;; [unrolled: 2-line block ×3, first 2 shown]
	s_clause 0x3
	global_load_b128 v[85:88], v[48:49], off offset:-4096
	global_load_b128 v[89:92], v[105:106], off offset:32
	global_load_b128 v[93:96], v[105:106], off offset:96
	;; [unrolled: 1-line block ×3, first 2 shown]
	v_add_co_u32 v111, vcc_lo, 0x2000, v45
	global_load_b128 v[101:104], v[107:108], off
	v_add_co_ci_u32_e32 v112, vcc_lo, 0, v46, vcc_lo
	s_waitcnt vmcnt(12)
	v_fma_f64 v[35:36], v[53:54], 0, v[35:36]
	v_fma_f64 v[43:44], v[53:54], 0, v[43:44]
	;; [unrolled: 1-line block ×16, first 2 shown]
	global_load_b128 v[29:32], v[107:108], off offset:16
	s_waitcnt vmcnt(12)
	v_fma_f64 v[12:13], v[57:58], 0, v[12:13]
	v_fma_f64 v[0:1], v[57:58], 0, v[0:1]
	;; [unrolled: 1-line block ×16, first 2 shown]
	s_clause 0x3
	global_load_b128 v[0:3], v[105:106], off offset:48
	global_load_b128 v[4:7], v[105:106], off offset:16
	;; [unrolled: 1-line block ×5, first 2 shown]
	s_waitcnt vmcnt(12)
	v_fma_f64 v[41:42], v[77:78], 0, v[41:42]
	v_fma_f64 v[43:44], v[77:78], 0, v[43:44]
	;; [unrolled: 1-line block ×16, first 2 shown]
	global_load_b128 v[37:40], v[107:108], off offset:48
	s_waitcnt vmcnt(12)
	v_fma_f64 v[69:70], v[81:82], 0, v[41:42]
	v_fma_f64 v[73:74], v[81:82], 0, v[43:44]
	;; [unrolled: 1-line block ×8, first 2 shown]
	s_clause 0x3
	global_load_b128 v[41:44], v[48:49], off
	global_load_b128 v[53:56], v[111:112], off offset:32
	global_load_b128 v[57:60], v[111:112], off offset:96
	;; [unrolled: 1-line block ×3, first 2 shown]
	v_lshlrev_b32_e32 v48, 2, v26
	v_subrev_nc_u32_e32 v26, s12, v114
	s_delay_alu instid0(VALU_DEP_2) | instskip(NEXT) | instid1(VALU_DEP_1)
	v_ashrrev_i32_e32 v49, 31, v48
	v_lshlrev_b64 v[48:49], 4, v[48:49]
	s_delay_alu instid0(VALU_DEP_1) | instskip(NEXT) | instid1(VALU_DEP_2)
	v_add_co_u32 v48, vcc_lo, s4, v48
	v_add_co_ci_u32_e32 v49, vcc_lo, s5, v49, vcc_lo
	v_fma_f64 v[67:68], v[67:68], v[83:84], v[69:70]
	v_fma_f64 v[69:70], v[63:64], v[83:84], v[73:74]
	;; [unrolled: 1-line block ×8, first 2 shown]
	global_load_b128 v[61:64], v[48:49], off
	s_waitcnt vmcnt(12)
	v_fma_f64 v[67:68], v[101:102], 0, v[67:68]
	v_fma_f64 v[69:70], v[101:102], 0, v[69:70]
	;; [unrolled: 1-line block ×13, first 2 shown]
	global_load_b128 v[65:68], v[48:49], off offset:16
	v_fma_f64 v[75:76], v[97:98], v[103:104], v[75:76]
	v_fma_f64 v[83:84], 0x80000000, v[103:104], v[83:84]
	v_fma_f64 v[71:72], v[93:94], v[103:104], v[71:72]
	s_waitcnt vmcnt(12)
	v_fma_f64 v[85:86], v[29:30], 0, v[85:86]
	v_fma_f64 v[69:70], v[29:30], 0, v[69:70]
	;; [unrolled: 1-line block ×16, first 2 shown]
	s_clause 0x3
	global_load_b128 v[29:32], v[111:112], off offset:48
	global_load_b128 v[69:72], v[111:112], off offset:16
	;; [unrolled: 1-line block ×5, first 2 shown]
	v_lshlrev_b32_e32 v111, 2, v26
	s_delay_alu instid0(VALU_DEP_1)
	v_ashrrev_i32_e32 v112, 31, v111
	s_waitcnt vmcnt(12)
	v_fma_f64 v[93:94], v[33:34], 0, v[93:94]
	v_fma_f64 v[91:92], v[33:34], 0, v[91:92]
	;; [unrolled: 1-line block ×16, first 2 shown]
	global_load_b128 v[33:36], v[48:49], off offset:48
	s_waitcnt vmcnt(12)
	v_fma_f64 v[4:5], v[37:38], 0, v[4:5]
	v_fma_f64 v[0:1], v[37:38], 0, v[0:1]
	;; [unrolled: 1-line block ×8, first 2 shown]
	v_add_co_u32 v37, vcc_lo, 0x3000, v45
	v_add_co_ci_u32_e32 v38, vcc_lo, 0, v46, vcc_lo
	s_clause 0x3
	global_load_b128 v[89:92], v[37:38], off
	global_load_b128 v[93:96], v[37:38], off offset:32
	global_load_b128 v[97:100], v[37:38], off offset:96
	;; [unrolled: 1-line block ×3, first 2 shown]
	v_add_co_u32 v45, s1, 0x4000, v45
	s_delay_alu instid0(VALU_DEP_1)
	v_add_co_ci_u32_e64 v46, s1, 0, v46, s1
	v_fma_f64 v[4:5], v[6:7], v[39:40], v[4:5]
	v_fma_f64 v[6:7], v[2:3], v[39:40], v[0:1]
	;; [unrolled: 1-line block ×5, first 2 shown]
	v_lshlrev_b64 v[0:1], 4, v[111:112]
	v_fma_f64 v[12:13], v[14:15], v[39:40], v[12:13]
	v_fma_f64 v[14:15], 0x80000000, v[39:40], v[109:110]
	;; [unrolled: 1-line block ×3, first 2 shown]
	s_delay_alu instid0(VALU_DEP_4)
	v_add_co_u32 v109, vcc_lo, s4, v0
	v_add_co_ci_u32_e32 v110, vcc_lo, s5, v1, vcc_lo
	v_cmp_ge_i32_e32 vcc_lo, v47, v51
	global_load_b128 v[0:3], v[109:110], off
	s_or_b32 s10, vcc_lo, s10
	s_waitcnt vmcnt(12)
	v_fma_f64 v[4:5], v[61:62], 0, v[4:5]
	v_fma_f64 v[6:7], v[61:62], 0, v[6:7]
	;; [unrolled: 1-line block ×10, first 2 shown]
	global_load_b128 v[4:7], v[109:110], off offset:16
	v_fma_f64 v[10:11], 0x80000000, v[63:64], v[10:11]
	v_fma_f64 v[39:40], 0x80000000, v[63:64], v[39:40]
	;; [unrolled: 1-line block ×6, first 2 shown]
	s_waitcnt vmcnt(12)
	v_fma_f64 v[41:42], v[65:66], 0, v[41:42]
	v_fma_f64 v[53:54], v[65:66], 0, v[53:54]
	;; [unrolled: 1-line block ×16, first 2 shown]
	s_clause 0x3
	global_load_b128 v[8:11], v[37:38], off offset:48
	global_load_b128 v[12:15], v[37:38], off offset:112
	;; [unrolled: 1-line block ×5, first 2 shown]
	s_waitcnt vmcnt(12)
	v_fma_f64 v[43:44], v[85:86], 0, v[43:44]
	v_fma_f64 v[37:38], v[69:70], v[85:86], v[61:62]
	;; [unrolled: 1-line block ×16, first 2 shown]
	global_load_b128 v[61:64], v[109:110], off offset:48
	s_waitcnt vmcnt(12)
	v_fma_f64 v[43:44], v[33:34], 0, v[43:44]
	v_fma_f64 v[37:38], v[71:72], v[33:34], v[37:38]
	v_fma_f64 v[69:70], v[31:32], v[33:34], v[69:70]
	v_fma_f64 v[29:30], v[33:34], 0, v[29:30]
	v_fma_f64 v[48:49], v[83:84], v[33:34], v[48:49]
	v_fma_f64 v[65:66], v[33:34], 0, v[65:66]
	v_fma_f64 v[73:74], v[75:76], v[33:34], v[77:78]
	v_fma_f64 v[33:34], v[33:34], 0, v[67:68]
	v_fma_f64 v[43:44], v[71:72], v[35:36], v[43:44]
	v_fma_f64 v[37:38], 0x80000000, v[35:36], v[37:38]
	v_fma_f64 v[67:68], 0x80000000, v[35:36], v[69:70]
	v_fma_f64 v[29:30], v[31:32], v[35:36], v[29:30]
	v_fma_f64 v[31:32], 0x80000000, v[35:36], v[48:49]
	v_fma_f64 v[48:49], v[83:84], v[35:36], v[65:66]
	v_fma_f64 v[65:66], 0x80000000, v[35:36], v[73:74]
	v_fma_f64 v[33:34], v[75:76], v[35:36], v[33:34]
	s_waitcnt vmcnt(7)
	v_fma_f64 v[35:36], v[89:90], v[0:1], v[37:38]
	v_fma_f64 v[37:38], v[0:1], 0, v[43:44]
	v_fma_f64 v[43:44], v[93:94], v[0:1], v[67:68]
	v_fma_f64 v[29:30], v[0:1], 0, v[29:30]
	v_fma_f64 v[31:32], v[101:102], v[0:1], v[31:32]
	v_fma_f64 v[48:49], v[0:1], 0, v[48:49]
	v_fma_f64 v[65:66], v[97:98], v[0:1], v[65:66]
	v_fma_f64 v[0:1], v[0:1], 0, v[33:34]
	v_fma_f64 v[33:34], 0x80000000, v[2:3], v[35:36]
	v_fma_f64 v[35:36], v[89:90], v[2:3], v[37:38]
	v_fma_f64 v[37:38], 0x80000000, v[2:3], v[43:44]
	v_fma_f64 v[29:30], v[93:94], v[2:3], v[29:30]
	v_fma_f64 v[31:32], 0x80000000, v[2:3], v[31:32]
	v_fma_f64 v[43:44], v[101:102], v[2:3], v[48:49]
	v_fma_f64 v[48:49], 0x80000000, v[2:3], v[65:66]
	v_fma_f64 v[0:1], v[97:98], v[2:3], v[0:1]
	;; [unrolled: 17-line block ×5, first 2 shown]
	s_and_not1_b32 exec_lo, exec_lo, s10
	s_cbranch_execnz .LBB138_23
; %bb.24:
	s_or_b32 exec_lo, exec_lo, s10
.LBB138_25:
	s_delay_alu instid0(SALU_CYCLE_1)
	s_or_b32 exec_lo, exec_lo, s7
.LBB138_26:
	s_delay_alu instid0(SALU_CYCLE_1)
	s_or_b32 exec_lo, exec_lo, s6
	s_cbranch_execz .LBB138_28
	s_branch .LBB138_39
.LBB138_27:
                                        ; implicit-def: $vgpr35_vgpr36
                                        ; implicit-def: $vgpr39_vgpr40
                                        ; implicit-def: $vgpr43_vgpr44
                                        ; implicit-def: $vgpr41_vgpr42
                                        ; implicit-def: $vgpr33_vgpr34
                                        ; implicit-def: $vgpr37_vgpr38
                                        ; implicit-def: $vgpr31_vgpr32
                                        ; implicit-def: $vgpr29_vgpr30
.LBB138_28:
	v_mov_b32_e32 v35, 0
	v_mov_b32_e32 v36, 0
	s_delay_alu instid0(VALU_DEP_2) | instskip(SKIP_1) | instid1(VALU_DEP_3)
	v_mov_b32_e32 v33, v35
	v_mov_b32_e32 v31, v35
	v_dual_mov_b32 v29, v35 :: v_dual_mov_b32 v30, v36
	v_dual_mov_b32 v40, v36 :: v_dual_mov_b32 v39, v35
	;; [unrolled: 1-line block ×4, first 2 shown]
	v_mov_b32_e32 v34, v36
	v_dual_mov_b32 v38, v36 :: v_dual_mov_b32 v37, v35
	v_mov_b32_e32 v32, v36
	s_and_saveexec_b32 s1, s0
	s_cbranch_execz .LBB138_38
; %bb.29:
	v_dual_mov_b32 v29, 0 :: v_dual_add_nc_u32 v0, v52, v50
	v_mov_b32_e32 v30, 0
	v_not_b32_e32 v1, v52
	s_mov_b32 s7, 0
	s_delay_alu instid0(VALU_DEP_3) | instskip(SKIP_2) | instid1(VALU_DEP_2)
	v_subrev_nc_u32_e32 v0, s12, v0
	s_mov_b32 s6, exec_lo
	v_dual_mov_b32 v32, v30 :: v_dual_mov_b32 v31, v29
	v_add_nc_u32_e32 v0, 32, v0
	s_delay_alu instid0(VALU_DEP_1) | instskip(NEXT) | instid1(VALU_DEP_1)
	v_max_i32_e32 v0, v0, v51
	v_add3_u32 v0, v0, s12, v1
	s_delay_alu instid0(VALU_DEP_1) | instskip(NEXT) | instid1(VALU_DEP_1)
	v_sub_nc_u32_e32 v0, v0, v50
	v_lshrrev_b32_e32 v1, 5, v0
	s_delay_alu instid0(VALU_DEP_1) | instskip(SKIP_2) | instid1(VALU_DEP_3)
	v_dual_mov_b32 v38, v30 :: v_dual_add_nc_u32 v1, 1, v1
	v_dual_mov_b32 v37, v29 :: v_dual_mov_b32 v34, v30
	v_mov_b32_e32 v33, v29
	v_dual_mov_b32 v42, v30 :: v_dual_and_b32 v1, 3, v1
	v_dual_mov_b32 v41, v29 :: v_dual_mov_b32 v44, v30
	v_dual_mov_b32 v43, v29 :: v_dual_mov_b32 v40, v30
	;; [unrolled: 1-line block ×3, first 2 shown]
	v_mov_b32_e32 v35, v29
	v_cmpx_ne_u32_e32 0, v1
	s_cbranch_execz .LBB138_33
; %bb.30:
	v_mov_b32_e32 v35, 0
	v_dual_mov_b32 v36, 0 :: v_dual_lshlrev_b32 v1, 7, v1
	s_delay_alu instid0(VALU_DEP_2) | instskip(SKIP_1) | instid1(VALU_DEP_3)
	v_mov_b32_e32 v33, v35
	v_mov_b32_e32 v31, v35
	v_dual_mov_b32 v29, v35 :: v_dual_mov_b32 v30, v36
	v_dual_mov_b32 v40, v36 :: v_dual_mov_b32 v39, v35
	;; [unrolled: 1-line block ×4, first 2 shown]
	v_mov_b32_e32 v34, v36
	v_dual_mov_b32 v38, v36 :: v_dual_mov_b32 v37, v35
	v_mov_b32_e32 v32, v36
.LBB138_31:                             ; =>This Inner Loop Header: Depth=1
	v_ashrrev_i32_e32 v26, 31, v25
	v_add_nc_u32_e32 v1, 0xffffff80, v1
	s_delay_alu instid0(VALU_DEP_2) | instskip(NEXT) | instid1(VALU_DEP_2)
	v_lshlrev_b64 v[2:3], 2, v[25:26]
	v_cmp_eq_u32_e64 s0, 0, v1
	v_add_nc_u32_e32 v25, 32, v25
	s_delay_alu instid0(VALU_DEP_2) | instskip(NEXT) | instid1(VALU_DEP_3)
	s_or_b32 s7, s0, s7
	v_add_co_u32 v2, vcc_lo, s8, v2
	s_delay_alu instid0(VALU_DEP_4)
	v_add_co_ci_u32_e32 v3, vcc_lo, s9, v3, vcc_lo
	global_load_b32 v10, v[2:3], off
	s_clause 0x1
	global_load_b128 v[2:5], v[27:28], off offset:16
	global_load_b128 v[6:9], v[27:28], off
	s_waitcnt vmcnt(2)
	v_subrev_nc_u32_e32 v10, s12, v10
	s_delay_alu instid0(VALU_DEP_1) | instskip(NEXT) | instid1(VALU_DEP_1)
	v_lshlrev_b32_e32 v10, 2, v10
	v_ashrrev_i32_e32 v11, 31, v10
	s_delay_alu instid0(VALU_DEP_1) | instskip(SKIP_1) | instid1(VALU_DEP_1)
	v_lshlrev_b64 v[10:11], 4, v[10:11]
	s_waitcnt lgkmcnt(0)
	v_add_co_u32 v14, vcc_lo, s4, v10
	s_delay_alu instid0(VALU_DEP_2)
	v_add_co_ci_u32_e32 v15, vcc_lo, s5, v11, vcc_lo
	s_clause 0x1
	global_load_b128 v[10:13], v[14:15], off
	global_load_b128 v[45:48], v[14:15], off offset:16
	s_clause 0x3
	global_load_b128 v[52:55], v[27:28], off offset:32
	global_load_b128 v[56:59], v[27:28], off offset:48
	;; [unrolled: 1-line block ×4, first 2 shown]
	s_clause 0x1
	global_load_b128 v[68:71], v[14:15], off offset:32
	global_load_b128 v[72:75], v[14:15], off offset:48
	s_clause 0x1
	global_load_b128 v[76:79], v[27:28], off offset:96
	global_load_b128 v[80:83], v[27:28], off offset:112
	v_add_co_u32 v27, vcc_lo, 0x1000, v27
	v_add_co_ci_u32_e32 v28, vcc_lo, 0, v28, vcc_lo
	s_waitcnt vmcnt(9)
	v_fma_f64 v[14:15], v[6:7], v[10:11], v[39:40]
	v_fma_f64 v[35:36], v[10:11], 0, v[35:36]
	;; [unrolled: 1-line block ×16, first 2 shown]
	s_waitcnt vmcnt(7)
	v_fma_f64 v[10:11], v[52:53], v[45:46], v[14:15]
	v_fma_f64 v[6:7], v[45:46], 0, v[6:7]
	;; [unrolled: 1-line block ×4, first 2 shown]
	s_waitcnt vmcnt(6)
	v_fma_f64 v[14:15], v[56:57], v[45:46], v[35:36]
	v_fma_f64 v[2:3], v[45:46], 0, v[2:3]
	;; [unrolled: 1-line block ×12, first 2 shown]
	s_waitcnt vmcnt(3)
	v_fma_f64 v[10:11], v[64:65], v[68:69], v[10:11]
	v_fma_f64 v[6:7], v[68:69], 0, v[6:7]
	;; [unrolled: 1-line block ×16, first 2 shown]
	s_waitcnt vmcnt(1)
	v_fma_f64 v[10:11], v[76:77], v[72:73], v[10:11]
	v_fma_f64 v[6:7], v[72:73], 0, v[6:7]
	;; [unrolled: 1-line block ×4, first 2 shown]
	s_waitcnt vmcnt(0)
	v_fma_f64 v[14:15], v[80:81], v[72:73], v[14:15]
	v_fma_f64 v[2:3], v[72:73], 0, v[2:3]
	v_fma_f64 v[29:30], v[82:83], v[72:73], v[29:30]
	v_fma_f64 v[4:5], v[72:73], 0, v[4:5]
	v_fma_f64 v[39:40], 0x80000000, v[74:75], v[10:11]
	v_fma_f64 v[35:36], v[76:77], v[74:75], v[6:7]
	v_fma_f64 v[41:42], 0x80000000, v[74:75], v[12:13]
	v_fma_f64 v[43:44], v[78:79], v[74:75], v[8:9]
	v_fma_f64 v[37:38], 0x80000000, v[74:75], v[14:15]
	v_fma_f64 v[33:34], v[80:81], v[74:75], v[2:3]
	v_fma_f64 v[29:30], 0x80000000, v[74:75], v[29:30]
	v_fma_f64 v[31:32], v[82:83], v[74:75], v[4:5]
	s_and_not1_b32 exec_lo, exec_lo, s7
	s_cbranch_execnz .LBB138_31
; %bb.32:
	s_or_b32 exec_lo, exec_lo, s7
.LBB138_33:
	s_delay_alu instid0(SALU_CYCLE_1) | instskip(NEXT) | instid1(SALU_CYCLE_1)
	s_or_b32 exec_lo, exec_lo, s6
	s_mov_b32 s6, exec_lo
	v_cmpx_lt_u32_e32 0x5f, v0
	s_cbranch_execz .LBB138_37
; %bb.34:
	s_mov_b32 s7, 0
.LBB138_35:                             ; =>This Inner Loop Header: Depth=1
	v_ashrrev_i32_e32 v26, 31, v25
	s_delay_alu instid0(VALU_DEP_1) | instskip(SKIP_1) | instid1(VALU_DEP_2)
	v_lshlrev_b64 v[0:1], 2, v[25:26]
	v_add_nc_u32_e32 v25, 0x80, v25
	v_add_co_u32 v8, vcc_lo, s8, v0
	s_delay_alu instid0(VALU_DEP_3)
	v_add_co_ci_u32_e32 v9, vcc_lo, s9, v1, vcc_lo
	global_load_b32 v10, v[8:9], off
	s_clause 0x1
	global_load_b128 v[0:3], v[27:28], off offset:16
	global_load_b128 v[4:7], v[27:28], off
	s_clause 0x2
	global_load_b32 v26, v[8:9], off offset:128
	global_load_b32 v49, v[8:9], off offset:256
	;; [unrolled: 1-line block ×3, first 2 shown]
	s_waitcnt vmcnt(5)
	v_subrev_nc_u32_e32 v8, s12, v10
	s_waitcnt vmcnt(2)
	v_subrev_nc_u32_e32 v26, s12, v26
	s_delay_alu instid0(VALU_DEP_2) | instskip(NEXT) | instid1(VALU_DEP_2)
	v_lshlrev_b32_e32 v8, 2, v8
	v_lshlrev_b32_e32 v92, 2, v26
	s_waitcnt vmcnt(1)
	v_subrev_nc_u32_e32 v26, s12, v49
	s_delay_alu instid0(VALU_DEP_3) | instskip(NEXT) | instid1(VALU_DEP_3)
	v_ashrrev_i32_e32 v9, 31, v8
	v_ashrrev_i32_e32 v93, 31, v92
	s_delay_alu instid0(VALU_DEP_2) | instskip(NEXT) | instid1(VALU_DEP_2)
	v_lshlrev_b64 v[8:9], 4, v[8:9]
	v_lshlrev_b64 v[92:93], 4, v[92:93]
	s_waitcnt lgkmcnt(0)
	s_delay_alu instid0(VALU_DEP_2) | instskip(NEXT) | instid1(VALU_DEP_3)
	v_add_co_u32 v76, vcc_lo, s4, v8
	v_add_co_ci_u32_e32 v77, vcc_lo, s5, v9, vcc_lo
	v_add_co_u32 v96, vcc_lo, v27, 0x2000
	v_add_co_ci_u32_e32 v97, vcc_lo, 0, v28, vcc_lo
	global_load_b128 v[8:11], v[76:77], off
	s_clause 0x1
	global_load_b128 v[12:15], v[27:28], off offset:32
	global_load_b128 v[45:48], v[27:28], off offset:48
	global_load_b128 v[52:55], v[76:77], off offset:16
	s_clause 0x1
	global_load_b128 v[56:59], v[27:28], off offset:80
	global_load_b128 v[60:63], v[27:28], off offset:64
	global_load_b128 v[64:67], v[76:77], off offset:32
	;; [unrolled: 4-line block ×3, first 2 shown]
	v_add_co_u32 v98, vcc_lo, 0x1000, v27
	v_add_co_ci_u32_e32 v99, vcc_lo, 0, v28, vcc_lo
	v_add_co_u32 v100, vcc_lo, s4, v92
	v_add_co_ci_u32_e32 v101, vcc_lo, s5, v93, vcc_lo
	s_clause 0x2
	global_load_b128 v[80:83], v[96:97], off offset:-4096
	global_load_b128 v[84:87], v[98:99], off offset:32
	global_load_b128 v[88:91], v[98:99], off offset:16
	v_add_co_u32 v104, vcc_lo, 0x2000, v27
	global_load_b128 v[92:95], v[100:101], off
	v_add_co_ci_u32_e32 v105, vcc_lo, 0, v28, vcc_lo
	s_waitcnt vmcnt(13)
	v_fma_f64 v[35:36], v[8:9], 0, v[35:36]
	v_fma_f64 v[43:44], v[8:9], 0, v[43:44]
	v_fma_f64 v[39:40], v[4:5], v[8:9], v[39:40]
	v_fma_f64 v[41:42], v[6:7], v[8:9], v[41:42]
	v_fma_f64 v[37:38], v[0:1], v[8:9], v[37:38]
	v_fma_f64 v[33:34], v[8:9], 0, v[33:34]
	v_fma_f64 v[29:30], v[2:3], v[8:9], v[29:30]
	v_fma_f64 v[8:9], v[8:9], 0, v[31:32]
	v_fma_f64 v[31:32], v[4:5], v[10:11], v[35:36]
	v_fma_f64 v[35:36], v[6:7], v[10:11], v[43:44]
	v_fma_f64 v[39:40], 0x80000000, v[10:11], v[39:40]
	v_fma_f64 v[41:42], 0x80000000, v[10:11], v[41:42]
	v_fma_f64 v[37:38], 0x80000000, v[10:11], v[37:38]
	v_fma_f64 v[33:34], v[0:1], v[10:11], v[33:34]
	v_fma_f64 v[29:30], 0x80000000, v[10:11], v[29:30]
	v_fma_f64 v[8:9], v[2:3], v[10:11], v[8:9]
	global_load_b128 v[0:3], v[98:99], off offset:48
	global_load_b128 v[4:7], v[100:101], off offset:16
	s_waitcnt vmcnt(12)
	v_fma_f64 v[10:11], v[52:53], 0, v[31:32]
	v_fma_f64 v[31:32], v[52:53], 0, v[35:36]
	;; [unrolled: 1-line block ×16, first 2 shown]
	s_clause 0x2
	global_load_b128 v[8:11], v[98:99], off offset:96
	global_load_b128 v[12:15], v[98:99], off offset:80
	;; [unrolled: 1-line block ×4, first 2 shown]
	s_waitcnt vmcnt(13)
	v_fma_f64 v[41:42], v[64:65], 0, v[41:42]
	v_fma_f64 v[43:44], v[64:65], 0, v[43:44]
	;; [unrolled: 1-line block ×16, first 2 shown]
	global_load_b128 v[37:40], v[98:99], off offset:112
	global_load_b128 v[41:44], v[100:101], off offset:48
	s_waitcnt vmcnt(12)
	v_fma_f64 v[60:61], v[76:77], 0, v[60:61]
	v_fma_f64 v[62:63], v[76:77], 0, v[62:63]
	;; [unrolled: 1-line block ×8, first 2 shown]
	s_clause 0x2
	global_load_b128 v[45:48], v[96:97], off
	global_load_b128 v[52:55], v[104:105], off offset:32
	global_load_b128 v[56:59], v[104:105], off offset:16
	v_lshlrev_b32_e32 v96, 2, v26
	v_subrev_nc_u32_e32 v26, s12, v106
	s_delay_alu instid0(VALU_DEP_2)
	v_ashrrev_i32_e32 v97, 31, v96
	v_fma_f64 v[72:73], v[72:73], v[78:79], v[60:61]
	v_fma_f64 v[74:75], v[74:75], v[78:79], v[62:63]
	;; [unrolled: 1-line block ×8, first 2 shown]
	v_lshlrev_b64 v[60:61], 4, v[96:97]
	s_delay_alu instid0(VALU_DEP_1) | instskip(NEXT) | instid1(VALU_DEP_2)
	v_add_co_u32 v96, vcc_lo, s4, v60
	v_add_co_ci_u32_e32 v97, vcc_lo, s5, v61, vcc_lo
	global_load_b128 v[60:63], v[96:97], off
	s_waitcnt vmcnt(12)
	v_fma_f64 v[72:73], v[92:93], 0, v[72:73]
	v_fma_f64 v[74:75], v[92:93], 0, v[74:75]
	;; [unrolled: 1-line block ×8, first 2 shown]
	v_lshlrev_b32_e32 v100, 2, v26
	v_add_co_u32 v98, vcc_lo, 0x3000, v27
	v_add_co_ci_u32_e32 v99, vcc_lo, 0, v28, vcc_lo
	s_delay_alu instid0(VALU_DEP_3) | instskip(SKIP_1) | instid1(VALU_DEP_1)
	v_ashrrev_i32_e32 v101, 31, v100
	v_add_co_u32 v27, s0, 0x4000, v27
	v_add_co_ci_u32_e64 v28, s0, 0, v28, s0
	v_fma_f64 v[72:73], v[80:81], v[94:95], v[72:73]
	v_fma_f64 v[74:75], v[82:83], v[94:95], v[74:75]
	;; [unrolled: 1-line block ×8, first 2 shown]
	global_load_b128 v[64:67], v[104:105], off offset:48
	global_load_b128 v[68:71], v[96:97], off offset:16
	s_waitcnt vmcnt(12)
	v_fma_f64 v[72:73], v[4:5], 0, v[72:73]
	v_fma_f64 v[74:75], v[4:5], 0, v[74:75]
	v_fma_f64 v[80:81], v[84:85], v[4:5], v[80:81]
	v_fma_f64 v[82:83], v[86:87], v[4:5], v[82:83]
	v_fma_f64 v[76:77], v[0:1], v[4:5], v[76:77]
	v_fma_f64 v[88:89], v[4:5], 0, v[88:89]
	v_fma_f64 v[78:79], v[2:3], v[4:5], v[78:79]
	v_fma_f64 v[4:5], v[4:5], 0, v[90:91]
	v_fma_f64 v[84:85], v[84:85], v[6:7], v[72:73]
	v_fma_f64 v[86:87], v[86:87], v[6:7], v[74:75]
	v_fma_f64 v[80:81], 0x80000000, v[6:7], v[80:81]
	v_fma_f64 v[82:83], 0x80000000, v[6:7], v[82:83]
	v_fma_f64 v[90:91], 0x80000000, v[6:7], v[76:77]
	v_fma_f64 v[88:89], v[0:1], v[6:7], v[88:89]
	v_fma_f64 v[92:93], 0x80000000, v[6:7], v[78:79]
	v_fma_f64 v[94:95], v[2:3], v[6:7], v[4:5]
	s_clause 0x2
	global_load_b128 v[0:3], v[104:105], off offset:96
	global_load_b128 v[4:7], v[104:105], off offset:80
	;; [unrolled: 1-line block ×4, first 2 shown]
	s_waitcnt vmcnt(12)
	v_fma_f64 v[84:85], v[33:34], 0, v[84:85]
	v_fma_f64 v[86:87], v[33:34], 0, v[86:87]
	;; [unrolled: 1-line block ×16, first 2 shown]
	global_load_b128 v[12:15], v[104:105], off offset:112
	global_load_b128 v[29:32], v[96:97], off offset:48
	s_waitcnt vmcnt(12)
	v_fma_f64 v[84:85], v[41:42], 0, v[84:85]
	v_fma_f64 v[86:87], v[41:42], 0, v[86:87]
	;; [unrolled: 1-line block ×8, first 2 shown]
	s_clause 0x1
	global_load_b128 v[33:36], v[98:99], off
	global_load_b128 v[80:83], v[98:99], off offset:16
	v_fma_f64 v[84:85], v[8:9], v[43:44], v[84:85]
	v_fma_f64 v[86:87], v[10:11], v[43:44], v[86:87]
	;; [unrolled: 1-line block ×8, first 2 shown]
	v_lshlrev_b64 v[8:9], 4, v[100:101]
	s_delay_alu instid0(VALU_DEP_1) | instskip(NEXT) | instid1(VALU_DEP_2)
	v_add_co_u32 v92, vcc_lo, s4, v8
	v_add_co_ci_u32_e32 v93, vcc_lo, s5, v9, vcc_lo
	v_cmp_ge_i32_e32 vcc_lo, v25, v51
	global_load_b128 v[8:11], v[92:93], off
	s_or_b32 s7, vcc_lo, s7
	s_waitcnt vmcnt(11)
	v_fma_f64 v[43:44], v[60:61], 0, v[84:85]
	v_fma_f64 v[86:87], v[60:61], 0, v[86:87]
	v_fma_f64 v[41:42], v[45:46], v[60:61], v[94:95]
	v_fma_f64 v[84:85], v[47:48], v[60:61], v[96:97]
	v_fma_f64 v[90:91], v[56:57], v[60:61], v[90:91]
	v_fma_f64 v[37:38], v[60:61], 0, v[37:38]
	v_fma_f64 v[88:89], v[58:59], v[60:61], v[88:89]
	v_fma_f64 v[39:40], v[60:61], 0, v[39:40]
	v_fma_f64 v[94:95], v[45:46], v[62:63], v[43:44]
	v_fma_f64 v[86:87], v[47:48], v[62:63], v[86:87]
	v_fma_f64 v[60:61], 0x80000000, v[62:63], v[41:42]
	v_fma_f64 v[84:85], 0x80000000, v[62:63], v[84:85]
	v_fma_f64 v[90:91], 0x80000000, v[62:63], v[90:91]
	v_fma_f64 v[56:57], v[56:57], v[62:63], v[37:38]
	v_fma_f64 v[88:89], 0x80000000, v[62:63], v[88:89]
	v_fma_f64 v[58:59], v[58:59], v[62:63], v[39:40]
	s_clause 0x1
	global_load_b128 v[37:40], v[98:99], off offset:32
	global_load_b128 v[41:44], v[98:99], off offset:48
	global_load_b128 v[45:48], v[92:93], off offset:16
	s_waitcnt vmcnt(12)
	v_fma_f64 v[62:63], v[68:69], 0, v[94:95]
	v_fma_f64 v[86:87], v[68:69], 0, v[86:87]
	v_fma_f64 v[60:61], v[52:53], v[68:69], v[60:61]
	v_fma_f64 v[84:85], v[54:55], v[68:69], v[84:85]
	v_fma_f64 v[90:91], v[64:65], v[68:69], v[90:91]
	v_fma_f64 v[56:57], v[68:69], 0, v[56:57]
	v_fma_f64 v[88:89], v[66:67], v[68:69], v[88:89]
	v_fma_f64 v[58:59], v[68:69], 0, v[58:59]
	v_fma_f64 v[94:95], v[52:53], v[70:71], v[62:63]
	v_fma_f64 v[86:87], v[54:55], v[70:71], v[86:87]
	v_fma_f64 v[68:69], 0x80000000, v[70:71], v[60:61]
	v_fma_f64 v[84:85], 0x80000000, v[70:71], v[84:85]
	v_fma_f64 v[90:91], 0x80000000, v[70:71], v[90:91]
	v_fma_f64 v[64:65], v[64:65], v[70:71], v[56:57]
	v_fma_f64 v[88:89], 0x80000000, v[70:71], v[88:89]
	v_fma_f64 v[66:67], v[66:67], v[70:71], v[58:59]
	s_clause 0x1
	global_load_b128 v[52:55], v[98:99], off offset:80
	global_load_b128 v[56:59], v[98:99], off offset:64
	global_load_b128 v[60:63], v[92:93], off offset:32
	;; [unrolled: 21-line block ×3, first 2 shown]
	s_waitcnt vmcnt(12)
	v_fma_f64 v[72:73], v[29:30], 0, v[72:73]
	v_fma_f64 v[74:75], v[29:30], 0, v[74:75]
	v_fma_f64 v[76:77], v[0:1], v[29:30], v[76:77]
	v_fma_f64 v[84:85], v[2:3], v[29:30], v[84:85]
	v_fma_f64 v[86:87], v[12:13], v[29:30], v[86:87]
	v_fma_f64 v[90:91], v[29:30], 0, v[90:91]
	v_fma_f64 v[88:89], v[14:15], v[29:30], v[88:89]
	v_fma_f64 v[29:30], v[29:30], 0, v[78:79]
	v_fma_f64 v[0:1], v[0:1], v[31:32], v[72:73]
	v_fma_f64 v[2:3], v[2:3], v[31:32], v[74:75]
	v_fma_f64 v[76:77], 0x80000000, v[31:32], v[76:77]
	v_fma_f64 v[72:73], 0x80000000, v[31:32], v[84:85]
	v_fma_f64 v[74:75], 0x80000000, v[31:32], v[86:87]
	v_fma_f64 v[12:13], v[12:13], v[31:32], v[90:91]
	v_fma_f64 v[78:79], 0x80000000, v[31:32], v[88:89]
	v_fma_f64 v[14:15], v[14:15], v[31:32], v[29:30]
	s_waitcnt vmcnt(9)
	v_fma_f64 v[0:1], v[8:9], 0, v[0:1]
	v_fma_f64 v[2:3], v[8:9], 0, v[2:3]
	v_fma_f64 v[29:30], v[33:34], v[8:9], v[76:77]
	v_fma_f64 v[31:32], v[35:36], v[8:9], v[72:73]
	v_fma_f64 v[72:73], v[80:81], v[8:9], v[74:75]
	v_fma_f64 v[12:13], v[8:9], 0, v[12:13]
	v_fma_f64 v[74:75], v[82:83], v[8:9], v[78:79]
	v_fma_f64 v[8:9], v[8:9], 0, v[14:15]
	v_fma_f64 v[0:1], v[33:34], v[10:11], v[0:1]
	v_fma_f64 v[2:3], v[35:36], v[10:11], v[2:3]
	v_fma_f64 v[14:15], 0x80000000, v[10:11], v[29:30]
	v_fma_f64 v[29:30], 0x80000000, v[10:11], v[31:32]
	v_fma_f64 v[31:32], 0x80000000, v[10:11], v[72:73]
	v_fma_f64 v[12:13], v[80:81], v[10:11], v[12:13]
	v_fma_f64 v[33:34], 0x80000000, v[10:11], v[74:75]
	v_fma_f64 v[8:9], v[82:83], v[10:11], v[8:9]
	;; [unrolled: 17-line block ×5, first 2 shown]
	s_and_not1_b32 exec_lo, exec_lo, s7
	s_cbranch_execnz .LBB138_35
; %bb.36:
	s_or_b32 exec_lo, exec_lo, s7
.LBB138_37:
	s_delay_alu instid0(SALU_CYCLE_1)
	s_or_b32 exec_lo, exec_lo, s6
.LBB138_38:
	s_delay_alu instid0(SALU_CYCLE_1)
	s_or_b32 exec_lo, exec_lo, s1
.LBB138_39:
	v_mbcnt_lo_u32_b32 v45, -1, 0
	s_delay_alu instid0(VALU_DEP_1) | instskip(SKIP_1) | instid1(VALU_DEP_2)
	v_xor_b32_e32 v0, 16, v45
	v_xor_b32_e32 v25, 8, v45
	v_cmp_gt_i32_e32 vcc_lo, 32, v0
	v_cndmask_b32_e32 v0, v45, v0, vcc_lo
	s_delay_alu instid0(VALU_DEP_3) | instskip(NEXT) | instid1(VALU_DEP_2)
	v_cmp_gt_i32_e32 vcc_lo, 32, v25
	v_lshlrev_b32_e32 v15, 2, v0
	v_cndmask_b32_e32 v25, v45, v25, vcc_lo
	ds_bpermute_b32 v0, v15, v39
	ds_bpermute_b32 v1, v15, v40
	;; [unrolled: 1-line block ×16, first 2 shown]
	s_waitcnt lgkmcnt(0)
	v_add_f64 v[0:1], v[39:40], v[0:1]
	v_lshlrev_b32_e32 v40, 2, v25
	v_add_f64 v[2:3], v[35:36], v[2:3]
	v_add_f64 v[4:5], v[41:42], v[4:5]
	;; [unrolled: 1-line block ×7, first 2 shown]
	ds_bpermute_b32 v25, v40, v0
	ds_bpermute_b32 v26, v40, v1
	;; [unrolled: 1-line block ×16, first 2 shown]
	s_waitcnt lgkmcnt(14)
	v_add_f64 v[0:1], v[0:1], v[25:26]
	v_xor_b32_e32 v25, 4, v45
	s_waitcnt lgkmcnt(12)
	v_add_f64 v[2:3], v[2:3], v[27:28]
	s_waitcnt lgkmcnt(10)
	v_add_f64 v[4:5], v[4:5], v[29:30]
	;; [unrolled: 2-line block ×3, first 2 shown]
	v_cmp_gt_i32_e32 vcc_lo, 32, v25
	s_waitcnt lgkmcnt(6)
	v_add_f64 v[8:9], v[8:9], v[33:34]
	s_waitcnt lgkmcnt(4)
	v_add_f64 v[10:11], v[10:11], v[35:36]
	;; [unrolled: 2-line block ×3, first 2 shown]
	v_cndmask_b32_e32 v25, v45, v25, vcc_lo
	s_waitcnt lgkmcnt(0)
	v_add_f64 v[14:15], v[14:15], v[39:40]
	s_delay_alu instid0(VALU_DEP_2)
	v_lshlrev_b32_e32 v40, 2, v25
	ds_bpermute_b32 v25, v40, v0
	ds_bpermute_b32 v26, v40, v1
	;; [unrolled: 1-line block ×16, first 2 shown]
	s_waitcnt lgkmcnt(14)
	v_add_f64 v[0:1], v[0:1], v[25:26]
	s_waitcnt lgkmcnt(12)
	v_add_f64 v[2:3], v[2:3], v[27:28]
	;; [unrolled: 2-line block ×8, first 2 shown]
	v_xor_b32_e32 v14, 2, v45
	s_delay_alu instid0(VALU_DEP_1) | instskip(SKIP_1) | instid1(VALU_DEP_1)
	v_cmp_gt_i32_e32 vcc_lo, 32, v14
	v_cndmask_b32_e32 v14, v45, v14, vcc_lo
	v_lshlrev_b32_e32 v40, 2, v14
	ds_bpermute_b32 v14, v40, v0
	ds_bpermute_b32 v15, v40, v1
	;; [unrolled: 1-line block ×16, first 2 shown]
	s_waitcnt lgkmcnt(14)
	v_add_f64 v[0:1], v[0:1], v[14:15]
	s_waitcnt lgkmcnt(12)
	v_add_f64 v[27:28], v[2:3], v[27:28]
	;; [unrolled: 2-line block ×7, first 2 shown]
	v_xor_b32_e32 v12, 1, v45
	s_waitcnt lgkmcnt(0)
	v_add_f64 v[8:9], v[25:26], v[39:40]
	s_delay_alu instid0(VALU_DEP_2) | instskip(SKIP_2) | instid1(VALU_DEP_2)
	v_cmp_gt_i32_e32 vcc_lo, 32, v12
	v_cndmask_b32_e32 v12, v45, v12, vcc_lo
	v_cmp_eq_u32_e32 vcc_lo, 31, v50
	v_lshlrev_b32_e32 v34, 2, v12
	ds_bpermute_b32 v12, v34, v0
	ds_bpermute_b32 v13, v34, v1
	;; [unrolled: 1-line block ×16, first 2 shown]
	s_and_b32 exec_lo, exec_lo, vcc_lo
	s_cbranch_execz .LBB138_12
; %bb.40:
	s_waitcnt lgkmcnt(12)
	v_add_f64 v[27:28], v[27:28], v[39:40]
	s_waitcnt lgkmcnt(8)
	v_add_f64 v[14:15], v[14:15], v[37:38]
	;; [unrolled: 2-line block ×4, first 2 shown]
	v_add_f64 v[0:1], v[0:1], v[12:13]
	v_add_f64 v[2:3], v[2:3], v[25:26]
	;; [unrolled: 1-line block ×4, first 2 shown]
	v_cmp_eq_f64_e32 vcc_lo, 0, v[16:17]
	v_cmp_eq_f64_e64 s0, 0, v[18:19]
	s_load_b64 s[2:3], s[2:3], 0x60
	v_mul_f64 v[4:5], v[27:28], -v[22:23]
	v_mul_f64 v[6:7], v[20:21], v[27:28]
	v_mul_f64 v[27:28], v[14:15], -v[22:23]
	v_mul_f64 v[31:32], v[20:21], v[14:15]
	;; [unrolled: 2-line block ×4, first 2 shown]
	s_and_b32 s0, vcc_lo, s0
	v_fma_f64 v[12:13], v[20:21], v[0:1], v[4:5]
	v_fma_f64 v[14:15], v[22:23], v[0:1], v[6:7]
	;; [unrolled: 1-line block ×8, first 2 shown]
	v_lshlrev_b32_e32 v20, 2, v24
	s_and_saveexec_b32 s1, s0
	s_delay_alu instid0(SALU_CYCLE_1)
	s_xor_b32 s0, exec_lo, s1
	s_cbranch_execz .LBB138_42
; %bb.41:
	s_delay_alu instid0(VALU_DEP_1) | instskip(NEXT) | instid1(VALU_DEP_1)
	v_ashrrev_i32_e32 v21, 31, v20
                                        ; implicit-def: $vgpr18_vgpr19
	v_lshlrev_b64 v[16:17], 4, v[20:21]
                                        ; implicit-def: $vgpr20
	s_waitcnt lgkmcnt(0)
	s_delay_alu instid0(VALU_DEP_1) | instskip(NEXT) | instid1(VALU_DEP_2)
	v_add_co_u32 v16, vcc_lo, s2, v16
	v_add_co_ci_u32_e32 v17, vcc_lo, s3, v17, vcc_lo
	s_clause 0x3
	global_store_b128 v[16:17], v[12:15], off
	global_store_b128 v[16:17], v[8:11], off offset:16
	global_store_b128 v[16:17], v[4:7], off offset:32
	;; [unrolled: 1-line block ×3, first 2 shown]
                                        ; implicit-def: $vgpr16_vgpr17
                                        ; implicit-def: $vgpr12_vgpr13
                                        ; implicit-def: $vgpr8_vgpr9
                                        ; implicit-def: $vgpr4_vgpr5
                                        ; implicit-def: $vgpr0_vgpr1
.LBB138_42:
	s_and_not1_saveexec_b32 s0, s0
	s_cbranch_execz .LBB138_12
; %bb.43:
	v_ashrrev_i32_e32 v21, 31, v20
	s_delay_alu instid0(VALU_DEP_1) | instskip(SKIP_1) | instid1(VALU_DEP_1)
	v_lshlrev_b64 v[20:21], 4, v[20:21]
	s_waitcnt lgkmcnt(0)
	v_add_co_u32 v36, vcc_lo, s2, v20
	s_delay_alu instid0(VALU_DEP_2)
	v_add_co_ci_u32_e32 v37, vcc_lo, s3, v21, vcc_lo
	s_clause 0x3
	global_load_b128 v[20:23], v[36:37], off
	global_load_b128 v[24:27], v[36:37], off offset:16
	global_load_b128 v[28:31], v[36:37], off offset:32
	;; [unrolled: 1-line block ×3, first 2 shown]
	s_waitcnt vmcnt(3)
	v_fma_f64 v[12:13], v[16:17], v[20:21], v[12:13]
	v_fma_f64 v[14:15], v[18:19], v[20:21], v[14:15]
	s_waitcnt vmcnt(2)
	v_fma_f64 v[8:9], v[16:17], v[24:25], v[8:9]
	v_fma_f64 v[10:11], v[18:19], v[24:25], v[10:11]
	;; [unrolled: 3-line block ×4, first 2 shown]
	v_fma_f64 v[0:1], -v[18:19], v[22:23], v[12:13]
	v_fma_f64 v[2:3], v[16:17], v[22:23], v[14:15]
	v_fma_f64 v[4:5], -v[18:19], v[26:27], v[8:9]
	v_fma_f64 v[6:7], v[16:17], v[26:27], v[10:11]
	;; [unrolled: 2-line block ×4, first 2 shown]
	s_clause 0x3
	global_store_b128 v[36:37], v[0:3], off
	global_store_b128 v[36:37], v[4:7], off offset:16
	global_store_b128 v[36:37], v[8:11], off offset:32
	;; [unrolled: 1-line block ×3, first 2 shown]
	s_nop 0
	s_sendmsg sendmsg(MSG_DEALLOC_VGPRS)
	s_endpgm
	.section	.rodata,"a",@progbits
	.p2align	6, 0x0
	.amdhsa_kernel _ZN9rocsparseL18bsrxmvn_4x4_kernelILj128ELj32E21rocsparse_complex_numIdEiidS2_S2_EEvT3_20rocsparse_direction_NS_24const_host_device_scalarIT1_EES3_PKS3_PKT2_SC_S9_PKT4_PKT5_S7_PT6_21rocsparse_index_base_b
		.amdhsa_group_segment_fixed_size 2048
		.amdhsa_private_segment_fixed_size 0
		.amdhsa_kernarg_size 112
		.amdhsa_user_sgpr_count 15
		.amdhsa_user_sgpr_dispatch_ptr 1
		.amdhsa_user_sgpr_queue_ptr 0
		.amdhsa_user_sgpr_kernarg_segment_ptr 1
		.amdhsa_user_sgpr_dispatch_id 0
		.amdhsa_user_sgpr_private_segment_size 0
		.amdhsa_wavefront_size32 1
		.amdhsa_uses_dynamic_stack 0
		.amdhsa_enable_private_segment 0
		.amdhsa_system_sgpr_workgroup_id_x 1
		.amdhsa_system_sgpr_workgroup_id_y 0
		.amdhsa_system_sgpr_workgroup_id_z 0
		.amdhsa_system_sgpr_workgroup_info 0
		.amdhsa_system_vgpr_workitem_id 2
		.amdhsa_next_free_vgpr 115
		.amdhsa_next_free_sgpr 18
		.amdhsa_reserve_vcc 1
		.amdhsa_float_round_mode_32 0
		.amdhsa_float_round_mode_16_64 0
		.amdhsa_float_denorm_mode_32 3
		.amdhsa_float_denorm_mode_16_64 3
		.amdhsa_dx10_clamp 1
		.amdhsa_ieee_mode 1
		.amdhsa_fp16_overflow 0
		.amdhsa_workgroup_processor_mode 1
		.amdhsa_memory_ordered 1
		.amdhsa_forward_progress 0
		.amdhsa_shared_vgpr_count 0
		.amdhsa_exception_fp_ieee_invalid_op 0
		.amdhsa_exception_fp_denorm_src 0
		.amdhsa_exception_fp_ieee_div_zero 0
		.amdhsa_exception_fp_ieee_overflow 0
		.amdhsa_exception_fp_ieee_underflow 0
		.amdhsa_exception_fp_ieee_inexact 0
		.amdhsa_exception_int_div_zero 0
	.end_amdhsa_kernel
	.section	.text._ZN9rocsparseL18bsrxmvn_4x4_kernelILj128ELj32E21rocsparse_complex_numIdEiidS2_S2_EEvT3_20rocsparse_direction_NS_24const_host_device_scalarIT1_EES3_PKS3_PKT2_SC_S9_PKT4_PKT5_S7_PT6_21rocsparse_index_base_b,"axG",@progbits,_ZN9rocsparseL18bsrxmvn_4x4_kernelILj128ELj32E21rocsparse_complex_numIdEiidS2_S2_EEvT3_20rocsparse_direction_NS_24const_host_device_scalarIT1_EES3_PKS3_PKT2_SC_S9_PKT4_PKT5_S7_PT6_21rocsparse_index_base_b,comdat
.Lfunc_end138:
	.size	_ZN9rocsparseL18bsrxmvn_4x4_kernelILj128ELj32E21rocsparse_complex_numIdEiidS2_S2_EEvT3_20rocsparse_direction_NS_24const_host_device_scalarIT1_EES3_PKS3_PKT2_SC_S9_PKT4_PKT5_S7_PT6_21rocsparse_index_base_b, .Lfunc_end138-_ZN9rocsparseL18bsrxmvn_4x4_kernelILj128ELj32E21rocsparse_complex_numIdEiidS2_S2_EEvT3_20rocsparse_direction_NS_24const_host_device_scalarIT1_EES3_PKS3_PKT2_SC_S9_PKT4_PKT5_S7_PT6_21rocsparse_index_base_b
                                        ; -- End function
	.section	.AMDGPU.csdata,"",@progbits
; Kernel info:
; codeLenInByte = 11164
; NumSgprs: 20
; NumVgprs: 115
; ScratchSize: 0
; MemoryBound: 0
; FloatMode: 240
; IeeeMode: 1
; LDSByteSize: 2048 bytes/workgroup (compile time only)
; SGPRBlocks: 2
; VGPRBlocks: 14
; NumSGPRsForWavesPerEU: 20
; NumVGPRsForWavesPerEU: 115
; Occupancy: 12
; WaveLimiterHint : 1
; COMPUTE_PGM_RSRC2:SCRATCH_EN: 0
; COMPUTE_PGM_RSRC2:USER_SGPR: 15
; COMPUTE_PGM_RSRC2:TRAP_HANDLER: 0
; COMPUTE_PGM_RSRC2:TGID_X_EN: 1
; COMPUTE_PGM_RSRC2:TGID_Y_EN: 0
; COMPUTE_PGM_RSRC2:TGID_Z_EN: 0
; COMPUTE_PGM_RSRC2:TIDIG_COMP_CNT: 2
	.section	.text._ZN9rocsparseL18bsrxmvn_4x4_kernelILj128ELj64E21rocsparse_complex_numIdEiidS2_S2_EEvT3_20rocsparse_direction_NS_24const_host_device_scalarIT1_EES3_PKS3_PKT2_SC_S9_PKT4_PKT5_S7_PT6_21rocsparse_index_base_b,"axG",@progbits,_ZN9rocsparseL18bsrxmvn_4x4_kernelILj128ELj64E21rocsparse_complex_numIdEiidS2_S2_EEvT3_20rocsparse_direction_NS_24const_host_device_scalarIT1_EES3_PKS3_PKT2_SC_S9_PKT4_PKT5_S7_PT6_21rocsparse_index_base_b,comdat
	.globl	_ZN9rocsparseL18bsrxmvn_4x4_kernelILj128ELj64E21rocsparse_complex_numIdEiidS2_S2_EEvT3_20rocsparse_direction_NS_24const_host_device_scalarIT1_EES3_PKS3_PKT2_SC_S9_PKT4_PKT5_S7_PT6_21rocsparse_index_base_b ; -- Begin function _ZN9rocsparseL18bsrxmvn_4x4_kernelILj128ELj64E21rocsparse_complex_numIdEiidS2_S2_EEvT3_20rocsparse_direction_NS_24const_host_device_scalarIT1_EES3_PKS3_PKT2_SC_S9_PKT4_PKT5_S7_PT6_21rocsparse_index_base_b
	.p2align	8
	.type	_ZN9rocsparseL18bsrxmvn_4x4_kernelILj128ELj64E21rocsparse_complex_numIdEiidS2_S2_EEvT3_20rocsparse_direction_NS_24const_host_device_scalarIT1_EES3_PKS3_PKT2_SC_S9_PKT4_PKT5_S7_PT6_21rocsparse_index_base_b,@function
_ZN9rocsparseL18bsrxmvn_4x4_kernelILj128ELj64E21rocsparse_complex_numIdEiidS2_S2_EEvT3_20rocsparse_direction_NS_24const_host_device_scalarIT1_EES3_PKS3_PKT2_SC_S9_PKT4_PKT5_S7_PT6_21rocsparse_index_base_b: ; @_ZN9rocsparseL18bsrxmvn_4x4_kernelILj128ELj64E21rocsparse_complex_numIdEiidS2_S2_EEvT3_20rocsparse_direction_NS_24const_host_device_scalarIT1_EES3_PKS3_PKT2_SC_S9_PKT4_PKT5_S7_PT6_21rocsparse_index_base_b
; %bb.0:
	s_load_b64 s[12:13], s[2:3], 0x68
	s_load_b64 s[16:17], s[0:1], 0x4
	s_load_b128 s[8:11], s[2:3], 0x8
	v_bfe_u32 v2, v0, 10, 10
	s_mov_b64 s[0:1], src_shared_base
	s_load_b128 s[4:7], s[2:3], 0x50
	v_and_b32_e32 v1, 0x3ff, v0
	v_bfe_u32 v0, v0, 20, 10
	s_waitcnt lgkmcnt(0)
	s_bitcmp1_b32 s13, 0
	v_mul_u32_u24_e32 v2, s17, v2
	s_cselect_b32 s0, -1, 0
	v_mov_b32_e32 v23, s11
	s_and_b32 vcc_lo, s0, exec_lo
	s_cselect_b32 s13, s1, s9
	s_lshr_b32 s14, s16, 16
	v_dual_mov_b32 v4, s4 :: v_dual_mov_b32 v5, s5
	s_mul_i32 s14, s14, s17
	v_dual_mov_b32 v7, s13 :: v_dual_mov_b32 v22, s10
	v_mad_u32_u24 v2, s14, v1, v2
	s_xor_b32 s10, s0, -1
	s_delay_alu instid0(VALU_DEP_1) | instskip(SKIP_1) | instid1(VALU_DEP_2)
	v_add_lshl_u32 v0, v2, v0, 3
	v_dual_mov_b32 v2, s8 :: v_dual_mov_b32 v3, s9
	v_add_nc_u32_e32 v6, 0x400, v0
	ds_store_2addr_stride64_b64 v0, v[4:5], v[2:3] offset1:2
	v_cndmask_b32_e64 v6, s8, v6, s0
	flat_load_b64 v[20:21], v[6:7]
	s_cbranch_vccnz .LBB139_2
; %bb.1:
	v_dual_mov_b32 v2, s8 :: v_dual_mov_b32 v3, s9
	flat_load_b64 v[22:23], v[2:3] offset:8
.LBB139_2:
	s_and_b32 s8, s0, exec_lo
	s_cselect_b32 s1, s1, s5
	v_cndmask_b32_e64 v2, s4, v0, s0
	v_mov_b32_e32 v3, s1
	v_dual_mov_b32 v19, s7 :: v_dual_mov_b32 v18, s6
	s_and_not1_b32 vcc_lo, exec_lo, s10
	flat_load_b64 v[16:17], v[2:3]
	s_cbranch_vccnz .LBB139_4
; %bb.3:
	v_dual_mov_b32 v2, s4 :: v_dual_mov_b32 v3, s5
	flat_load_b64 v[18:19], v[2:3] offset:8
.LBB139_4:
	s_waitcnt vmcnt(1) lgkmcnt(1)
	v_cmp_eq_f64_e32 vcc_lo, 0, v[20:21]
	v_cmp_eq_f64_e64 s0, 0, v[22:23]
	s_delay_alu instid0(VALU_DEP_1)
	s_and_b32 s4, vcc_lo, s0
	s_mov_b32 s0, -1
	s_and_saveexec_b32 s1, s4
	s_cbranch_execz .LBB139_6
; %bb.5:
	s_waitcnt vmcnt(0) lgkmcnt(0)
	v_cmp_neq_f64_e32 vcc_lo, 1.0, v[16:17]
	v_cmp_neq_f64_e64 s0, 0, v[18:19]
	s_delay_alu instid0(VALU_DEP_1) | instskip(NEXT) | instid1(SALU_CYCLE_1)
	s_or_b32 s0, vcc_lo, s0
	s_or_not1_b32 s0, s0, exec_lo
.LBB139_6:
	s_or_b32 exec_lo, exec_lo, s1
	s_and_saveexec_b32 s1, s0
	s_cbranch_execz .LBB139_12
; %bb.7:
	s_clause 0x1
	s_load_b64 s[4:5], s[2:3], 0x20
	s_load_b64 s[0:1], s[2:3], 0x0
	v_lshrrev_b32_e32 v0, 6, v1
	s_delay_alu instid0(VALU_DEP_1)
	v_lshl_or_b32 v24, s15, 1, v0
	s_waitcnt lgkmcnt(0)
	s_cmp_lg_u64 s[4:5], 0
	s_cbranch_scc0 .LBB139_13
; %bb.8:
	s_load_b32 s6, s[2:3], 0x18
	s_mov_b32 s7, 0
                                        ; implicit-def: $vgpr0
	s_waitcnt lgkmcnt(0)
	v_cmp_gt_i32_e32 vcc_lo, s6, v24
	s_mov_b32 s6, 0
	s_and_saveexec_b32 s8, vcc_lo
	s_delay_alu instid0(SALU_CYCLE_1)
	s_xor_b32 s8, exec_lo, s8
	s_cbranch_execz .LBB139_10
; %bb.9:
	v_ashrrev_i32_e32 v25, 31, v24
	s_mov_b32 s6, exec_lo
	s_delay_alu instid0(VALU_DEP_1) | instskip(NEXT) | instid1(VALU_DEP_1)
	v_lshlrev_b64 v[2:3], 2, v[24:25]
	v_add_co_u32 v2, vcc_lo, s4, v2
	s_delay_alu instid0(VALU_DEP_2)
	v_add_co_ci_u32_e32 v3, vcc_lo, s5, v3, vcc_lo
	global_load_b32 v0, v[2:3], off
	s_waitcnt vmcnt(0)
	v_subrev_nc_u32_e32 v0, s12, v0
.LBB139_10:
	s_or_b32 exec_lo, exec_lo, s8
	s_delay_alu instid0(SALU_CYCLE_1)
	s_and_b32 vcc_lo, exec_lo, s7
	s_cbranch_vccz .LBB139_14
.LBB139_11:
	v_cmp_gt_i32_e32 vcc_lo, s0, v24
	s_and_not1_b32 s0, s6, exec_lo
	s_and_b32 s4, vcc_lo, exec_lo
	s_delay_alu instid0(SALU_CYCLE_1) | instskip(NEXT) | instid1(SALU_CYCLE_1)
	s_or_b32 s6, s0, s4
	s_and_b32 exec_lo, exec_lo, s6
	s_cbranch_execnz .LBB139_15
.LBB139_12:
	s_nop 0
	s_sendmsg sendmsg(MSG_DEALLOC_VGPRS)
	s_endpgm
.LBB139_13:
	s_mov_b32 s6, 0
                                        ; implicit-def: $vgpr0
	s_cbranch_execnz .LBB139_11
.LBB139_14:
	s_delay_alu instid0(VALU_DEP_1)
	v_mov_b32_e32 v24, v0
	s_and_b32 exec_lo, exec_lo, s6
	s_cbranch_execz .LBB139_12
.LBB139_15:
	s_load_b256 s[4:11], s[2:3], 0x28
	s_delay_alu instid0(VALU_DEP_1) | instskip(SKIP_1) | instid1(VALU_DEP_2)
	v_ashrrev_i32_e32 v25, 31, v24
	v_and_b32_e32 v50, 63, v1
	v_lshlrev_b64 v[2:3], 2, v[24:25]
	s_waitcnt lgkmcnt(0)
	s_delay_alu instid0(VALU_DEP_1) | instskip(NEXT) | instid1(VALU_DEP_2)
	v_add_co_u32 v4, vcc_lo, s4, v2
	v_add_co_ci_u32_e32 v5, vcc_lo, s5, v3, vcc_lo
	v_add_co_u32 v0, vcc_lo, s6, v2
	v_add_co_ci_u32_e32 v2, vcc_lo, s7, v3, vcc_lo
	global_load_b32 v52, v[4:5], off
	v_add_co_u32 v4, vcc_lo, v4, 4
	v_add_co_ci_u32_e32 v3, vcc_lo, 0, v5, vcc_lo
	s_cmp_eq_u64 s[6:7], 0
	s_load_b64 s[4:5], s[2:3], 0x48
	s_cselect_b32 vcc_lo, -1, 0
	s_cmp_eq_u32 s1, 1
	v_dual_cndmask_b32 v3, v2, v3 :: v_dual_cndmask_b32 v2, v0, v4
	global_load_b32 v2, v[2:3], off
	s_waitcnt vmcnt(1)
	v_subrev_nc_u32_e32 v0, s12, v52
	s_delay_alu instid0(VALU_DEP_1) | instskip(NEXT) | instid1(VALU_DEP_1)
	v_add_nc_u32_e32 v25, v0, v50
	v_ashrrev_i32_e32 v26, 31, v25
	s_waitcnt vmcnt(0)
	v_subrev_nc_u32_e32 v51, s12, v2
	s_delay_alu instid0(VALU_DEP_2) | instskip(NEXT) | instid1(VALU_DEP_2)
	v_lshlrev_b64 v[0:1], 7, v[25:26]
	v_cmp_lt_i32_e64 s0, v25, v51
	s_delay_alu instid0(VALU_DEP_2) | instskip(NEXT) | instid1(VALU_DEP_3)
	v_add_co_u32 v27, vcc_lo, s10, v0
	v_add_co_ci_u32_e32 v28, vcc_lo, s11, v1, vcc_lo
	s_cbranch_scc1 .LBB139_27
; %bb.16:
	v_mov_b32_e32 v35, 0
	v_mov_b32_e32 v36, 0
	s_delay_alu instid0(VALU_DEP_2) | instskip(SKIP_1) | instid1(VALU_DEP_3)
	v_mov_b32_e32 v33, v35
	v_mov_b32_e32 v31, v35
	v_dual_mov_b32 v29, v35 :: v_dual_mov_b32 v30, v36
	v_dual_mov_b32 v40, v36 :: v_dual_mov_b32 v39, v35
	;; [unrolled: 1-line block ×4, first 2 shown]
	v_mov_b32_e32 v34, v36
	v_dual_mov_b32 v38, v36 :: v_dual_mov_b32 v37, v35
	v_mov_b32_e32 v32, v36
	s_and_saveexec_b32 s6, s0
	s_cbranch_execz .LBB139_26
; %bb.17:
	v_dual_mov_b32 v29, 0 :: v_dual_add_nc_u32 v0, v52, v50
	v_mov_b32_e32 v46, v28
	v_not_b32_e32 v1, v52
	v_mov_b32_e32 v47, v25
	s_delay_alu instid0(VALU_DEP_4) | instskip(SKIP_2) | instid1(VALU_DEP_1)
	v_subrev_nc_u32_e32 v0, s12, v0
	s_mov_b32 s10, 0
	s_mov_b32 s7, exec_lo
	v_dual_mov_b32 v45, v27 :: v_dual_add_nc_u32 v0, 64, v0
	s_delay_alu instid0(VALU_DEP_1) | instskip(NEXT) | instid1(VALU_DEP_1)
	v_max_i32_e32 v0, v0, v51
	v_add3_u32 v0, v0, s12, v1
	s_delay_alu instid0(VALU_DEP_1) | instskip(NEXT) | instid1(VALU_DEP_1)
	v_sub_nc_u32_e32 v0, v0, v50
	v_lshrrev_b32_e32 v1, 6, v0
	s_delay_alu instid0(VALU_DEP_1) | instskip(NEXT) | instid1(VALU_DEP_1)
	v_dual_mov_b32 v30, 0 :: v_dual_add_nc_u32 v1, 1, v1
	v_mov_b32_e32 v32, v30
	v_mov_b32_e32 v38, v30
	v_dual_mov_b32 v34, v30 :: v_dual_mov_b32 v31, v29
	s_delay_alu instid0(VALU_DEP_4)
	v_and_b32_e32 v1, 3, v1
	v_mov_b32_e32 v37, v29
	v_dual_mov_b32 v33, v29 :: v_dual_mov_b32 v42, v30
	v_dual_mov_b32 v41, v29 :: v_dual_mov_b32 v44, v30
	;; [unrolled: 1-line block ×4, first 2 shown]
	v_mov_b32_e32 v35, v29
	v_cmpx_ne_u32_e32 0, v1
	s_cbranch_execz .LBB139_21
; %bb.18:
	v_dual_mov_b32 v35, 0 :: v_dual_mov_b32 v46, v28
	v_dual_mov_b32 v36, 0 :: v_dual_lshlrev_b32 v1, 7, v1
	v_mov_b32_e32 v47, v25
	v_mov_b32_e32 v45, v27
	s_delay_alu instid0(VALU_DEP_3)
	v_dual_mov_b32 v33, v35 :: v_dual_mov_b32 v40, v36
	v_dual_mov_b32 v39, v35 :: v_dual_mov_b32 v42, v36
	;; [unrolled: 1-line block ×4, first 2 shown]
	v_mov_b32_e32 v29, v35
	v_dual_mov_b32 v43, v35 :: v_dual_mov_b32 v34, v36
	v_dual_mov_b32 v37, v35 :: v_dual_mov_b32 v30, v36
	v_mov_b32_e32 v32, v36
.LBB139_19:                             ; =>This Inner Loop Header: Depth=1
	v_ashrrev_i32_e32 v48, 31, v47
	v_add_nc_u32_e32 v1, 0xffffff80, v1
	s_delay_alu instid0(VALU_DEP_2) | instskip(NEXT) | instid1(VALU_DEP_2)
	v_lshlrev_b64 v[2:3], 2, v[47:48]
	v_cmp_eq_u32_e64 s1, 0, v1
	v_add_nc_u32_e32 v47, 64, v47
	s_delay_alu instid0(VALU_DEP_2) | instskip(NEXT) | instid1(VALU_DEP_3)
	s_or_b32 s10, s1, s10
	v_add_co_u32 v2, vcc_lo, s8, v2
	s_delay_alu instid0(VALU_DEP_4)
	v_add_co_ci_u32_e32 v3, vcc_lo, s9, v3, vcc_lo
	global_load_b32 v14, v[2:3], off
	s_clause 0x7
	global_load_b128 v[2:5], v[45:46], off offset:48
	global_load_b128 v[6:9], v[45:46], off offset:32
	global_load_b128 v[10:13], v[45:46], off offset:16
	global_load_b128 v[53:56], v[45:46], off
	global_load_b128 v[57:60], v[45:46], off offset:112
	global_load_b128 v[61:64], v[45:46], off offset:96
	;; [unrolled: 1-line block ×4, first 2 shown]
	s_waitcnt vmcnt(8)
	v_subrev_nc_u32_e32 v14, s12, v14
	s_delay_alu instid0(VALU_DEP_1) | instskip(NEXT) | instid1(VALU_DEP_1)
	v_lshlrev_b32_e32 v14, 2, v14
	v_ashrrev_i32_e32 v15, 31, v14
	s_delay_alu instid0(VALU_DEP_1) | instskip(SKIP_1) | instid1(VALU_DEP_1)
	v_lshlrev_b64 v[14:15], 4, v[14:15]
	s_waitcnt lgkmcnt(0)
	v_add_co_u32 v14, vcc_lo, s4, v14
	s_delay_alu instid0(VALU_DEP_2)
	v_add_co_ci_u32_e32 v15, vcc_lo, s5, v15, vcc_lo
	v_add_co_u32 v45, vcc_lo, 0x2000, v45
	s_clause 0x3
	global_load_b128 v[73:76], v[14:15], off
	global_load_b128 v[77:80], v[14:15], off offset:16
	global_load_b128 v[81:84], v[14:15], off offset:32
	;; [unrolled: 1-line block ×3, first 2 shown]
	v_add_co_ci_u32_e32 v46, vcc_lo, 0, v46, vcc_lo
	s_waitcnt vmcnt(3)
	v_fma_f64 v[14:15], v[53:54], v[73:74], v[39:40]
	v_fma_f64 v[35:36], v[73:74], 0, v[35:36]
	v_fma_f64 v[39:40], v[6:7], v[73:74], v[41:42]
	v_fma_f64 v[41:42], v[73:74], 0, v[43:44]
	v_fma_f64 v[37:38], v[69:70], v[73:74], v[37:38]
	v_fma_f64 v[33:34], v[73:74], 0, v[33:34]
	v_fma_f64 v[29:30], v[61:62], v[73:74], v[29:30]
	v_fma_f64 v[31:32], v[73:74], 0, v[31:32]
	v_fma_f64 v[14:15], 0x80000000, v[75:76], v[14:15]
	v_fma_f64 v[35:36], v[53:54], v[75:76], v[35:36]
	v_fma_f64 v[39:40], 0x80000000, v[75:76], v[39:40]
	v_fma_f64 v[6:7], v[6:7], v[75:76], v[41:42]
	v_fma_f64 v[37:38], 0x80000000, v[75:76], v[37:38]
	v_fma_f64 v[33:34], v[69:70], v[75:76], v[33:34]
	v_fma_f64 v[29:30], 0x80000000, v[75:76], v[29:30]
	v_fma_f64 v[31:32], v[61:62], v[75:76], v[31:32]
	s_waitcnt vmcnt(2)
	v_fma_f64 v[14:15], v[55:56], v[77:78], v[14:15]
	v_fma_f64 v[35:36], v[77:78], 0, v[35:36]
	v_fma_f64 v[39:40], v[8:9], v[77:78], v[39:40]
	v_fma_f64 v[6:7], v[77:78], 0, v[6:7]
	v_fma_f64 v[37:38], v[71:72], v[77:78], v[37:38]
	v_fma_f64 v[33:34], v[77:78], 0, v[33:34]
	v_fma_f64 v[29:30], v[63:64], v[77:78], v[29:30]
	v_fma_f64 v[31:32], v[77:78], 0, v[31:32]
	v_fma_f64 v[14:15], 0x80000000, v[79:80], v[14:15]
	v_fma_f64 v[35:36], v[55:56], v[79:80], v[35:36]
	v_fma_f64 v[39:40], 0x80000000, v[79:80], v[39:40]
	v_fma_f64 v[6:7], v[8:9], v[79:80], v[6:7]
	v_fma_f64 v[8:9], 0x80000000, v[79:80], v[37:38]
	v_fma_f64 v[33:34], v[71:72], v[79:80], v[33:34]
	v_fma_f64 v[29:30], 0x80000000, v[79:80], v[29:30]
	v_fma_f64 v[31:32], v[63:64], v[79:80], v[31:32]
	;; [unrolled: 17-line block ×4, first 2 shown]
	s_and_not1_b32 exec_lo, exec_lo, s10
	s_cbranch_execnz .LBB139_19
; %bb.20:
	s_or_b32 exec_lo, exec_lo, s10
.LBB139_21:
	s_delay_alu instid0(SALU_CYCLE_1) | instskip(NEXT) | instid1(SALU_CYCLE_1)
	s_or_b32 exec_lo, exec_lo, s7
	s_mov_b32 s7, exec_lo
	v_cmpx_lt_u32_e32 0xbf, v0
	s_cbranch_execz .LBB139_25
; %bb.22:
	s_mov_b32 s10, 0
.LBB139_23:                             ; =>This Inner Loop Header: Depth=1
	v_ashrrev_i32_e32 v48, 31, v47
	s_delay_alu instid0(VALU_DEP_1) | instskip(SKIP_1) | instid1(VALU_DEP_2)
	v_lshlrev_b64 v[0:1], 2, v[47:48]
	v_add_nc_u32_e32 v47, 0x100, v47
	v_add_co_u32 v48, vcc_lo, s8, v0
	s_delay_alu instid0(VALU_DEP_3)
	v_add_co_ci_u32_e32 v49, vcc_lo, s9, v1, vcc_lo
	global_load_b32 v26, v[48:49], off
	s_clause 0x3
	global_load_b128 v[0:3], v[45:46], off offset:32
	global_load_b128 v[12:15], v[45:46], off
	global_load_b128 v[4:7], v[45:46], off offset:96
	global_load_b128 v[8:11], v[45:46], off offset:64
	s_clause 0x2
	global_load_b32 v101, v[48:49], off offset:256
	global_load_b32 v111, v[48:49], off offset:512
	;; [unrolled: 1-line block ×3, first 2 shown]
	s_waitcnt vmcnt(7)
	v_subrev_nc_u32_e32 v26, s12, v26
	s_delay_alu instid0(VALU_DEP_1) | instskip(SKIP_2) | instid1(VALU_DEP_2)
	v_lshlrev_b32_e32 v48, 2, v26
	s_waitcnt vmcnt(2)
	v_subrev_nc_u32_e32 v26, s12, v101
	v_ashrrev_i32_e32 v49, 31, v48
	s_delay_alu instid0(VALU_DEP_2) | instskip(SKIP_2) | instid1(VALU_DEP_3)
	v_lshlrev_b32_e32 v101, 2, v26
	s_waitcnt vmcnt(1)
	v_subrev_nc_u32_e32 v26, s12, v111
	v_lshlrev_b64 v[48:49], 4, v[48:49]
	s_delay_alu instid0(VALU_DEP_3) | instskip(NEXT) | instid1(VALU_DEP_3)
	v_ashrrev_i32_e32 v102, 31, v101
	v_lshlrev_b32_e32 v111, 2, v26
	s_waitcnt vmcnt(0)
	v_subrev_nc_u32_e32 v26, s12, v113
	s_delay_alu instid0(VALU_DEP_3)
	v_lshlrev_b64 v[101:102], 4, v[101:102]
	s_waitcnt lgkmcnt(0)
	v_add_co_u32 v48, vcc_lo, s4, v48
	v_add_co_ci_u32_e32 v49, vcc_lo, s5, v49, vcc_lo
	v_ashrrev_i32_e32 v112, 31, v111
	s_clause 0x1
	global_load_b128 v[53:56], v[48:49], off
	global_load_b128 v[57:60], v[48:49], off offset:16
	s_clause 0x3
	global_load_b128 v[61:64], v[45:46], off offset:48
	global_load_b128 v[65:68], v[45:46], off offset:16
	;; [unrolled: 1-line block ×4, first 2 shown]
	s_clause 0x1
	global_load_b128 v[77:80], v[48:49], off offset:32
	global_load_b128 v[81:84], v[48:49], off offset:48
	v_add_co_u32 v48, vcc_lo, 0x2000, v45
	v_add_co_ci_u32_e32 v49, vcc_lo, 0, v46, vcc_lo
	v_add_co_u32 v105, vcc_lo, s4, v101
	v_add_co_ci_u32_e32 v106, vcc_lo, s5, v102, vcc_lo
	s_clause 0x3
	global_load_b128 v[85:88], v[48:49], off
	global_load_b128 v[89:92], v[48:49], off offset:32
	global_load_b128 v[93:96], v[48:49], off offset:96
	;; [unrolled: 1-line block ×3, first 2 shown]
	v_add_co_u32 v109, vcc_lo, 0x4000, v45
	global_load_b128 v[101:104], v[105:106], off
	v_add_co_ci_u32_e32 v110, vcc_lo, 0, v46, vcc_lo
	s_waitcnt vmcnt(12)
	v_fma_f64 v[35:36], v[53:54], 0, v[35:36]
	v_fma_f64 v[43:44], v[53:54], 0, v[43:44]
	;; [unrolled: 1-line block ×16, first 2 shown]
	global_load_b128 v[29:32], v[105:106], off offset:16
	s_waitcnt vmcnt(12)
	v_fma_f64 v[12:13], v[57:58], 0, v[12:13]
	v_fma_f64 v[0:1], v[57:58], 0, v[0:1]
	;; [unrolled: 1-line block ×16, first 2 shown]
	s_clause 0x3
	global_load_b128 v[0:3], v[48:49], off offset:48
	global_load_b128 v[4:7], v[48:49], off offset:112
	;; [unrolled: 1-line block ×5, first 2 shown]
	s_waitcnt vmcnt(12)
	v_fma_f64 v[41:42], v[77:78], 0, v[41:42]
	v_fma_f64 v[43:44], v[77:78], 0, v[43:44]
	;; [unrolled: 1-line block ×16, first 2 shown]
	global_load_b128 v[37:40], v[105:106], off offset:48
	s_waitcnt vmcnt(12)
	v_fma_f64 v[65:66], v[81:82], 0, v[41:42]
	v_fma_f64 v[69:70], v[81:82], 0, v[43:44]
	;; [unrolled: 1-line block ×8, first 2 shown]
	s_clause 0x3
	global_load_b128 v[41:44], v[109:110], off
	global_load_b128 v[53:56], v[109:110], off offset:32
	global_load_b128 v[57:60], v[109:110], off offset:96
	;; [unrolled: 1-line block ×3, first 2 shown]
	v_fma_f64 v[65:66], v[67:68], v[83:84], v[65:66]
	v_fma_f64 v[67:68], v[63:64], v[83:84], v[69:70]
	;; [unrolled: 1-line block ×8, first 2 shown]
	v_lshlrev_b64 v[61:62], 4, v[111:112]
	v_lshlrev_b32_e32 v111, 2, v26
	s_delay_alu instid0(VALU_DEP_2) | instskip(NEXT) | instid1(VALU_DEP_3)
	v_add_co_u32 v107, vcc_lo, s4, v61
	v_add_co_ci_u32_e32 v108, vcc_lo, s5, v62, vcc_lo
	s_delay_alu instid0(VALU_DEP_3)
	v_ashrrev_i32_e32 v112, 31, v111
	global_load_b128 v[61:64], v[107:108], off
	s_waitcnt vmcnt(12)
	v_fma_f64 v[65:66], v[101:102], 0, v[65:66]
	v_fma_f64 v[67:68], v[101:102], 0, v[67:68]
	;; [unrolled: 1-line block ×10, first 2 shown]
	global_load_b128 v[65:68], v[107:108], off offset:16
	v_fma_f64 v[48:49], 0x80000000, v[103:104], v[48:49]
	v_fma_f64 v[69:70], 0x80000000, v[103:104], v[69:70]
	;; [unrolled: 1-line block ×6, first 2 shown]
	s_waitcnt vmcnt(12)
	v_fma_f64 v[83:84], v[29:30], 0, v[83:84]
	v_fma_f64 v[85:86], v[29:30], 0, v[85:86]
	;; [unrolled: 1-line block ×16, first 2 shown]
	s_clause 0x3
	global_load_b128 v[29:32], v[109:110], off offset:48
	global_load_b128 v[69:72], v[109:110], off offset:112
	;; [unrolled: 1-line block ×5, first 2 shown]
	s_waitcnt vmcnt(12)
	v_fma_f64 v[89:90], v[33:34], 0, v[89:90]
	v_fma_f64 v[91:92], v[33:34], 0, v[91:92]
	;; [unrolled: 1-line block ×16, first 2 shown]
	global_load_b128 v[33:36], v[107:108], off offset:48
	s_waitcnt vmcnt(12)
	v_fma_f64 v[12:13], v[37:38], 0, v[12:13]
	v_fma_f64 v[0:1], v[37:38], 0, v[0:1]
	;; [unrolled: 1-line block ×8, first 2 shown]
	v_add_co_u32 v37, vcc_lo, 0x6000, v45
	v_add_co_ci_u32_e32 v38, vcc_lo, 0, v46, vcc_lo
	s_clause 0x3
	global_load_b128 v[89:92], v[37:38], off
	global_load_b128 v[93:96], v[37:38], off offset:32
	global_load_b128 v[97:100], v[37:38], off offset:96
	;; [unrolled: 1-line block ×3, first 2 shown]
	v_add_co_u32 v45, s1, 0x8000, v45
	s_delay_alu instid0(VALU_DEP_1)
	v_add_co_ci_u32_e64 v46, s1, 0, v46, s1
	v_fma_f64 v[12:13], v[14:15], v[39:40], v[12:13]
	v_fma_f64 v[14:15], v[2:3], v[39:40], v[0:1]
	v_lshlrev_b64 v[0:1], 4, v[111:112]
	v_fma_f64 v[48:49], 0x80000000, v[39:40], v[48:49]
	v_fma_f64 v[105:106], 0x80000000, v[39:40], v[105:106]
	v_fma_f64 v[107:108], 0x80000000, v[39:40], v[107:108]
	v_fma_f64 v[8:9], v[10:11], v[39:40], v[8:9]
	v_fma_f64 v[10:11], 0x80000000, v[39:40], v[109:110]
	v_fma_f64 v[4:5], v[6:7], v[39:40], v[4:5]
	v_add_co_u32 v109, vcc_lo, s4, v0
	v_add_co_ci_u32_e32 v110, vcc_lo, s5, v1, vcc_lo
	v_cmp_ge_i32_e32 vcc_lo, v47, v51
	global_load_b128 v[0:3], v[109:110], off
	s_or_b32 s10, vcc_lo, s10
	s_waitcnt vmcnt(12)
	v_fma_f64 v[12:13], v[61:62], 0, v[12:13]
	v_fma_f64 v[14:15], v[61:62], 0, v[14:15]
	;; [unrolled: 1-line block ×16, first 2 shown]
	global_load_b128 v[4:7], v[109:110], off offset:16
	s_waitcnt vmcnt(12)
	v_fma_f64 v[12:13], v[65:66], 0, v[12:13]
	v_fma_f64 v[14:15], v[65:66], 0, v[14:15]
	v_fma_f64 v[53:54], v[43:44], v[65:66], v[61:62]
	v_fma_f64 v[39:40], v[55:56], v[65:66], v[39:40]
	v_fma_f64 v[41:42], v[79:80], v[65:66], v[41:42]
	v_fma_f64 v[8:9], v[65:66], 0, v[8:9]
	v_fma_f64 v[10:11], v[59:60], v[65:66], v[10:11]
	v_fma_f64 v[48:49], v[65:66], 0, v[48:49]
	v_fma_f64 v[43:44], v[43:44], v[67:68], v[12:13]
	v_fma_f64 v[65:66], v[55:56], v[67:68], v[14:15]
	v_fma_f64 v[61:62], 0x80000000, v[67:68], v[53:54]
	v_fma_f64 v[63:64], 0x80000000, v[67:68], v[39:40]
	v_fma_f64 v[77:78], 0x80000000, v[67:68], v[41:42]
	v_fma_f64 v[79:80], v[79:80], v[67:68], v[8:9]
	v_fma_f64 v[105:106], 0x80000000, v[67:68], v[10:11]
	v_fma_f64 v[48:49], v[59:60], v[67:68], v[48:49]
	s_clause 0x3
	global_load_b128 v[8:11], v[37:38], off offset:48
	global_load_b128 v[12:15], v[37:38], off offset:112
	;; [unrolled: 1-line block ×5, first 2 shown]
	s_waitcnt vmcnt(12)
	v_fma_f64 v[43:44], v[85:86], 0, v[43:44]
	v_fma_f64 v[37:38], v[81:82], v[85:86], v[61:62]
	;; [unrolled: 1-line block ×16, first 2 shown]
	global_load_b128 v[61:64], v[109:110], off offset:48
	s_waitcnt vmcnt(12)
	v_fma_f64 v[43:44], v[33:34], 0, v[43:44]
	v_fma_f64 v[37:38], v[83:84], v[33:34], v[37:38]
	v_fma_f64 v[69:70], v[31:32], v[33:34], v[79:80]
	v_fma_f64 v[29:30], v[33:34], 0, v[29:30]
	v_fma_f64 v[65:66], v[75:76], v[33:34], v[65:66]
	v_fma_f64 v[67:68], v[33:34], 0, v[67:68]
	v_fma_f64 v[73:74], v[71:72], v[33:34], v[73:74]
	v_fma_f64 v[33:34], v[33:34], 0, v[48:49]
	v_fma_f64 v[43:44], v[83:84], v[35:36], v[43:44]
	v_fma_f64 v[37:38], 0x80000000, v[35:36], v[37:38]
	v_fma_f64 v[48:49], 0x80000000, v[35:36], v[69:70]
	v_fma_f64 v[29:30], v[31:32], v[35:36], v[29:30]
	v_fma_f64 v[31:32], 0x80000000, v[35:36], v[65:66]
	v_fma_f64 v[65:66], v[75:76], v[35:36], v[67:68]
	v_fma_f64 v[67:68], 0x80000000, v[35:36], v[73:74]
	v_fma_f64 v[33:34], v[71:72], v[35:36], v[33:34]
	s_waitcnt vmcnt(7)
	v_fma_f64 v[35:36], v[89:90], v[0:1], v[37:38]
	v_fma_f64 v[37:38], v[0:1], 0, v[43:44]
	v_fma_f64 v[43:44], v[93:94], v[0:1], v[48:49]
	v_fma_f64 v[29:30], v[0:1], 0, v[29:30]
	v_fma_f64 v[31:32], v[101:102], v[0:1], v[31:32]
	v_fma_f64 v[48:49], v[0:1], 0, v[65:66]
	v_fma_f64 v[65:66], v[97:98], v[0:1], v[67:68]
	v_fma_f64 v[0:1], v[0:1], 0, v[33:34]
	v_fma_f64 v[33:34], 0x80000000, v[2:3], v[35:36]
	v_fma_f64 v[35:36], v[89:90], v[2:3], v[37:38]
	v_fma_f64 v[37:38], 0x80000000, v[2:3], v[43:44]
	v_fma_f64 v[29:30], v[93:94], v[2:3], v[29:30]
	v_fma_f64 v[31:32], 0x80000000, v[2:3], v[31:32]
	v_fma_f64 v[43:44], v[101:102], v[2:3], v[48:49]
	v_fma_f64 v[48:49], 0x80000000, v[2:3], v[65:66]
	v_fma_f64 v[0:1], v[97:98], v[2:3], v[0:1]
	;; [unrolled: 17-line block ×5, first 2 shown]
	s_and_not1_b32 exec_lo, exec_lo, s10
	s_cbranch_execnz .LBB139_23
; %bb.24:
	s_or_b32 exec_lo, exec_lo, s10
.LBB139_25:
	s_delay_alu instid0(SALU_CYCLE_1)
	s_or_b32 exec_lo, exec_lo, s7
.LBB139_26:
	s_delay_alu instid0(SALU_CYCLE_1)
	s_or_b32 exec_lo, exec_lo, s6
	s_cbranch_execz .LBB139_28
	s_branch .LBB139_39
.LBB139_27:
                                        ; implicit-def: $vgpr35_vgpr36
                                        ; implicit-def: $vgpr39_vgpr40
                                        ; implicit-def: $vgpr43_vgpr44
                                        ; implicit-def: $vgpr41_vgpr42
                                        ; implicit-def: $vgpr33_vgpr34
                                        ; implicit-def: $vgpr37_vgpr38
                                        ; implicit-def: $vgpr31_vgpr32
                                        ; implicit-def: $vgpr29_vgpr30
.LBB139_28:
	v_mov_b32_e32 v35, 0
	v_mov_b32_e32 v36, 0
	s_delay_alu instid0(VALU_DEP_2) | instskip(SKIP_1) | instid1(VALU_DEP_3)
	v_mov_b32_e32 v33, v35
	v_mov_b32_e32 v31, v35
	v_dual_mov_b32 v29, v35 :: v_dual_mov_b32 v30, v36
	v_dual_mov_b32 v40, v36 :: v_dual_mov_b32 v39, v35
	;; [unrolled: 1-line block ×4, first 2 shown]
	v_mov_b32_e32 v34, v36
	v_dual_mov_b32 v38, v36 :: v_dual_mov_b32 v37, v35
	v_mov_b32_e32 v32, v36
	s_and_saveexec_b32 s1, s0
	s_cbranch_execz .LBB139_38
; %bb.29:
	v_dual_mov_b32 v29, 0 :: v_dual_add_nc_u32 v0, v52, v50
	v_mov_b32_e32 v30, 0
	v_not_b32_e32 v1, v52
	s_mov_b32 s7, 0
	s_delay_alu instid0(VALU_DEP_3) | instskip(SKIP_2) | instid1(VALU_DEP_2)
	v_subrev_nc_u32_e32 v0, s12, v0
	s_mov_b32 s6, exec_lo
	v_dual_mov_b32 v32, v30 :: v_dual_mov_b32 v31, v29
	v_add_nc_u32_e32 v0, 64, v0
	s_delay_alu instid0(VALU_DEP_1) | instskip(NEXT) | instid1(VALU_DEP_1)
	v_max_i32_e32 v0, v0, v51
	v_add3_u32 v0, v0, s12, v1
	s_delay_alu instid0(VALU_DEP_1) | instskip(NEXT) | instid1(VALU_DEP_1)
	v_sub_nc_u32_e32 v0, v0, v50
	v_lshrrev_b32_e32 v1, 6, v0
	s_delay_alu instid0(VALU_DEP_1) | instskip(SKIP_2) | instid1(VALU_DEP_3)
	v_dual_mov_b32 v38, v30 :: v_dual_add_nc_u32 v1, 1, v1
	v_dual_mov_b32 v37, v29 :: v_dual_mov_b32 v34, v30
	v_mov_b32_e32 v33, v29
	v_dual_mov_b32 v42, v30 :: v_dual_and_b32 v1, 3, v1
	v_dual_mov_b32 v41, v29 :: v_dual_mov_b32 v44, v30
	v_dual_mov_b32 v43, v29 :: v_dual_mov_b32 v40, v30
	;; [unrolled: 1-line block ×3, first 2 shown]
	v_mov_b32_e32 v35, v29
	v_cmpx_ne_u32_e32 0, v1
	s_cbranch_execz .LBB139_33
; %bb.30:
	v_mov_b32_e32 v35, 0
	v_dual_mov_b32 v36, 0 :: v_dual_lshlrev_b32 v1, 7, v1
	s_delay_alu instid0(VALU_DEP_2) | instskip(SKIP_1) | instid1(VALU_DEP_3)
	v_mov_b32_e32 v33, v35
	v_mov_b32_e32 v31, v35
	v_dual_mov_b32 v29, v35 :: v_dual_mov_b32 v30, v36
	v_dual_mov_b32 v40, v36 :: v_dual_mov_b32 v39, v35
	;; [unrolled: 1-line block ×4, first 2 shown]
	v_mov_b32_e32 v34, v36
	v_dual_mov_b32 v38, v36 :: v_dual_mov_b32 v37, v35
	v_mov_b32_e32 v32, v36
.LBB139_31:                             ; =>This Inner Loop Header: Depth=1
	v_ashrrev_i32_e32 v26, 31, v25
	v_add_nc_u32_e32 v1, 0xffffff80, v1
	s_delay_alu instid0(VALU_DEP_2) | instskip(NEXT) | instid1(VALU_DEP_2)
	v_lshlrev_b64 v[2:3], 2, v[25:26]
	v_cmp_eq_u32_e64 s0, 0, v1
	v_add_nc_u32_e32 v25, 64, v25
	s_delay_alu instid0(VALU_DEP_2) | instskip(NEXT) | instid1(VALU_DEP_3)
	s_or_b32 s7, s0, s7
	v_add_co_u32 v2, vcc_lo, s8, v2
	s_delay_alu instid0(VALU_DEP_4)
	v_add_co_ci_u32_e32 v3, vcc_lo, s9, v3, vcc_lo
	global_load_b32 v10, v[2:3], off
	s_clause 0x1
	global_load_b128 v[2:5], v[27:28], off offset:16
	global_load_b128 v[6:9], v[27:28], off
	s_waitcnt vmcnt(2)
	v_subrev_nc_u32_e32 v10, s12, v10
	s_delay_alu instid0(VALU_DEP_1) | instskip(NEXT) | instid1(VALU_DEP_1)
	v_lshlrev_b32_e32 v10, 2, v10
	v_ashrrev_i32_e32 v11, 31, v10
	s_delay_alu instid0(VALU_DEP_1) | instskip(SKIP_1) | instid1(VALU_DEP_1)
	v_lshlrev_b64 v[10:11], 4, v[10:11]
	s_waitcnt lgkmcnt(0)
	v_add_co_u32 v14, vcc_lo, s4, v10
	s_delay_alu instid0(VALU_DEP_2)
	v_add_co_ci_u32_e32 v15, vcc_lo, s5, v11, vcc_lo
	s_clause 0x1
	global_load_b128 v[10:13], v[14:15], off
	global_load_b128 v[45:48], v[14:15], off offset:16
	s_clause 0x3
	global_load_b128 v[52:55], v[27:28], off offset:32
	global_load_b128 v[56:59], v[27:28], off offset:48
	global_load_b128 v[60:63], v[27:28], off offset:80
	global_load_b128 v[64:67], v[27:28], off offset:64
	s_clause 0x1
	global_load_b128 v[68:71], v[14:15], off offset:32
	global_load_b128 v[72:75], v[14:15], off offset:48
	s_clause 0x1
	global_load_b128 v[76:79], v[27:28], off offset:96
	global_load_b128 v[80:83], v[27:28], off offset:112
	v_add_co_u32 v27, vcc_lo, 0x2000, v27
	v_add_co_ci_u32_e32 v28, vcc_lo, 0, v28, vcc_lo
	s_waitcnt vmcnt(9)
	v_fma_f64 v[14:15], v[6:7], v[10:11], v[39:40]
	v_fma_f64 v[35:36], v[10:11], 0, v[35:36]
	;; [unrolled: 1-line block ×16, first 2 shown]
	s_waitcnt vmcnt(7)
	v_fma_f64 v[10:11], v[52:53], v[45:46], v[14:15]
	v_fma_f64 v[6:7], v[45:46], 0, v[6:7]
	;; [unrolled: 1-line block ×4, first 2 shown]
	s_waitcnt vmcnt(6)
	v_fma_f64 v[14:15], v[56:57], v[45:46], v[35:36]
	v_fma_f64 v[2:3], v[45:46], 0, v[2:3]
	v_fma_f64 v[29:30], v[58:59], v[45:46], v[29:30]
	v_fma_f64 v[4:5], v[45:46], 0, v[4:5]
	v_fma_f64 v[10:11], 0x80000000, v[47:48], v[10:11]
	v_fma_f64 v[6:7], v[52:53], v[47:48], v[6:7]
	v_fma_f64 v[12:13], 0x80000000, v[47:48], v[12:13]
	v_fma_f64 v[8:9], v[54:55], v[47:48], v[8:9]
	v_fma_f64 v[14:15], 0x80000000, v[47:48], v[14:15]
	v_fma_f64 v[2:3], v[56:57], v[47:48], v[2:3]
	v_fma_f64 v[29:30], 0x80000000, v[47:48], v[29:30]
	v_fma_f64 v[4:5], v[58:59], v[47:48], v[4:5]
	s_waitcnt vmcnt(3)
	v_fma_f64 v[10:11], v[64:65], v[68:69], v[10:11]
	v_fma_f64 v[6:7], v[68:69], 0, v[6:7]
	;; [unrolled: 1-line block ×16, first 2 shown]
	s_waitcnt vmcnt(1)
	v_fma_f64 v[10:11], v[76:77], v[72:73], v[10:11]
	v_fma_f64 v[6:7], v[72:73], 0, v[6:7]
	;; [unrolled: 1-line block ×4, first 2 shown]
	s_waitcnt vmcnt(0)
	v_fma_f64 v[14:15], v[80:81], v[72:73], v[14:15]
	v_fma_f64 v[2:3], v[72:73], 0, v[2:3]
	;; [unrolled: 1-line block ×12, first 2 shown]
	s_and_not1_b32 exec_lo, exec_lo, s7
	s_cbranch_execnz .LBB139_31
; %bb.32:
	s_or_b32 exec_lo, exec_lo, s7
.LBB139_33:
	s_delay_alu instid0(SALU_CYCLE_1) | instskip(NEXT) | instid1(SALU_CYCLE_1)
	s_or_b32 exec_lo, exec_lo, s6
	s_mov_b32 s6, exec_lo
	v_cmpx_lt_u32_e32 0xbf, v0
	s_cbranch_execz .LBB139_37
; %bb.34:
	s_mov_b32 s7, 0
.LBB139_35:                             ; =>This Inner Loop Header: Depth=1
	v_ashrrev_i32_e32 v26, 31, v25
	s_delay_alu instid0(VALU_DEP_1) | instskip(SKIP_1) | instid1(VALU_DEP_2)
	v_lshlrev_b64 v[0:1], 2, v[25:26]
	v_add_nc_u32_e32 v25, 0x100, v25
	v_add_co_u32 v8, vcc_lo, s8, v0
	s_delay_alu instid0(VALU_DEP_3)
	v_add_co_ci_u32_e32 v9, vcc_lo, s9, v1, vcc_lo
	global_load_b32 v10, v[8:9], off
	s_clause 0x1
	global_load_b128 v[0:3], v[27:28], off offset:16
	global_load_b128 v[4:7], v[27:28], off
	s_clause 0x2
	global_load_b32 v26, v[8:9], off offset:256
	global_load_b32 v49, v[8:9], off offset:512
	;; [unrolled: 1-line block ×3, first 2 shown]
	s_waitcnt vmcnt(5)
	v_subrev_nc_u32_e32 v8, s12, v10
	s_waitcnt vmcnt(2)
	v_subrev_nc_u32_e32 v26, s12, v26
	s_delay_alu instid0(VALU_DEP_2) | instskip(NEXT) | instid1(VALU_DEP_2)
	v_lshlrev_b32_e32 v8, 2, v8
	v_lshlrev_b32_e32 v88, 2, v26
	s_waitcnt vmcnt(1)
	v_subrev_nc_u32_e32 v26, s12, v49
	s_delay_alu instid0(VALU_DEP_3) | instskip(NEXT) | instid1(VALU_DEP_3)
	v_ashrrev_i32_e32 v9, 31, v8
	v_ashrrev_i32_e32 v89, 31, v88
	s_delay_alu instid0(VALU_DEP_3) | instskip(NEXT) | instid1(VALU_DEP_3)
	v_lshlrev_b32_e32 v100, 2, v26
	v_lshlrev_b64 v[8:9], 4, v[8:9]
	s_waitcnt vmcnt(0)
	v_subrev_nc_u32_e32 v26, s12, v102
	v_lshlrev_b64 v[88:89], 4, v[88:89]
	v_ashrrev_i32_e32 v101, 31, v100
	s_waitcnt lgkmcnt(0)
	v_add_co_u32 v76, vcc_lo, s4, v8
	v_add_co_ci_u32_e32 v77, vcc_lo, s5, v9, vcc_lo
	v_add_co_u32 v92, vcc_lo, 0x2000, v27
	v_add_co_ci_u32_e32 v93, vcc_lo, 0, v28, vcc_lo
	global_load_b128 v[8:11], v[76:77], off
	s_clause 0x1
	global_load_b128 v[12:15], v[27:28], off offset:32
	global_load_b128 v[45:48], v[27:28], off offset:48
	global_load_b128 v[52:55], v[76:77], off offset:16
	s_clause 0x1
	global_load_b128 v[56:59], v[27:28], off offset:80
	global_load_b128 v[60:63], v[27:28], off offset:64
	global_load_b128 v[64:67], v[76:77], off offset:32
	;; [unrolled: 4-line block ×3, first 2 shown]
	v_add_co_u32 v94, vcc_lo, s4, v88
	v_add_co_ci_u32_e32 v95, vcc_lo, s5, v89, vcc_lo
	s_clause 0x1
	global_load_b128 v[80:83], v[92:93], off
	global_load_b128 v[84:87], v[92:93], off offset:16
	global_load_b128 v[88:91], v[94:95], off
	s_waitcnt vmcnt(12)
	v_fma_f64 v[35:36], v[8:9], 0, v[35:36]
	v_fma_f64 v[43:44], v[8:9], 0, v[43:44]
	;; [unrolled: 1-line block ×16, first 2 shown]
	s_clause 0x1
	global_load_b128 v[0:3], v[92:93], off offset:32
	global_load_b128 v[4:7], v[92:93], off offset:48
	;; [unrolled: 1-line block ×3, first 2 shown]
	s_waitcnt vmcnt(12)
	v_fma_f64 v[31:32], v[52:53], 0, v[31:32]
	v_fma_f64 v[35:36], v[52:53], 0, v[35:36]
	;; [unrolled: 1-line block ×16, first 2 shown]
	s_clause 0x1
	global_load_b128 v[12:15], v[92:93], off offset:80
	global_load_b128 v[29:32], v[92:93], off offset:64
	;; [unrolled: 1-line block ×3, first 2 shown]
	s_waitcnt vmcnt(12)
	v_fma_f64 v[47:48], v[64:65], 0, v[52:53]
	v_fma_f64 v[52:53], v[64:65], 0, v[96:97]
	;; [unrolled: 1-line block ×8, first 2 shown]
	v_add_co_u32 v98, vcc_lo, 0x4000, v27
	v_add_co_ci_u32_e32 v99, vcc_lo, 0, v28, vcc_lo
	v_fma_f64 v[60:61], v[60:61], v[66:67], v[47:48]
	v_fma_f64 v[52:53], v[62:63], v[66:67], v[52:53]
	;; [unrolled: 1-line block ×8, first 2 shown]
	s_clause 0x1
	global_load_b128 v[37:40], v[92:93], off offset:96
	global_load_b128 v[41:44], v[92:93], off offset:112
	;; [unrolled: 1-line block ×3, first 2 shown]
	s_waitcnt vmcnt(12)
	v_fma_f64 v[60:61], v[76:77], 0, v[60:61]
	v_fma_f64 v[66:67], v[76:77], 0, v[52:53]
	;; [unrolled: 1-line block ×8, first 2 shown]
	s_clause 0x1
	global_load_b128 v[52:55], v[98:99], off
	global_load_b128 v[56:59], v[98:99], off offset:16
	v_fma_f64 v[68:69], v[68:69], v[78:79], v[60:61]
	v_fma_f64 v[66:67], v[70:71], v[78:79], v[66:67]
	;; [unrolled: 1-line block ×8, first 2 shown]
	v_lshlrev_b64 v[60:61], 4, v[100:101]
	v_lshlrev_b32_e32 v100, 2, v26
	s_delay_alu instid0(VALU_DEP_2) | instskip(NEXT) | instid1(VALU_DEP_3)
	v_add_co_u32 v76, vcc_lo, s4, v60
	v_add_co_ci_u32_e32 v77, vcc_lo, s5, v61, vcc_lo
	s_delay_alu instid0(VALU_DEP_3)
	v_ashrrev_i32_e32 v101, 31, v100
	global_load_b128 v[60:63], v[76:77], off
	s_waitcnt vmcnt(12)
	v_fma_f64 v[68:69], v[88:89], 0, v[68:69]
	v_fma_f64 v[66:67], v[88:89], 0, v[66:67]
	v_fma_f64 v[70:71], v[80:81], v[88:89], v[70:71]
	v_fma_f64 v[64:65], v[82:83], v[88:89], v[64:65]
	v_fma_f64 v[78:79], v[84:85], v[88:89], v[92:93]
	v_fma_f64 v[72:73], v[88:89], 0, v[72:73]
	v_fma_f64 v[92:93], v[86:87], v[88:89], v[94:95]
	v_fma_f64 v[74:75], v[88:89], 0, v[74:75]
	v_fma_f64 v[80:81], v[80:81], v[90:91], v[68:69]
	v_fma_f64 v[82:83], v[82:83], v[90:91], v[66:67]
	v_fma_f64 v[88:89], 0x80000000, v[90:91], v[70:71]
	v_fma_f64 v[94:95], 0x80000000, v[90:91], v[64:65]
	v_fma_f64 v[78:79], 0x80000000, v[90:91], v[78:79]
	v_fma_f64 v[84:85], v[84:85], v[90:91], v[72:73]
	v_fma_f64 v[92:93], 0x80000000, v[90:91], v[92:93]
	v_fma_f64 v[86:87], v[86:87], v[90:91], v[74:75]
	s_clause 0x1
	global_load_b128 v[64:67], v[98:99], off offset:32
	global_load_b128 v[68:71], v[98:99], off offset:48
	global_load_b128 v[72:75], v[76:77], off offset:16
	s_waitcnt vmcnt(12)
	v_fma_f64 v[80:81], v[8:9], 0, v[80:81]
	v_fma_f64 v[82:83], v[8:9], 0, v[82:83]
	v_fma_f64 v[88:89], v[0:1], v[8:9], v[88:89]
	v_fma_f64 v[90:91], v[2:3], v[8:9], v[94:95]
	v_fma_f64 v[78:79], v[4:5], v[8:9], v[78:79]
	v_fma_f64 v[84:85], v[8:9], 0, v[84:85]
	v_fma_f64 v[92:93], v[6:7], v[8:9], v[92:93]
	v_fma_f64 v[8:9], v[8:9], 0, v[86:87]
	v_fma_f64 v[80:81], v[0:1], v[10:11], v[80:81]
	v_fma_f64 v[82:83], v[2:3], v[10:11], v[82:83]
	v_fma_f64 v[86:87], 0x80000000, v[10:11], v[88:89]
	v_fma_f64 v[88:89], 0x80000000, v[10:11], v[90:91]
	v_fma_f64 v[78:79], 0x80000000, v[10:11], v[78:79]
	v_fma_f64 v[84:85], v[4:5], v[10:11], v[84:85]
	v_fma_f64 v[90:91], 0x80000000, v[10:11], v[92:93]
	v_fma_f64 v[92:93], v[6:7], v[10:11], v[8:9]
	s_clause 0x1
	global_load_b128 v[0:3], v[98:99], off offset:80
	global_load_b128 v[4:7], v[98:99], off offset:64
	global_load_b128 v[8:11], v[76:77], off offset:32
	;; [unrolled: 21-line block ×3, first 2 shown]
	s_waitcnt vmcnt(12)
	v_fma_f64 v[94:95], v[45:46], 0, v[80:81]
	v_fma_f64 v[96:97], v[45:46], 0, v[82:83]
	;; [unrolled: 1-line block ×8, first 2 shown]
	v_add_co_u32 v92, vcc_lo, 0x6000, v27
	v_add_co_ci_u32_e32 v93, vcc_lo, 0, v28, vcc_lo
	s_clause 0x1
	global_load_b128 v[76:79], v[92:93], off
	global_load_b128 v[80:83], v[92:93], off offset:16
	v_add_co_u32 v27, s0, 0x8000, v27
	s_delay_alu instid0(VALU_DEP_1)
	v_add_co_ci_u32_e64 v28, s0, 0, v28, s0
	v_fma_f64 v[94:95], v[37:38], v[47:48], v[94:95]
	v_fma_f64 v[96:97], v[39:40], v[47:48], v[96:97]
	;; [unrolled: 1-line block ×8, first 2 shown]
	v_lshlrev_b64 v[37:38], 4, v[100:101]
	s_delay_alu instid0(VALU_DEP_1) | instskip(NEXT) | instid1(VALU_DEP_2)
	v_add_co_u32 v90, vcc_lo, s4, v37
	v_add_co_ci_u32_e32 v91, vcc_lo, s5, v38, vcc_lo
	v_cmp_ge_i32_e32 vcc_lo, v25, v51
	global_load_b128 v[37:40], v[90:91], off
	s_or_b32 s7, vcc_lo, s7
	s_waitcnt vmcnt(12)
	v_fma_f64 v[47:48], v[60:61], 0, v[94:95]
	v_fma_f64 v[45:46], v[52:53], v[60:61], v[86:87]
	v_fma_f64 v[86:87], v[54:55], v[60:61], v[88:89]
	v_fma_f64 v[88:89], v[60:61], 0, v[96:97]
	v_fma_f64 v[94:95], v[56:57], v[60:61], v[98:99]
	v_fma_f64 v[41:42], v[60:61], 0, v[41:42]
	v_fma_f64 v[84:85], v[58:59], v[60:61], v[84:85]
	v_fma_f64 v[43:44], v[60:61], 0, v[43:44]
	v_fma_f64 v[96:97], v[52:53], v[62:63], v[47:48]
	v_fma_f64 v[60:61], 0x80000000, v[62:63], v[45:46]
	v_fma_f64 v[86:87], 0x80000000, v[62:63], v[86:87]
	v_fma_f64 v[88:89], v[54:55], v[62:63], v[88:89]
	v_fma_f64 v[94:95], 0x80000000, v[62:63], v[94:95]
	v_fma_f64 v[56:57], v[56:57], v[62:63], v[41:42]
	v_fma_f64 v[84:85], 0x80000000, v[62:63], v[84:85]
	v_fma_f64 v[58:59], v[58:59], v[62:63], v[43:44]
	s_clause 0x1
	global_load_b128 v[41:44], v[92:93], off offset:32
	global_load_b128 v[45:48], v[92:93], off offset:48
	global_load_b128 v[52:55], v[90:91], off offset:16
	s_waitcnt vmcnt(12)
	v_fma_f64 v[62:63], v[72:73], 0, v[96:97]
	v_fma_f64 v[60:61], v[64:65], v[72:73], v[60:61]
	v_fma_f64 v[86:87], v[66:67], v[72:73], v[86:87]
	v_fma_f64 v[88:89], v[72:73], 0, v[88:89]
	v_fma_f64 v[94:95], v[68:69], v[72:73], v[94:95]
	v_fma_f64 v[56:57], v[72:73], 0, v[56:57]
	v_fma_f64 v[84:85], v[70:71], v[72:73], v[84:85]
	v_fma_f64 v[58:59], v[72:73], 0, v[58:59]
	v_fma_f64 v[96:97], v[64:65], v[74:75], v[62:63]
	v_fma_f64 v[72:73], 0x80000000, v[74:75], v[60:61]
	v_fma_f64 v[86:87], 0x80000000, v[74:75], v[86:87]
	v_fma_f64 v[88:89], v[66:67], v[74:75], v[88:89]
	v_fma_f64 v[94:95], 0x80000000, v[74:75], v[94:95]
	v_fma_f64 v[68:69], v[68:69], v[74:75], v[56:57]
	v_fma_f64 v[84:85], 0x80000000, v[74:75], v[84:85]
	v_fma_f64 v[70:71], v[70:71], v[74:75], v[58:59]
	s_clause 0x1
	global_load_b128 v[56:59], v[92:93], off offset:80
	global_load_b128 v[60:63], v[92:93], off offset:64
	global_load_b128 v[64:67], v[90:91], off offset:32
	;; [unrolled: 21-line block ×3, first 2 shown]
	s_waitcnt vmcnt(12)
	v_fma_f64 v[70:71], v[12:13], v[33:34], v[70:71]
	v_fma_f64 v[72:73], v[33:34], 0, v[72:73]
	v_fma_f64 v[74:75], v[14:15], v[33:34], v[74:75]
	v_fma_f64 v[86:87], v[33:34], 0, v[86:87]
	v_fma_f64 v[88:89], v[29:30], v[33:34], v[88:89]
	v_fma_f64 v[68:69], v[33:34], 0, v[68:69]
	v_fma_f64 v[84:85], v[31:32], v[33:34], v[84:85]
	v_fma_f64 v[33:34], v[33:34], 0, v[94:95]
	v_fma_f64 v[70:71], 0x80000000, v[35:36], v[70:71]
	v_fma_f64 v[12:13], v[12:13], v[35:36], v[72:73]
	v_fma_f64 v[72:73], 0x80000000, v[35:36], v[74:75]
	v_fma_f64 v[14:15], v[14:15], v[35:36], v[86:87]
	v_fma_f64 v[74:75], 0x80000000, v[35:36], v[88:89]
	v_fma_f64 v[29:30], v[29:30], v[35:36], v[68:69]
	v_fma_f64 v[68:69], 0x80000000, v[35:36], v[84:85]
	v_fma_f64 v[31:32], v[31:32], v[35:36], v[33:34]
	s_waitcnt vmcnt(9)
	v_fma_f64 v[33:34], v[76:77], v[37:38], v[70:71]
	v_fma_f64 v[12:13], v[37:38], 0, v[12:13]
	v_fma_f64 v[35:36], v[78:79], v[37:38], v[72:73]
	v_fma_f64 v[14:15], v[37:38], 0, v[14:15]
	v_fma_f64 v[70:71], v[80:81], v[37:38], v[74:75]
	v_fma_f64 v[29:30], v[37:38], 0, v[29:30]
	v_fma_f64 v[68:69], v[82:83], v[37:38], v[68:69]
	v_fma_f64 v[31:32], v[37:38], 0, v[31:32]
	v_fma_f64 v[33:34], 0x80000000, v[39:40], v[33:34]
	v_fma_f64 v[12:13], v[76:77], v[39:40], v[12:13]
	v_fma_f64 v[35:36], 0x80000000, v[39:40], v[35:36]
	v_fma_f64 v[14:15], v[78:79], v[39:40], v[14:15]
	v_fma_f64 v[37:38], 0x80000000, v[39:40], v[70:71]
	v_fma_f64 v[29:30], v[80:81], v[39:40], v[29:30]
	v_fma_f64 v[68:69], 0x80000000, v[39:40], v[68:69]
	v_fma_f64 v[31:32], v[82:83], v[39:40], v[31:32]
	;; [unrolled: 17-line block ×5, first 2 shown]
	s_and_not1_b32 exec_lo, exec_lo, s7
	s_cbranch_execnz .LBB139_35
; %bb.36:
	s_or_b32 exec_lo, exec_lo, s7
.LBB139_37:
	s_delay_alu instid0(SALU_CYCLE_1)
	s_or_b32 exec_lo, exec_lo, s6
.LBB139_38:
	s_delay_alu instid0(SALU_CYCLE_1)
	s_or_b32 exec_lo, exec_lo, s1
.LBB139_39:
	v_mbcnt_lo_u32_b32 v45, -1, 0
	s_delay_alu instid0(VALU_DEP_1) | instskip(SKIP_1) | instid1(VALU_DEP_2)
	v_or_b32_e32 v0, 32, v45
	v_xor_b32_e32 v25, 16, v45
	v_cmp_gt_i32_e32 vcc_lo, 32, v0
	v_cndmask_b32_e32 v0, v45, v0, vcc_lo
	s_delay_alu instid0(VALU_DEP_3) | instskip(NEXT) | instid1(VALU_DEP_2)
	v_cmp_gt_i32_e32 vcc_lo, 32, v25
	v_lshlrev_b32_e32 v15, 2, v0
	v_cndmask_b32_e32 v25, v45, v25, vcc_lo
	ds_bpermute_b32 v0, v15, v39
	ds_bpermute_b32 v1, v15, v40
	;; [unrolled: 1-line block ×16, first 2 shown]
	s_waitcnt lgkmcnt(0)
	v_add_f64 v[0:1], v[39:40], v[0:1]
	v_lshlrev_b32_e32 v40, 2, v25
	v_add_f64 v[2:3], v[35:36], v[2:3]
	v_add_f64 v[4:5], v[41:42], v[4:5]
	v_add_f64 v[6:7], v[43:44], v[6:7]
	v_add_f64 v[8:9], v[37:38], v[8:9]
	v_add_f64 v[10:11], v[33:34], v[10:11]
	v_add_f64 v[12:13], v[29:30], v[12:13]
	v_add_f64 v[14:15], v[31:32], v[14:15]
	ds_bpermute_b32 v25, v40, v0
	ds_bpermute_b32 v26, v40, v1
	ds_bpermute_b32 v27, v40, v2
	ds_bpermute_b32 v28, v40, v3
	ds_bpermute_b32 v29, v40, v4
	ds_bpermute_b32 v30, v40, v5
	ds_bpermute_b32 v31, v40, v6
	ds_bpermute_b32 v32, v40, v7
	ds_bpermute_b32 v33, v40, v8
	ds_bpermute_b32 v34, v40, v9
	ds_bpermute_b32 v35, v40, v10
	ds_bpermute_b32 v36, v40, v11
	ds_bpermute_b32 v37, v40, v12
	ds_bpermute_b32 v38, v40, v13
	ds_bpermute_b32 v39, v40, v14
	ds_bpermute_b32 v40, v40, v15
	s_waitcnt lgkmcnt(14)
	v_add_f64 v[0:1], v[0:1], v[25:26]
	v_xor_b32_e32 v25, 8, v45
	s_waitcnt lgkmcnt(12)
	v_add_f64 v[2:3], v[2:3], v[27:28]
	s_waitcnt lgkmcnt(10)
	v_add_f64 v[4:5], v[4:5], v[29:30]
	;; [unrolled: 2-line block ×3, first 2 shown]
	v_cmp_gt_i32_e32 vcc_lo, 32, v25
	s_waitcnt lgkmcnt(6)
	v_add_f64 v[8:9], v[8:9], v[33:34]
	s_waitcnt lgkmcnt(4)
	v_add_f64 v[10:11], v[10:11], v[35:36]
	s_waitcnt lgkmcnt(2)
	v_add_f64 v[12:13], v[12:13], v[37:38]
	v_cndmask_b32_e32 v25, v45, v25, vcc_lo
	s_waitcnt lgkmcnt(0)
	v_add_f64 v[14:15], v[14:15], v[39:40]
	s_delay_alu instid0(VALU_DEP_2)
	v_lshlrev_b32_e32 v40, 2, v25
	ds_bpermute_b32 v25, v40, v0
	ds_bpermute_b32 v26, v40, v1
	;; [unrolled: 1-line block ×16, first 2 shown]
	s_waitcnt lgkmcnt(14)
	v_add_f64 v[0:1], v[0:1], v[25:26]
	v_xor_b32_e32 v25, 4, v45
	s_waitcnt lgkmcnt(12)
	v_add_f64 v[2:3], v[2:3], v[27:28]
	s_waitcnt lgkmcnt(10)
	v_add_f64 v[4:5], v[4:5], v[29:30]
	;; [unrolled: 2-line block ×3, first 2 shown]
	v_cmp_gt_i32_e32 vcc_lo, 32, v25
	s_waitcnt lgkmcnt(6)
	v_add_f64 v[8:9], v[8:9], v[33:34]
	s_waitcnt lgkmcnt(4)
	v_add_f64 v[10:11], v[10:11], v[35:36]
	s_waitcnt lgkmcnt(2)
	v_add_f64 v[12:13], v[12:13], v[37:38]
	v_cndmask_b32_e32 v25, v45, v25, vcc_lo
	s_waitcnt lgkmcnt(0)
	v_add_f64 v[14:15], v[14:15], v[39:40]
	s_delay_alu instid0(VALU_DEP_2)
	v_lshlrev_b32_e32 v40, 2, v25
	ds_bpermute_b32 v25, v40, v0
	ds_bpermute_b32 v26, v40, v1
	;; [unrolled: 1-line block ×16, first 2 shown]
	s_waitcnt lgkmcnt(14)
	v_add_f64 v[0:1], v[0:1], v[25:26]
	s_waitcnt lgkmcnt(12)
	v_add_f64 v[2:3], v[2:3], v[27:28]
	;; [unrolled: 2-line block ×8, first 2 shown]
	v_xor_b32_e32 v14, 2, v45
	s_delay_alu instid0(VALU_DEP_1) | instskip(SKIP_1) | instid1(VALU_DEP_1)
	v_cmp_gt_i32_e32 vcc_lo, 32, v14
	v_cndmask_b32_e32 v14, v45, v14, vcc_lo
	v_lshlrev_b32_e32 v40, 2, v14
	ds_bpermute_b32 v14, v40, v0
	ds_bpermute_b32 v15, v40, v1
	;; [unrolled: 1-line block ×16, first 2 shown]
	s_waitcnt lgkmcnt(14)
	v_add_f64 v[0:1], v[0:1], v[14:15]
	s_waitcnt lgkmcnt(12)
	v_add_f64 v[27:28], v[2:3], v[27:28]
	;; [unrolled: 2-line block ×7, first 2 shown]
	v_xor_b32_e32 v12, 1, v45
	s_waitcnt lgkmcnt(0)
	v_add_f64 v[8:9], v[25:26], v[39:40]
	s_delay_alu instid0(VALU_DEP_2) | instskip(SKIP_2) | instid1(VALU_DEP_2)
	v_cmp_gt_i32_e32 vcc_lo, 32, v12
	v_cndmask_b32_e32 v12, v45, v12, vcc_lo
	v_cmp_eq_u32_e32 vcc_lo, 63, v50
	v_lshlrev_b32_e32 v34, 2, v12
	ds_bpermute_b32 v12, v34, v0
	ds_bpermute_b32 v13, v34, v1
	;; [unrolled: 1-line block ×16, first 2 shown]
	s_and_b32 exec_lo, exec_lo, vcc_lo
	s_cbranch_execz .LBB139_12
; %bb.40:
	s_waitcnt lgkmcnt(12)
	v_add_f64 v[27:28], v[27:28], v[39:40]
	s_waitcnt lgkmcnt(8)
	v_add_f64 v[14:15], v[14:15], v[37:38]
	;; [unrolled: 2-line block ×4, first 2 shown]
	v_add_f64 v[0:1], v[0:1], v[12:13]
	v_add_f64 v[2:3], v[2:3], v[25:26]
	;; [unrolled: 1-line block ×4, first 2 shown]
	v_cmp_eq_f64_e32 vcc_lo, 0, v[16:17]
	v_cmp_eq_f64_e64 s0, 0, v[18:19]
	s_load_b64 s[2:3], s[2:3], 0x60
	v_mul_f64 v[4:5], v[27:28], -v[22:23]
	v_mul_f64 v[6:7], v[20:21], v[27:28]
	v_mul_f64 v[27:28], v[14:15], -v[22:23]
	v_mul_f64 v[31:32], v[20:21], v[14:15]
	;; [unrolled: 2-line block ×4, first 2 shown]
	s_and_b32 s0, vcc_lo, s0
	v_fma_f64 v[12:13], v[20:21], v[0:1], v[4:5]
	v_fma_f64 v[14:15], v[22:23], v[0:1], v[6:7]
	;; [unrolled: 1-line block ×8, first 2 shown]
	v_lshlrev_b32_e32 v20, 2, v24
	s_and_saveexec_b32 s1, s0
	s_delay_alu instid0(SALU_CYCLE_1)
	s_xor_b32 s0, exec_lo, s1
	s_cbranch_execz .LBB139_42
; %bb.41:
	s_delay_alu instid0(VALU_DEP_1) | instskip(NEXT) | instid1(VALU_DEP_1)
	v_ashrrev_i32_e32 v21, 31, v20
                                        ; implicit-def: $vgpr18_vgpr19
	v_lshlrev_b64 v[16:17], 4, v[20:21]
                                        ; implicit-def: $vgpr20
	s_waitcnt lgkmcnt(0)
	s_delay_alu instid0(VALU_DEP_1) | instskip(NEXT) | instid1(VALU_DEP_2)
	v_add_co_u32 v16, vcc_lo, s2, v16
	v_add_co_ci_u32_e32 v17, vcc_lo, s3, v17, vcc_lo
	s_clause 0x3
	global_store_b128 v[16:17], v[12:15], off
	global_store_b128 v[16:17], v[8:11], off offset:16
	global_store_b128 v[16:17], v[4:7], off offset:32
	;; [unrolled: 1-line block ×3, first 2 shown]
                                        ; implicit-def: $vgpr16_vgpr17
                                        ; implicit-def: $vgpr12_vgpr13
                                        ; implicit-def: $vgpr8_vgpr9
                                        ; implicit-def: $vgpr4_vgpr5
                                        ; implicit-def: $vgpr0_vgpr1
.LBB139_42:
	s_and_not1_saveexec_b32 s0, s0
	s_cbranch_execz .LBB139_12
; %bb.43:
	v_ashrrev_i32_e32 v21, 31, v20
	s_delay_alu instid0(VALU_DEP_1) | instskip(SKIP_1) | instid1(VALU_DEP_1)
	v_lshlrev_b64 v[20:21], 4, v[20:21]
	s_waitcnt lgkmcnt(0)
	v_add_co_u32 v36, vcc_lo, s2, v20
	s_delay_alu instid0(VALU_DEP_2)
	v_add_co_ci_u32_e32 v37, vcc_lo, s3, v21, vcc_lo
	s_clause 0x3
	global_load_b128 v[20:23], v[36:37], off
	global_load_b128 v[24:27], v[36:37], off offset:16
	global_load_b128 v[28:31], v[36:37], off offset:32
	;; [unrolled: 1-line block ×3, first 2 shown]
	s_waitcnt vmcnt(3)
	v_fma_f64 v[12:13], v[16:17], v[20:21], v[12:13]
	v_fma_f64 v[14:15], v[18:19], v[20:21], v[14:15]
	s_waitcnt vmcnt(2)
	v_fma_f64 v[8:9], v[16:17], v[24:25], v[8:9]
	v_fma_f64 v[10:11], v[18:19], v[24:25], v[10:11]
	;; [unrolled: 3-line block ×4, first 2 shown]
	v_fma_f64 v[0:1], -v[18:19], v[22:23], v[12:13]
	v_fma_f64 v[2:3], v[16:17], v[22:23], v[14:15]
	v_fma_f64 v[4:5], -v[18:19], v[26:27], v[8:9]
	v_fma_f64 v[6:7], v[16:17], v[26:27], v[10:11]
	;; [unrolled: 2-line block ×4, first 2 shown]
	s_clause 0x3
	global_store_b128 v[36:37], v[0:3], off
	global_store_b128 v[36:37], v[4:7], off offset:16
	global_store_b128 v[36:37], v[8:11], off offset:32
	;; [unrolled: 1-line block ×3, first 2 shown]
	s_nop 0
	s_sendmsg sendmsg(MSG_DEALLOC_VGPRS)
	s_endpgm
	.section	.rodata,"a",@progbits
	.p2align	6, 0x0
	.amdhsa_kernel _ZN9rocsparseL18bsrxmvn_4x4_kernelILj128ELj64E21rocsparse_complex_numIdEiidS2_S2_EEvT3_20rocsparse_direction_NS_24const_host_device_scalarIT1_EES3_PKS3_PKT2_SC_S9_PKT4_PKT5_S7_PT6_21rocsparse_index_base_b
		.amdhsa_group_segment_fixed_size 2048
		.amdhsa_private_segment_fixed_size 0
		.amdhsa_kernarg_size 112
		.amdhsa_user_sgpr_count 15
		.amdhsa_user_sgpr_dispatch_ptr 1
		.amdhsa_user_sgpr_queue_ptr 0
		.amdhsa_user_sgpr_kernarg_segment_ptr 1
		.amdhsa_user_sgpr_dispatch_id 0
		.amdhsa_user_sgpr_private_segment_size 0
		.amdhsa_wavefront_size32 1
		.amdhsa_uses_dynamic_stack 0
		.amdhsa_enable_private_segment 0
		.amdhsa_system_sgpr_workgroup_id_x 1
		.amdhsa_system_sgpr_workgroup_id_y 0
		.amdhsa_system_sgpr_workgroup_id_z 0
		.amdhsa_system_sgpr_workgroup_info 0
		.amdhsa_system_vgpr_workitem_id 2
		.amdhsa_next_free_vgpr 114
		.amdhsa_next_free_sgpr 18
		.amdhsa_reserve_vcc 1
		.amdhsa_float_round_mode_32 0
		.amdhsa_float_round_mode_16_64 0
		.amdhsa_float_denorm_mode_32 3
		.amdhsa_float_denorm_mode_16_64 3
		.amdhsa_dx10_clamp 1
		.amdhsa_ieee_mode 1
		.amdhsa_fp16_overflow 0
		.amdhsa_workgroup_processor_mode 1
		.amdhsa_memory_ordered 1
		.amdhsa_forward_progress 0
		.amdhsa_shared_vgpr_count 0
		.amdhsa_exception_fp_ieee_invalid_op 0
		.amdhsa_exception_fp_denorm_src 0
		.amdhsa_exception_fp_ieee_div_zero 0
		.amdhsa_exception_fp_ieee_overflow 0
		.amdhsa_exception_fp_ieee_underflow 0
		.amdhsa_exception_fp_ieee_inexact 0
		.amdhsa_exception_int_div_zero 0
	.end_amdhsa_kernel
	.section	.text._ZN9rocsparseL18bsrxmvn_4x4_kernelILj128ELj64E21rocsparse_complex_numIdEiidS2_S2_EEvT3_20rocsparse_direction_NS_24const_host_device_scalarIT1_EES3_PKS3_PKT2_SC_S9_PKT4_PKT5_S7_PT6_21rocsparse_index_base_b,"axG",@progbits,_ZN9rocsparseL18bsrxmvn_4x4_kernelILj128ELj64E21rocsparse_complex_numIdEiidS2_S2_EEvT3_20rocsparse_direction_NS_24const_host_device_scalarIT1_EES3_PKS3_PKT2_SC_S9_PKT4_PKT5_S7_PT6_21rocsparse_index_base_b,comdat
.Lfunc_end139:
	.size	_ZN9rocsparseL18bsrxmvn_4x4_kernelILj128ELj64E21rocsparse_complex_numIdEiidS2_S2_EEvT3_20rocsparse_direction_NS_24const_host_device_scalarIT1_EES3_PKS3_PKT2_SC_S9_PKT4_PKT5_S7_PT6_21rocsparse_index_base_b, .Lfunc_end139-_ZN9rocsparseL18bsrxmvn_4x4_kernelILj128ELj64E21rocsparse_complex_numIdEiidS2_S2_EEvT3_20rocsparse_direction_NS_24const_host_device_scalarIT1_EES3_PKS3_PKT2_SC_S9_PKT4_PKT5_S7_PT6_21rocsparse_index_base_b
                                        ; -- End function
	.section	.AMDGPU.csdata,"",@progbits
; Kernel info:
; codeLenInByte = 11388
; NumSgprs: 20
; NumVgprs: 114
; ScratchSize: 0
; MemoryBound: 0
; FloatMode: 240
; IeeeMode: 1
; LDSByteSize: 2048 bytes/workgroup (compile time only)
; SGPRBlocks: 2
; VGPRBlocks: 14
; NumSGPRsForWavesPerEU: 20
; NumVGPRsForWavesPerEU: 114
; Occupancy: 12
; WaveLimiterHint : 1
; COMPUTE_PGM_RSRC2:SCRATCH_EN: 0
; COMPUTE_PGM_RSRC2:USER_SGPR: 15
; COMPUTE_PGM_RSRC2:TRAP_HANDLER: 0
; COMPUTE_PGM_RSRC2:TGID_X_EN: 1
; COMPUTE_PGM_RSRC2:TGID_Y_EN: 0
; COMPUTE_PGM_RSRC2:TGID_Z_EN: 0
; COMPUTE_PGM_RSRC2:TIDIG_COMP_CNT: 2
	.section	.text._ZN9rocsparseL18bsrxmvn_4x4_kernelILj128ELj4E21rocsparse_complex_numIdElidS2_S2_EEvT3_20rocsparse_direction_NS_24const_host_device_scalarIT1_EES3_PKS3_PKT2_SC_S9_PKT4_PKT5_S7_PT6_21rocsparse_index_base_b,"axG",@progbits,_ZN9rocsparseL18bsrxmvn_4x4_kernelILj128ELj4E21rocsparse_complex_numIdElidS2_S2_EEvT3_20rocsparse_direction_NS_24const_host_device_scalarIT1_EES3_PKS3_PKT2_SC_S9_PKT4_PKT5_S7_PT6_21rocsparse_index_base_b,comdat
	.globl	_ZN9rocsparseL18bsrxmvn_4x4_kernelILj128ELj4E21rocsparse_complex_numIdElidS2_S2_EEvT3_20rocsparse_direction_NS_24const_host_device_scalarIT1_EES3_PKS3_PKT2_SC_S9_PKT4_PKT5_S7_PT6_21rocsparse_index_base_b ; -- Begin function _ZN9rocsparseL18bsrxmvn_4x4_kernelILj128ELj4E21rocsparse_complex_numIdElidS2_S2_EEvT3_20rocsparse_direction_NS_24const_host_device_scalarIT1_EES3_PKS3_PKT2_SC_S9_PKT4_PKT5_S7_PT6_21rocsparse_index_base_b
	.p2align	8
	.type	_ZN9rocsparseL18bsrxmvn_4x4_kernelILj128ELj4E21rocsparse_complex_numIdElidS2_S2_EEvT3_20rocsparse_direction_NS_24const_host_device_scalarIT1_EES3_PKS3_PKT2_SC_S9_PKT4_PKT5_S7_PT6_21rocsparse_index_base_b,@function
_ZN9rocsparseL18bsrxmvn_4x4_kernelILj128ELj4E21rocsparse_complex_numIdElidS2_S2_EEvT3_20rocsparse_direction_NS_24const_host_device_scalarIT1_EES3_PKS3_PKT2_SC_S9_PKT4_PKT5_S7_PT6_21rocsparse_index_base_b: ; @_ZN9rocsparseL18bsrxmvn_4x4_kernelILj128ELj4E21rocsparse_complex_numIdElidS2_S2_EEvT3_20rocsparse_direction_NS_24const_host_device_scalarIT1_EES3_PKS3_PKT2_SC_S9_PKT4_PKT5_S7_PT6_21rocsparse_index_base_b
; %bb.0:
	s_load_b64 s[12:13], s[2:3], 0x68
	s_load_b64 s[16:17], s[0:1], 0x4
	s_load_b128 s[8:11], s[2:3], 0x8
	v_bfe_u32 v2, v0, 10, 10
	s_mov_b64 s[0:1], src_shared_base
	s_load_b128 s[4:7], s[2:3], 0x50
	v_and_b32_e32 v1, 0x3ff, v0
	v_bfe_u32 v0, v0, 20, 10
	s_waitcnt lgkmcnt(0)
	s_bitcmp1_b32 s13, 0
	v_mul_u32_u24_e32 v2, s17, v2
	s_cselect_b32 s0, -1, 0
	v_mov_b32_e32 v23, s11
	s_and_b32 vcc_lo, s0, exec_lo
	s_cselect_b32 s13, s1, s9
	s_lshr_b32 s14, s16, 16
	v_dual_mov_b32 v4, s4 :: v_dual_mov_b32 v5, s5
	s_mul_i32 s14, s14, s17
	v_dual_mov_b32 v7, s13 :: v_dual_mov_b32 v22, s10
	v_mad_u32_u24 v2, s14, v1, v2
	s_xor_b32 s10, s0, -1
	s_delay_alu instid0(VALU_DEP_1) | instskip(SKIP_1) | instid1(VALU_DEP_2)
	v_add_lshl_u32 v0, v2, v0, 3
	v_dual_mov_b32 v2, s8 :: v_dual_mov_b32 v3, s9
	v_add_nc_u32_e32 v6, 0x400, v0
	ds_store_2addr_stride64_b64 v0, v[4:5], v[2:3] offset1:2
	v_cndmask_b32_e64 v6, s8, v6, s0
	flat_load_b64 v[20:21], v[6:7]
	s_cbranch_vccnz .LBB140_2
; %bb.1:
	v_dual_mov_b32 v2, s8 :: v_dual_mov_b32 v3, s9
	flat_load_b64 v[22:23], v[2:3] offset:8
.LBB140_2:
	s_and_b32 s8, s0, exec_lo
	s_cselect_b32 s1, s1, s5
	v_cndmask_b32_e64 v2, s4, v0, s0
	v_mov_b32_e32 v3, s1
	v_dual_mov_b32 v19, s7 :: v_dual_mov_b32 v18, s6
	s_and_not1_b32 vcc_lo, exec_lo, s10
	flat_load_b64 v[16:17], v[2:3]
	s_cbranch_vccnz .LBB140_4
; %bb.3:
	v_dual_mov_b32 v2, s4 :: v_dual_mov_b32 v3, s5
	flat_load_b64 v[18:19], v[2:3] offset:8
.LBB140_4:
	s_waitcnt vmcnt(1) lgkmcnt(1)
	v_cmp_eq_f64_e32 vcc_lo, 0, v[20:21]
	v_cmp_eq_f64_e64 s0, 0, v[22:23]
	s_delay_alu instid0(VALU_DEP_1)
	s_and_b32 s4, vcc_lo, s0
	s_mov_b32 s0, -1
	s_and_saveexec_b32 s1, s4
	s_cbranch_execz .LBB140_6
; %bb.5:
	s_waitcnt vmcnt(0) lgkmcnt(0)
	v_cmp_neq_f64_e32 vcc_lo, 1.0, v[16:17]
	v_cmp_neq_f64_e64 s0, 0, v[18:19]
	s_delay_alu instid0(VALU_DEP_1) | instskip(NEXT) | instid1(SALU_CYCLE_1)
	s_or_b32 s0, vcc_lo, s0
	s_or_not1_b32 s0, s0, exec_lo
.LBB140_6:
	s_or_b32 exec_lo, exec_lo, s1
	s_and_saveexec_b32 s1, s0
	s_cbranch_execz .LBB140_12
; %bb.7:
	s_clause 0x1
	s_load_b64 s[4:5], s[2:3], 0x20
	s_load_b64 s[0:1], s[2:3], 0x0
	v_lshrrev_b32_e32 v0, 2, v1
	s_delay_alu instid0(VALU_DEP_1)
	v_lshl_or_b32 v24, s15, 5, v0
	s_waitcnt lgkmcnt(0)
	s_cmp_lg_u64 s[4:5], 0
	s_cbranch_scc0 .LBB140_13
; %bb.8:
	s_load_b32 s6, s[2:3], 0x18
	s_mov_b32 s7, 0
                                        ; implicit-def: $vgpr0
	s_waitcnt lgkmcnt(0)
	v_cmp_gt_i32_e32 vcc_lo, s6, v24
	s_mov_b32 s6, 0
	s_and_saveexec_b32 s8, vcc_lo
	s_delay_alu instid0(SALU_CYCLE_1)
	s_xor_b32 s8, exec_lo, s8
	s_cbranch_execz .LBB140_10
; %bb.9:
	v_ashrrev_i32_e32 v25, 31, v24
	s_mov_b32 s6, exec_lo
	s_delay_alu instid0(VALU_DEP_1) | instskip(NEXT) | instid1(VALU_DEP_1)
	v_lshlrev_b64 v[2:3], 2, v[24:25]
	v_add_co_u32 v2, vcc_lo, s4, v2
	s_delay_alu instid0(VALU_DEP_2)
	v_add_co_ci_u32_e32 v3, vcc_lo, s5, v3, vcc_lo
	global_load_b32 v0, v[2:3], off
	s_waitcnt vmcnt(0)
	v_subrev_nc_u32_e32 v0, s12, v0
.LBB140_10:
	s_or_b32 exec_lo, exec_lo, s8
	s_delay_alu instid0(SALU_CYCLE_1)
	s_and_b32 vcc_lo, exec_lo, s7
	s_cbranch_vccz .LBB140_14
.LBB140_11:
	v_cmp_gt_i32_e32 vcc_lo, s0, v24
	s_and_not1_b32 s0, s6, exec_lo
	s_and_b32 s4, vcc_lo, exec_lo
	s_delay_alu instid0(SALU_CYCLE_1) | instskip(NEXT) | instid1(SALU_CYCLE_1)
	s_or_b32 s6, s0, s4
	s_and_b32 exec_lo, exec_lo, s6
	s_cbranch_execnz .LBB140_15
.LBB140_12:
	s_nop 0
	s_sendmsg sendmsg(MSG_DEALLOC_VGPRS)
	s_endpgm
.LBB140_13:
	s_mov_b32 s6, 0
                                        ; implicit-def: $vgpr0
	s_cbranch_execnz .LBB140_11
.LBB140_14:
	s_delay_alu instid0(VALU_DEP_1)
	v_mov_b32_e32 v24, v0
	s_and_b32 exec_lo, exec_lo, s6
	s_cbranch_execz .LBB140_12
.LBB140_15:
	s_load_b256 s[4:11], s[2:3], 0x28
	s_delay_alu instid0(VALU_DEP_1) | instskip(SKIP_1) | instid1(VALU_DEP_2)
	v_ashrrev_i32_e32 v25, 31, v24
	v_and_b32_e32 v55, 3, v1
	v_lshlrev_b64 v[2:3], 3, v[24:25]
	s_waitcnt lgkmcnt(0)
	s_delay_alu instid0(VALU_DEP_1) | instskip(NEXT) | instid1(VALU_DEP_2)
	v_add_co_u32 v4, vcc_lo, s4, v2
	v_add_co_ci_u32_e32 v5, vcc_lo, s5, v3, vcc_lo
	v_add_co_u32 v0, vcc_lo, s6, v2
	v_add_co_ci_u32_e32 v2, vcc_lo, s7, v3, vcc_lo
	s_delay_alu instid0(VALU_DEP_4)
	v_add_co_u32 v6, vcc_lo, v4, 8
	global_load_b64 v[47:48], v[4:5], off
	v_add_co_ci_u32_e32 v3, vcc_lo, 0, v5, vcc_lo
	s_cmp_eq_u64 s[6:7], 0
	s_load_b64 s[4:5], s[2:3], 0x48
	s_cselect_b32 vcc_lo, -1, 0
	s_cmp_eq_u32 s1, 1
	v_dual_cndmask_b32 v3, v2, v3 :: v_dual_cndmask_b32 v2, v0, v6
	global_load_b64 v[2:3], v[2:3], off
	s_waitcnt vmcnt(1)
	v_sub_co_u32 v0, vcc_lo, v47, s12
	v_subrev_co_ci_u32_e32 v1, vcc_lo, 0, v48, vcc_lo
	s_delay_alu instid0(VALU_DEP_2) | instskip(NEXT) | instid1(VALU_DEP_2)
	v_add_co_u32 v25, vcc_lo, v0, v55
	v_add_co_ci_u32_e32 v26, vcc_lo, 0, v1, vcc_lo
	s_delay_alu instid0(VALU_DEP_1) | instskip(SKIP_3) | instid1(VALU_DEP_3)
	v_lshlrev_b64 v[0:1], 7, v[25:26]
	s_waitcnt vmcnt(0)
	v_sub_co_u32 v27, vcc_lo, v2, s12
	v_subrev_co_ci_u32_e32 v28, vcc_lo, 0, v3, vcc_lo
	v_add_co_u32 v29, vcc_lo, s10, v0
	s_delay_alu instid0(VALU_DEP_2)
	v_cmp_lt_i64_e64 s0, v[25:26], v[27:28]
	v_add_co_ci_u32_e32 v30, vcc_lo, s11, v1, vcc_lo
	s_cbranch_scc1 .LBB140_27
; %bb.16:
	v_mov_b32_e32 v35, 0
	v_mov_b32_e32 v36, 0
	s_delay_alu instid0(VALU_DEP_2) | instskip(NEXT) | instid1(VALU_DEP_2)
	v_mov_b32_e32 v33, v35
	v_dual_mov_b32 v31, v35 :: v_dual_mov_b32 v32, v36
	v_dual_mov_b32 v42, v36 :: v_dual_mov_b32 v41, v35
	;; [unrolled: 1-line block ×6, first 2 shown]
	v_mov_b32_e32 v34, v36
	s_and_saveexec_b32 s6, s0
	s_cbranch_execz .LBB140_26
; %bb.17:
	v_or_b32_e32 v0, 4, v55
	v_not_b32_e32 v3, v47
	v_not_b32_e32 v2, v48
	v_mov_b32_e32 v52, v26
	s_mov_b32 s10, 0
	v_sub_co_u32 v0, s1, v0, s12
	s_delay_alu instid0(VALU_DEP_1) | instskip(SKIP_1) | instid1(VALU_DEP_3)
	v_sub_co_ci_u32_e64 v1, null, 0, 0, s1
	v_sub_co_u32 v4, s1, s12, v55
	v_add_co_u32 v0, vcc_lo, v0, v47
	s_delay_alu instid0(VALU_DEP_3) | instskip(SKIP_2) | instid1(VALU_DEP_2)
	v_add_co_ci_u32_e32 v1, vcc_lo, v1, v48, vcc_lo
	v_sub_co_ci_u32_e64 v5, null, 0, 0, s1
	s_mov_b32 s7, exec_lo
	v_cmp_gt_i64_e32 vcc_lo, v[0:1], v[27:28]
	v_mov_b32_e32 v51, v25
	v_dual_cndmask_b32 v1, v28, v1 :: v_dual_cndmask_b32 v0, v27, v0
	v_add_co_u32 v3, vcc_lo, v4, v3
	v_add_co_ci_u32_e32 v2, vcc_lo, v5, v2, vcc_lo
	s_delay_alu instid0(VALU_DEP_2) | instskip(NEXT) | instid1(VALU_DEP_2)
	v_add_co_u32 v0, vcc_lo, v3, v0
	v_add_co_ci_u32_e32 v1, vcc_lo, v2, v1, vcc_lo
	s_delay_alu instid0(VALU_DEP_2) | instskip(SKIP_3) | instid1(VALU_DEP_4)
	v_lshrrev_b32_e32 v2, 2, v0
	v_mov_b32_e32 v31, 0
	v_mov_b32_e32 v32, 0
	v_dual_mov_b32 v50, v30 :: v_dual_mov_b32 v49, v29
	v_add_nc_u32_e32 v2, 1, v2
	s_delay_alu instid0(VALU_DEP_3)
	v_mov_b32_e32 v34, v32
	v_mov_b32_e32 v40, v32
	;; [unrolled: 1-line block ×6, first 2 shown]
	v_dual_mov_b32 v36, v32 :: v_dual_mov_b32 v33, v31
	v_mov_b32_e32 v39, v31
	v_dual_mov_b32 v37, v31 :: v_dual_and_b32 v2, 3, v2
	v_mov_b32_e32 v45, v31
	v_mov_b32_e32 v43, v31
	;; [unrolled: 1-line block ×4, first 2 shown]
	v_cmpx_ne_u32_e32 0, v2
	s_cbranch_execz .LBB140_21
; %bb.18:
	v_lshlrev_b64 v[4:5], 2, v[25:26]
	v_dual_mov_b32 v35, 0 :: v_dual_lshlrev_b32 v2, 2, v2
	v_dual_mov_b32 v3, 0 :: v_dual_mov_b32 v36, 0
	v_dual_mov_b32 v52, v26 :: v_dual_mov_b32 v51, v25
	s_delay_alu instid0(VALU_DEP_4)
	v_add_co_u32 v4, vcc_lo, s8, v4
	v_add_co_ci_u32_e32 v5, vcc_lo, s9, v5, vcc_lo
	v_dual_mov_b32 v50, v30 :: v_dual_mov_b32 v49, v29
	v_dual_mov_b32 v42, v36 :: v_dual_mov_b32 v41, v35
	;; [unrolled: 1-line block ×8, first 2 shown]
.LBB140_19:                             ; =>This Inner Loop Header: Depth=1
	global_load_b32 v14, v[4:5], off
	s_clause 0x7
	global_load_b128 v[6:9], v[49:50], off offset:48
	global_load_b128 v[10:13], v[49:50], off offset:32
	global_load_b128 v[56:59], v[49:50], off offset:16
	global_load_b128 v[60:63], v[49:50], off
	global_load_b128 v[64:67], v[49:50], off offset:112
	global_load_b128 v[68:71], v[49:50], off offset:96
	;; [unrolled: 1-line block ×4, first 2 shown]
	v_add_co_u32 v4, s1, v4, 16
	s_delay_alu instid0(VALU_DEP_1) | instskip(SKIP_2) | instid1(VALU_DEP_1)
	v_add_co_ci_u32_e64 v5, s1, 0, v5, s1
	s_waitcnt vmcnt(8)
	v_subrev_nc_u32_e32 v14, s12, v14
	v_lshlrev_b32_e32 v14, 2, v14
	s_delay_alu instid0(VALU_DEP_1) | instskip(NEXT) | instid1(VALU_DEP_1)
	v_ashrrev_i32_e32 v15, 31, v14
	v_lshlrev_b64 v[14:15], 4, v[14:15]
	s_waitcnt lgkmcnt(0)
	s_delay_alu instid0(VALU_DEP_1) | instskip(NEXT) | instid1(VALU_DEP_2)
	v_add_co_u32 v14, vcc_lo, s4, v14
	v_add_co_ci_u32_e32 v15, vcc_lo, s5, v15, vcc_lo
	v_add_co_u32 v49, vcc_lo, 0x200, v49
	v_add_co_ci_u32_e32 v50, vcc_lo, 0, v50, vcc_lo
	s_clause 0x3
	global_load_b128 v[80:83], v[14:15], off
	global_load_b128 v[84:87], v[14:15], off offset:16
	global_load_b128 v[88:91], v[14:15], off offset:32
	;; [unrolled: 1-line block ×3, first 2 shown]
	v_add_co_u32 v2, vcc_lo, v2, -4
	v_add_co_ci_u32_e32 v3, vcc_lo, -1, v3, vcc_lo
	v_add_co_u32 v51, vcc_lo, v51, 4
	v_add_co_ci_u32_e32 v52, vcc_lo, 0, v52, vcc_lo
	s_delay_alu instid0(VALU_DEP_3)
	v_cmp_eq_u64_e32 vcc_lo, 0, v[2:3]
	s_or_b32 s10, vcc_lo, s10
	s_waitcnt vmcnt(3)
	v_fma_f64 v[14:15], v[60:61], v[80:81], v[41:42]
	v_fma_f64 v[35:36], v[80:81], 0, v[35:36]
	v_fma_f64 v[41:42], v[10:11], v[80:81], v[43:44]
	v_fma_f64 v[43:44], v[80:81], 0, v[45:46]
	v_fma_f64 v[39:40], v[76:77], v[80:81], v[39:40]
	v_fma_f64 v[37:38], v[80:81], 0, v[37:38]
	v_fma_f64 v[31:32], v[68:69], v[80:81], v[31:32]
	v_fma_f64 v[33:34], v[80:81], 0, v[33:34]
	v_fma_f64 v[14:15], 0x80000000, v[82:83], v[14:15]
	v_fma_f64 v[35:36], v[60:61], v[82:83], v[35:36]
	v_fma_f64 v[41:42], 0x80000000, v[82:83], v[41:42]
	v_fma_f64 v[10:11], v[10:11], v[82:83], v[43:44]
	v_fma_f64 v[39:40], 0x80000000, v[82:83], v[39:40]
	v_fma_f64 v[37:38], v[76:77], v[82:83], v[37:38]
	v_fma_f64 v[31:32], 0x80000000, v[82:83], v[31:32]
	v_fma_f64 v[33:34], v[68:69], v[82:83], v[33:34]
	s_waitcnt vmcnt(2)
	v_fma_f64 v[14:15], v[62:63], v[84:85], v[14:15]
	v_fma_f64 v[35:36], v[84:85], 0, v[35:36]
	v_fma_f64 v[41:42], v[12:13], v[84:85], v[41:42]
	v_fma_f64 v[10:11], v[84:85], 0, v[10:11]
	v_fma_f64 v[39:40], v[78:79], v[84:85], v[39:40]
	v_fma_f64 v[37:38], v[84:85], 0, v[37:38]
	v_fma_f64 v[31:32], v[70:71], v[84:85], v[31:32]
	v_fma_f64 v[33:34], v[84:85], 0, v[33:34]
	v_fma_f64 v[14:15], 0x80000000, v[86:87], v[14:15]
	v_fma_f64 v[35:36], v[62:63], v[86:87], v[35:36]
	v_fma_f64 v[41:42], 0x80000000, v[86:87], v[41:42]
	v_fma_f64 v[10:11], v[12:13], v[86:87], v[10:11]
	v_fma_f64 v[12:13], 0x80000000, v[86:87], v[39:40]
	v_fma_f64 v[37:38], v[78:79], v[86:87], v[37:38]
	v_fma_f64 v[31:32], 0x80000000, v[86:87], v[31:32]
	v_fma_f64 v[33:34], v[70:71], v[86:87], v[33:34]
	;; [unrolled: 17-line block ×4, first 2 shown]
	s_and_not1_b32 exec_lo, exec_lo, s10
	s_cbranch_execnz .LBB140_19
; %bb.20:
	s_or_b32 exec_lo, exec_lo, s10
.LBB140_21:
	s_delay_alu instid0(SALU_CYCLE_1) | instskip(NEXT) | instid1(SALU_CYCLE_1)
	s_or_b32 exec_lo, exec_lo, s7
	s_mov_b32 s7, exec_lo
	v_cmpx_lt_u64_e32 11, v[0:1]
	s_cbranch_execz .LBB140_25
; %bb.22:
	v_lshlrev_b64 v[0:1], 2, v[51:52]
	s_mov_b32 s10, 0
	s_delay_alu instid0(VALU_DEP_1) | instskip(NEXT) | instid1(VALU_DEP_2)
	v_add_co_u32 v0, vcc_lo, v0, s8
	v_add_co_ci_u32_e32 v1, vcc_lo, s9, v1, vcc_lo
	s_delay_alu instid0(VALU_DEP_2) | instskip(NEXT) | instid1(VALU_DEP_2)
	v_add_co_u32 v53, vcc_lo, v0, 32
	v_add_co_ci_u32_e32 v54, vcc_lo, 0, v1, vcc_lo
.LBB140_23:                             ; =>This Inner Loop Header: Depth=1
	s_clause 0x1
	global_load_b32 v56, v[53:54], off offset:-32
	global_load_b32 v104, v[53:54], off offset:-16
	s_clause 0x3
	global_load_b128 v[4:7], v[49:50], off offset:32
	global_load_b128 v[8:11], v[49:50], off
	global_load_b128 v[0:3], v[49:50], off offset:96
	global_load_b128 v[12:15], v[49:50], off offset:64
	s_clause 0x1
	global_load_b32 v114, v[53:54], off
	global_load_b32 v116, v[53:54], off offset:16
	v_add_co_u32 v53, s1, v53, 64
	s_delay_alu instid0(VALU_DEP_1) | instskip(SKIP_4) | instid1(VALU_DEP_2)
	v_add_co_ci_u32_e64 v54, s1, 0, v54, s1
	s_waitcnt vmcnt(7)
	v_subrev_nc_u32_e32 v56, s12, v56
	s_waitcnt vmcnt(6)
	v_subrev_nc_u32_e32 v104, s12, v104
	v_lshlrev_b32_e32 v56, 2, v56
	s_delay_alu instid0(VALU_DEP_2) | instskip(SKIP_2) | instid1(VALU_DEP_3)
	v_lshlrev_b32_e32 v104, 2, v104
	s_waitcnt vmcnt(1)
	v_subrev_nc_u32_e32 v114, s12, v114
	v_ashrrev_i32_e32 v57, 31, v56
	s_delay_alu instid0(VALU_DEP_3) | instskip(NEXT) | instid1(VALU_DEP_3)
	v_ashrrev_i32_e32 v105, 31, v104
	v_lshlrev_b32_e32 v114, 2, v114
	s_delay_alu instid0(VALU_DEP_3) | instskip(NEXT) | instid1(VALU_DEP_3)
	v_lshlrev_b64 v[56:57], 4, v[56:57]
	v_lshlrev_b64 v[104:105], 4, v[104:105]
	s_delay_alu instid0(VALU_DEP_3) | instskip(SKIP_1) | instid1(VALU_DEP_3)
	v_ashrrev_i32_e32 v115, 31, v114
	s_waitcnt lgkmcnt(0)
	v_add_co_u32 v84, vcc_lo, s4, v56
	s_delay_alu instid0(VALU_DEP_4) | instskip(NEXT) | instid1(VALU_DEP_4)
	v_add_co_ci_u32_e32 v85, vcc_lo, s5, v57, vcc_lo
	v_add_co_u32 v108, vcc_lo, s4, v104
	v_add_co_ci_u32_e32 v109, vcc_lo, s5, v105, vcc_lo
	s_clause 0x1
	global_load_b128 v[56:59], v[84:85], off
	global_load_b128 v[60:63], v[84:85], off offset:16
	s_clause 0x3
	global_load_b128 v[64:67], v[49:50], off offset:48
	global_load_b128 v[68:71], v[49:50], off offset:16
	;; [unrolled: 1-line block ×4, first 2 shown]
	s_clause 0x1
	global_load_b128 v[80:83], v[84:85], off offset:32
	global_load_b128 v[84:87], v[84:85], off offset:48
	s_clause 0x3
	global_load_b128 v[88:91], v[49:50], off offset:544
	global_load_b128 v[92:95], v[49:50], off offset:512
	;; [unrolled: 1-line block ×4, first 2 shown]
	global_load_b128 v[104:107], v[108:109], off
	s_waitcnt vmcnt(12)
	v_fma_f64 v[35:36], v[56:57], 0, v[35:36]
	v_fma_f64 v[45:46], v[56:57], 0, v[45:46]
	v_fma_f64 v[37:38], v[56:57], 0, v[37:38]
	v_fma_f64 v[41:42], v[8:9], v[56:57], v[41:42]
	v_fma_f64 v[43:44], v[4:5], v[56:57], v[43:44]
	v_fma_f64 v[39:40], v[12:13], v[56:57], v[39:40]
	v_fma_f64 v[31:32], v[0:1], v[56:57], v[31:32]
	v_fma_f64 v[33:34], v[56:57], 0, v[33:34]
	v_fma_f64 v[8:9], v[8:9], v[58:59], v[35:36]
	v_fma_f64 v[4:5], v[4:5], v[58:59], v[45:46]
	v_fma_f64 v[12:13], v[12:13], v[58:59], v[37:38]
	v_fma_f64 v[35:36], 0x80000000, v[58:59], v[41:42]
	v_fma_f64 v[37:38], 0x80000000, v[58:59], v[43:44]
	v_fma_f64 v[39:40], 0x80000000, v[58:59], v[39:40]
	v_fma_f64 v[41:42], 0x80000000, v[58:59], v[31:32]
	v_fma_f64 v[0:1], v[0:1], v[58:59], v[33:34]
	global_load_b128 v[31:34], v[108:109], off offset:16
	s_waitcnt vmcnt(12)
	v_fma_f64 v[8:9], v[60:61], 0, v[8:9]
	v_fma_f64 v[4:5], v[60:61], 0, v[4:5]
	;; [unrolled: 1-line block ×16, first 2 shown]
	s_clause 0x3
	global_load_b128 v[0:3], v[49:50], off offset:560
	global_load_b128 v[4:7], v[49:50], off offset:528
	;; [unrolled: 1-line block ×5, first 2 shown]
	s_waitcnt vmcnt(12)
	v_fma_f64 v[43:44], v[80:81], 0, v[43:44]
	v_fma_f64 v[45:46], v[80:81], 0, v[45:46]
	;; [unrolled: 1-line block ×16, first 2 shown]
	global_load_b128 v[39:42], v[108:109], off offset:48
	s_waitcnt vmcnt(12)
	v_fma_f64 v[72:73], v[84:85], 0, v[43:44]
	v_fma_f64 v[76:77], v[84:85], 0, v[45:46]
	;; [unrolled: 1-line block ×8, first 2 shown]
	s_clause 0x3
	global_load_b128 v[43:46], v[49:50], off offset:1056
	global_load_b128 v[56:59], v[49:50], off offset:1024
	;; [unrolled: 1-line block ×4, first 2 shown]
	v_fma_f64 v[70:71], v[70:71], v[86:87], v[72:73]
	v_fma_f64 v[72:73], v[66:67], v[86:87], v[76:77]
	;; [unrolled: 1-line block ×8, first 2 shown]
	v_lshlrev_b64 v[64:65], 4, v[114:115]
	s_delay_alu instid0(VALU_DEP_1) | instskip(NEXT) | instid1(VALU_DEP_2)
	v_add_co_u32 v112, vcc_lo, s4, v64
	v_add_co_ci_u32_e32 v113, vcc_lo, s5, v65, vcc_lo
	global_load_b128 v[64:67], v[112:113], off
	s_waitcnt vmcnt(12)
	v_fma_f64 v[70:71], v[104:105], 0, v[70:71]
	v_fma_f64 v[72:73], v[104:105], 0, v[72:73]
	;; [unrolled: 1-line block ×15, first 2 shown]
	global_load_b128 v[68:71], v[112:113], off offset:16
	v_fma_f64 v[74:75], v[96:97], v[106:107], v[74:75]
	s_waitcnt vmcnt(12)
	v_fma_f64 v[92:93], v[31:32], 0, v[92:93]
	v_fma_f64 v[72:73], v[31:32], 0, v[72:73]
	;; [unrolled: 1-line block ×16, first 2 shown]
	s_clause 0x3
	global_load_b128 v[31:34], v[49:50], off offset:1072
	global_load_b128 v[72:75], v[49:50], off offset:1040
	;; [unrolled: 1-line block ×5, first 2 shown]
	s_waitcnt vmcnt(12)
	v_fma_f64 v[92:93], v[35:36], 0, v[92:93]
	v_fma_f64 v[94:95], v[35:36], 0, v[94:95]
	;; [unrolled: 1-line block ×16, first 2 shown]
	global_load_b128 v[35:38], v[112:113], off offset:48
	s_waitcnt vmcnt(12)
	v_fma_f64 v[4:5], v[39:40], 0, v[4:5]
	v_fma_f64 v[0:1], v[39:40], 0, v[0:1]
	;; [unrolled: 1-line block ×7, first 2 shown]
	s_clause 0x3
	global_load_b128 v[92:95], v[49:50], off offset:1568
	global_load_b128 v[96:99], v[49:50], off offset:1536
	global_load_b128 v[100:103], v[49:50], off offset:1632
	global_load_b128 v[104:107], v[49:50], off offset:1600
	v_fma_f64 v[8:9], v[39:40], 0, v[8:9]
	v_subrev_nc_u32_e32 v39, s12, v116
	s_delay_alu instid0(VALU_DEP_1) | instskip(NEXT) | instid1(VALU_DEP_1)
	v_lshlrev_b32_e32 v39, 2, v39
	v_ashrrev_i32_e32 v40, 31, v39
	v_fma_f64 v[4:5], v[6:7], v[41:42], v[4:5]
	v_fma_f64 v[6:7], v[2:3], v[41:42], v[0:1]
	;; [unrolled: 1-line block ×7, first 2 shown]
	v_lshlrev_b64 v[0:1], 4, v[39:40]
	v_fma_f64 v[8:9], v[10:11], v[41:42], v[8:9]
	s_delay_alu instid0(VALU_DEP_2) | instskip(NEXT) | instid1(VALU_DEP_3)
	v_add_co_u32 v114, vcc_lo, s4, v0
	v_add_co_ci_u32_e32 v115, vcc_lo, s5, v1, vcc_lo
	v_add_co_u32 v51, vcc_lo, v51, 16
	v_add_co_ci_u32_e32 v52, vcc_lo, 0, v52, vcc_lo
	global_load_b128 v[0:3], v[114:115], off
	s_waitcnt vmcnt(12)
	v_fma_f64 v[4:5], v[64:65], 0, v[4:5]
	v_fma_f64 v[6:7], v[64:65], 0, v[6:7]
	;; [unrolled: 1-line block ×10, first 2 shown]
	global_load_b128 v[4:7], v[114:115], off offset:16
	v_fma_f64 v[10:11], 0x80000000, v[66:67], v[10:11]
	v_fma_f64 v[14:15], 0x80000000, v[66:67], v[14:15]
	;; [unrolled: 1-line block ×6, first 2 shown]
	s_waitcnt vmcnt(12)
	v_fma_f64 v[56:57], v[68:69], 0, v[56:57]
	v_fma_f64 v[43:44], v[68:69], 0, v[43:44]
	v_fma_f64 v[10:11], v[58:59], v[68:69], v[10:11]
	v_fma_f64 v[14:15], v[45:46], v[68:69], v[14:15]
	v_fma_f64 v[39:40], v[82:83], v[68:69], v[39:40]
	v_fma_f64 v[12:13], v[68:69], 0, v[12:13]
	v_fma_f64 v[41:42], v[62:63], v[68:69], v[41:42]
	v_fma_f64 v[8:9], v[68:69], 0, v[8:9]
	v_fma_f64 v[66:67], v[58:59], v[70:71], v[56:57]
	v_fma_f64 v[43:44], v[45:46], v[70:71], v[43:44]
	v_fma_f64 v[64:65], 0x80000000, v[70:71], v[10:11]
	v_fma_f64 v[68:69], 0x80000000, v[70:71], v[14:15]
	v_fma_f64 v[45:46], 0x80000000, v[70:71], v[39:40]
	v_fma_f64 v[80:81], v[82:83], v[70:71], v[12:13]
	v_fma_f64 v[82:83], 0x80000000, v[70:71], v[41:42]
	v_fma_f64 v[70:71], v[62:63], v[70:71], v[8:9]
	s_clause 0x3
	global_load_b128 v[8:11], v[49:50], off offset:1584
	global_load_b128 v[12:15], v[49:50], off offset:1552
	;; [unrolled: 1-line block ×5, first 2 shown]
	v_add_co_u32 v49, vcc_lo, 0x800, v49
	v_add_co_ci_u32_e32 v50, vcc_lo, 0, v50, vcc_lo
	v_cmp_ge_i64_e32 vcc_lo, v[51:52], v[27:28]
	s_or_b32 s10, vcc_lo, s10
	s_waitcnt vmcnt(12)
	v_fma_f64 v[66:67], v[88:89], 0, v[66:67]
	v_fma_f64 v[43:44], v[88:89], 0, v[43:44]
	;; [unrolled: 1-line block ×16, first 2 shown]
	global_load_b128 v[64:67], v[114:115], off offset:48
	s_waitcnt vmcnt(12)
	v_fma_f64 v[72:73], v[35:36], 0, v[72:73]
	v_fma_f64 v[31:32], v[35:36], 0, v[31:32]
	v_fma_f64 v[76:77], v[74:75], v[35:36], v[88:89]
	v_fma_f64 v[68:69], v[33:34], v[35:36], v[68:69]
	v_fma_f64 v[43:44], v[86:87], v[35:36], v[43:44]
	v_fma_f64 v[45:46], v[35:36], 0, v[45:46]
	v_fma_f64 v[80:81], v[78:79], v[35:36], v[80:81]
	v_fma_f64 v[35:36], v[35:36], 0, v[70:71]
	v_fma_f64 v[72:73], v[74:75], v[37:38], v[72:73]
	v_fma_f64 v[31:32], v[33:34], v[37:38], v[31:32]
	v_fma_f64 v[70:71], 0x80000000, v[37:38], v[76:77]
	v_fma_f64 v[68:69], 0x80000000, v[37:38], v[68:69]
	v_fma_f64 v[33:34], 0x80000000, v[37:38], v[43:44]
	v_fma_f64 v[43:44], v[86:87], v[37:38], v[45:46]
	v_fma_f64 v[45:46], 0x80000000, v[37:38], v[80:81]
	v_fma_f64 v[35:36], v[78:79], v[37:38], v[35:36]
	s_waitcnt vmcnt(7)
	v_fma_f64 v[31:32], v[0:1], 0, v[31:32]
	v_fma_f64 v[37:38], v[96:97], v[0:1], v[70:71]
	v_fma_f64 v[70:71], v[0:1], 0, v[72:73]
	v_fma_f64 v[68:69], v[92:93], v[0:1], v[68:69]
	v_fma_f64 v[33:34], v[104:105], v[0:1], v[33:34]
	v_fma_f64 v[43:44], v[0:1], 0, v[43:44]
	v_fma_f64 v[45:46], v[100:101], v[0:1], v[45:46]
	v_fma_f64 v[0:1], v[0:1], 0, v[35:36]
	v_fma_f64 v[31:32], v[92:93], v[2:3], v[31:32]
	v_fma_f64 v[35:36], 0x80000000, v[2:3], v[37:38]
	v_fma_f64 v[37:38], v[96:97], v[2:3], v[70:71]
	v_fma_f64 v[68:69], 0x80000000, v[2:3], v[68:69]
	v_fma_f64 v[33:34], 0x80000000, v[2:3], v[33:34]
	v_fma_f64 v[43:44], v[104:105], v[2:3], v[43:44]
	v_fma_f64 v[45:46], 0x80000000, v[2:3], v[45:46]
	v_fma_f64 v[0:1], v[100:101], v[2:3], v[0:1]
	;; [unrolled: 17-line block ×5, first 2 shown]
	s_and_not1_b32 exec_lo, exec_lo, s10
	s_cbranch_execnz .LBB140_23
; %bb.24:
	s_or_b32 exec_lo, exec_lo, s10
.LBB140_25:
	s_delay_alu instid0(SALU_CYCLE_1)
	s_or_b32 exec_lo, exec_lo, s7
.LBB140_26:
	s_delay_alu instid0(SALU_CYCLE_1)
	s_or_b32 exec_lo, exec_lo, s6
	s_cbranch_execz .LBB140_28
	s_branch .LBB140_39
.LBB140_27:
                                        ; implicit-def: $vgpr35_vgpr36
                                        ; implicit-def: $vgpr41_vgpr42
                                        ; implicit-def: $vgpr45_vgpr46
                                        ; implicit-def: $vgpr43_vgpr44
                                        ; implicit-def: $vgpr37_vgpr38
                                        ; implicit-def: $vgpr39_vgpr40
                                        ; implicit-def: $vgpr33_vgpr34
                                        ; implicit-def: $vgpr31_vgpr32
.LBB140_28:
	v_mov_b32_e32 v35, 0
	v_mov_b32_e32 v36, 0
	s_delay_alu instid0(VALU_DEP_2) | instskip(NEXT) | instid1(VALU_DEP_2)
	v_mov_b32_e32 v33, v35
	v_dual_mov_b32 v31, v35 :: v_dual_mov_b32 v32, v36
	v_dual_mov_b32 v42, v36 :: v_dual_mov_b32 v41, v35
	v_dual_mov_b32 v46, v36 :: v_dual_mov_b32 v45, v35
	v_dual_mov_b32 v44, v36 :: v_dual_mov_b32 v43, v35
	v_dual_mov_b32 v38, v36 :: v_dual_mov_b32 v37, v35
	v_dual_mov_b32 v40, v36 :: v_dual_mov_b32 v39, v35
	v_mov_b32_e32 v34, v36
	s_and_saveexec_b32 s1, s0
	s_cbranch_execz .LBB140_38
; %bb.29:
	v_or_b32_e32 v0, 4, v55
	v_not_b32_e32 v3, v47
	v_not_b32_e32 v2, v48
	s_mov_b32 s7, 0
	s_mov_b32 s6, exec_lo
	v_sub_co_u32 v0, s0, v0, s12
	s_delay_alu instid0(VALU_DEP_1) | instskip(SKIP_1) | instid1(VALU_DEP_3)
	v_sub_co_ci_u32_e64 v1, null, 0, 0, s0
	v_sub_co_u32 v4, s0, s12, v55
	v_add_co_u32 v0, vcc_lo, v0, v47
	s_delay_alu instid0(VALU_DEP_3) | instskip(SKIP_1) | instid1(VALU_DEP_2)
	v_add_co_ci_u32_e32 v1, vcc_lo, v1, v48, vcc_lo
	v_sub_co_ci_u32_e64 v5, null, 0, 0, s0
	v_cmp_gt_i64_e32 vcc_lo, v[0:1], v[27:28]
	v_dual_cndmask_b32 v1, v28, v1 :: v_dual_cndmask_b32 v0, v27, v0
	v_add_co_u32 v3, vcc_lo, v4, v3
	s_delay_alu instid0(VALU_DEP_4) | instskip(NEXT) | instid1(VALU_DEP_2)
	v_add_co_ci_u32_e32 v2, vcc_lo, v5, v2, vcc_lo
	v_add_co_u32 v0, vcc_lo, v3, v0
	s_delay_alu instid0(VALU_DEP_2) | instskip(NEXT) | instid1(VALU_DEP_2)
	v_add_co_ci_u32_e32 v1, vcc_lo, v2, v1, vcc_lo
	v_lshrrev_b32_e32 v2, 2, v0
	v_mov_b32_e32 v31, 0
	v_mov_b32_e32 v32, 0
	s_delay_alu instid0(VALU_DEP_3) | instskip(NEXT) | instid1(VALU_DEP_2)
	v_add_nc_u32_e32 v2, 1, v2
	v_mov_b32_e32 v38, v32
	v_mov_b32_e32 v44, v32
	;; [unrolled: 1-line block ×4, first 2 shown]
	v_dual_mov_b32 v36, v32 :: v_dual_mov_b32 v35, v31
	v_dual_mov_b32 v34, v32 :: v_dual_mov_b32 v33, v31
	;; [unrolled: 1-line block ×3, first 2 shown]
	v_dual_mov_b32 v37, v31 :: v_dual_and_b32 v2, 3, v2
	v_mov_b32_e32 v43, v31
	v_mov_b32_e32 v45, v31
	;; [unrolled: 1-line block ×3, first 2 shown]
	s_delay_alu instid0(VALU_DEP_4)
	v_cmpx_ne_u32_e32 0, v2
	s_cbranch_execz .LBB140_33
; %bb.30:
	v_lshlrev_b64 v[4:5], 2, v[25:26]
	v_dual_mov_b32 v35, 0 :: v_dual_lshlrev_b32 v2, 2, v2
	v_dual_mov_b32 v3, 0 :: v_dual_mov_b32 v36, 0
	s_delay_alu instid0(VALU_DEP_2) | instskip(NEXT) | instid1(VALU_DEP_4)
	v_mov_b32_e32 v33, v35
	v_add_co_u32 v4, vcc_lo, s8, v4
	v_add_co_ci_u32_e32 v5, vcc_lo, s9, v5, vcc_lo
	s_delay_alu instid0(VALU_DEP_4)
	v_mov_b32_e32 v34, v36
	v_dual_mov_b32 v42, v36 :: v_dual_mov_b32 v41, v35
	v_dual_mov_b32 v46, v36 :: v_dual_mov_b32 v45, v35
	;; [unrolled: 1-line block ×6, first 2 shown]
.LBB140_31:                             ; =>This Inner Loop Header: Depth=1
	global_load_b32 v14, v[4:5], off
	s_clause 0x1
	global_load_b128 v[6:9], v[29:30], off offset:16
	global_load_b128 v[10:13], v[29:30], off
	v_add_co_u32 v4, s0, v4, 16
	s_delay_alu instid0(VALU_DEP_1) | instskip(SKIP_2) | instid1(VALU_DEP_1)
	v_add_co_ci_u32_e64 v5, s0, 0, v5, s0
	s_waitcnt vmcnt(2)
	v_subrev_nc_u32_e32 v14, s12, v14
	v_lshlrev_b32_e32 v14, 2, v14
	s_delay_alu instid0(VALU_DEP_1) | instskip(NEXT) | instid1(VALU_DEP_1)
	v_ashrrev_i32_e32 v15, 31, v14
	v_lshlrev_b64 v[14:15], 4, v[14:15]
	s_waitcnt lgkmcnt(0)
	s_delay_alu instid0(VALU_DEP_1) | instskip(NEXT) | instid1(VALU_DEP_2)
	v_add_co_u32 v14, vcc_lo, s4, v14
	v_add_co_ci_u32_e32 v15, vcc_lo, s5, v15, vcc_lo
	s_clause 0x1
	global_load_b128 v[47:50], v[14:15], off
	global_load_b128 v[51:54], v[14:15], off offset:16
	s_clause 0x3
	global_load_b128 v[56:59], v[29:30], off offset:32
	global_load_b128 v[60:63], v[29:30], off offset:48
	;; [unrolled: 1-line block ×4, first 2 shown]
	s_clause 0x1
	global_load_b128 v[72:75], v[14:15], off offset:32
	global_load_b128 v[76:79], v[14:15], off offset:48
	s_clause 0x1
	global_load_b128 v[80:83], v[29:30], off offset:96
	global_load_b128 v[84:87], v[29:30], off offset:112
	v_add_co_u32 v29, vcc_lo, 0x200, v29
	v_add_co_ci_u32_e32 v30, vcc_lo, 0, v30, vcc_lo
	v_add_co_u32 v2, vcc_lo, v2, -4
	v_add_co_ci_u32_e32 v3, vcc_lo, -1, v3, vcc_lo
	v_add_co_u32 v25, vcc_lo, v25, 4
	v_add_co_ci_u32_e32 v26, vcc_lo, 0, v26, vcc_lo
	s_delay_alu instid0(VALU_DEP_3)
	v_cmp_eq_u64_e32 vcc_lo, 0, v[2:3]
	s_or_b32 s7, vcc_lo, s7
	s_waitcnt vmcnt(9)
	v_fma_f64 v[14:15], v[10:11], v[47:48], v[41:42]
	v_fma_f64 v[35:36], v[47:48], 0, v[35:36]
	;; [unrolled: 1-line block ×16, first 2 shown]
	s_waitcnt vmcnt(7)
	v_fma_f64 v[14:15], v[56:57], v[51:52], v[14:15]
	v_fma_f64 v[10:11], v[51:52], 0, v[10:11]
	;; [unrolled: 1-line block ×4, first 2 shown]
	s_waitcnt vmcnt(6)
	v_fma_f64 v[35:36], v[60:61], v[51:52], v[39:40]
	v_fma_f64 v[6:7], v[51:52], 0, v[6:7]
	v_fma_f64 v[31:32], v[62:63], v[51:52], v[31:32]
	v_fma_f64 v[8:9], v[51:52], 0, v[8:9]
	v_fma_f64 v[14:15], 0x80000000, v[53:54], v[14:15]
	v_fma_f64 v[10:11], v[56:57], v[53:54], v[10:11]
	v_fma_f64 v[33:34], 0x80000000, v[53:54], v[33:34]
	v_fma_f64 v[12:13], v[58:59], v[53:54], v[12:13]
	v_fma_f64 v[35:36], 0x80000000, v[53:54], v[35:36]
	v_fma_f64 v[6:7], v[60:61], v[53:54], v[6:7]
	v_fma_f64 v[31:32], 0x80000000, v[53:54], v[31:32]
	v_fma_f64 v[8:9], v[62:63], v[53:54], v[8:9]
	s_waitcnt vmcnt(3)
	v_fma_f64 v[14:15], v[68:69], v[72:73], v[14:15]
	v_fma_f64 v[10:11], v[72:73], 0, v[10:11]
	;; [unrolled: 1-line block ×16, first 2 shown]
	s_waitcnt vmcnt(1)
	v_fma_f64 v[14:15], v[80:81], v[76:77], v[14:15]
	v_fma_f64 v[10:11], v[76:77], 0, v[10:11]
	;; [unrolled: 1-line block ×4, first 2 shown]
	s_waitcnt vmcnt(0)
	v_fma_f64 v[37:38], v[84:85], v[76:77], v[35:36]
	v_fma_f64 v[6:7], v[76:77], 0, v[6:7]
	;; [unrolled: 1-line block ×12, first 2 shown]
	s_and_not1_b32 exec_lo, exec_lo, s7
	s_cbranch_execnz .LBB140_31
; %bb.32:
	s_or_b32 exec_lo, exec_lo, s7
.LBB140_33:
	s_delay_alu instid0(SALU_CYCLE_1) | instskip(NEXT) | instid1(SALU_CYCLE_1)
	s_or_b32 exec_lo, exec_lo, s6
	s_mov_b32 s6, exec_lo
	v_cmpx_lt_u64_e32 11, v[0:1]
	s_cbranch_execz .LBB140_37
; %bb.34:
	v_lshlrev_b64 v[0:1], 2, v[25:26]
	s_mov_b32 s7, 0
	s_delay_alu instid0(VALU_DEP_1) | instskip(NEXT) | instid1(VALU_DEP_2)
	v_add_co_u32 v0, vcc_lo, v0, s8
	v_add_co_ci_u32_e32 v1, vcc_lo, s9, v1, vcc_lo
	s_delay_alu instid0(VALU_DEP_2) | instskip(NEXT) | instid1(VALU_DEP_2)
	v_add_co_u32 v0, vcc_lo, v0, 32
	v_add_co_ci_u32_e32 v1, vcc_lo, 0, v1, vcc_lo
.LBB140_35:                             ; =>This Inner Loop Header: Depth=1
	s_clause 0x1
	global_load_b32 v2, v[0:1], off offset:-32
	global_load_b32 v15, v[0:1], off offset:-16
	s_clause 0x1
	global_load_b128 v[3:6], v[29:30], off offset:16
	global_load_b128 v[7:10], v[29:30], off
	s_clause 0x1
	global_load_b32 v102, v[0:1], off
	global_load_b32 v103, v[0:1], off offset:16
	v_add_co_u32 v0, s0, v0, 64
	s_delay_alu instid0(VALU_DEP_1) | instskip(SKIP_2) | instid1(VALU_DEP_1)
	v_add_co_ci_u32_e64 v1, s0, 0, v1, s0
	s_waitcnt vmcnt(5)
	v_subrev_nc_u32_e32 v2, s12, v2
	v_lshlrev_b32_e32 v11, 2, v2
	s_waitcnt vmcnt(4)
	v_subrev_nc_u32_e32 v2, s12, v15
	s_delay_alu instid0(VALU_DEP_2) | instskip(NEXT) | instid1(VALU_DEP_2)
	v_ashrrev_i32_e32 v12, 31, v11
	v_lshlrev_b32_e32 v92, 2, v2
	s_delay_alu instid0(VALU_DEP_2) | instskip(NEXT) | instid1(VALU_DEP_2)
	v_lshlrev_b64 v[11:12], 4, v[11:12]
	v_ashrrev_i32_e32 v93, 31, v92
	s_delay_alu instid0(VALU_DEP_1) | instskip(SKIP_1) | instid1(VALU_DEP_3)
	v_lshlrev_b64 v[92:93], 4, v[92:93]
	s_waitcnt lgkmcnt(0)
	v_add_co_u32 v80, vcc_lo, s4, v11
	s_delay_alu instid0(VALU_DEP_4)
	v_add_co_ci_u32_e32 v81, vcc_lo, s5, v12, vcc_lo
	global_load_b128 v[11:14], v[80:81], off
	s_clause 0x1
	global_load_b128 v[47:50], v[29:30], off offset:32
	global_load_b128 v[51:54], v[29:30], off offset:48
	global_load_b128 v[56:59], v[80:81], off offset:16
	s_clause 0x1
	global_load_b128 v[60:63], v[29:30], off offset:80
	global_load_b128 v[64:67], v[29:30], off offset:64
	global_load_b128 v[68:71], v[80:81], off offset:32
	;; [unrolled: 4-line block ×3, first 2 shown]
	s_clause 0x1
	global_load_b128 v[84:87], v[29:30], off offset:528
	global_load_b128 v[88:91], v[29:30], off offset:512
	v_add_co_u32 v96, vcc_lo, s4, v92
	v_add_co_ci_u32_e32 v97, vcc_lo, s5, v93, vcc_lo
	global_load_b128 v[92:95], v[96:97], off
	s_waitcnt vmcnt(12)
	v_fma_f64 v[35:36], v[11:12], 0, v[35:36]
	v_fma_f64 v[45:46], v[11:12], 0, v[45:46]
	v_fma_f64 v[41:42], v[7:8], v[11:12], v[41:42]
	v_fma_f64 v[43:44], v[9:10], v[11:12], v[43:44]
	v_fma_f64 v[39:40], v[3:4], v[11:12], v[39:40]
	v_fma_f64 v[37:38], v[11:12], 0, v[37:38]
	v_fma_f64 v[31:32], v[5:6], v[11:12], v[31:32]
	v_fma_f64 v[11:12], v[11:12], 0, v[33:34]
	v_fma_f64 v[33:34], v[7:8], v[13:14], v[35:36]
	v_fma_f64 v[35:36], v[9:10], v[13:14], v[45:46]
	v_fma_f64 v[41:42], 0x80000000, v[13:14], v[41:42]
	v_fma_f64 v[43:44], 0x80000000, v[13:14], v[43:44]
	v_fma_f64 v[39:40], 0x80000000, v[13:14], v[39:40]
	v_fma_f64 v[37:38], v[3:4], v[13:14], v[37:38]
	v_fma_f64 v[31:32], 0x80000000, v[13:14], v[31:32]
	v_fma_f64 v[14:15], v[5:6], v[13:14], v[11:12]
	s_clause 0x1
	global_load_b128 v[2:5], v[29:30], off offset:544
	global_load_b128 v[6:9], v[29:30], off offset:560
	global_load_b128 v[10:13], v[96:97], off offset:16
	s_waitcnt vmcnt(12)
	v_fma_f64 v[33:34], v[56:57], 0, v[33:34]
	v_fma_f64 v[35:36], v[56:57], 0, v[35:36]
	v_fma_f64 v[41:42], v[47:48], v[56:57], v[41:42]
	v_fma_f64 v[43:44], v[49:50], v[56:57], v[43:44]
	v_fma_f64 v[39:40], v[51:52], v[56:57], v[39:40]
	v_fma_f64 v[37:38], v[56:57], 0, v[37:38]
	v_fma_f64 v[31:32], v[53:54], v[56:57], v[31:32]
	v_fma_f64 v[14:15], v[56:57], 0, v[14:15]
	v_fma_f64 v[45:46], v[47:48], v[58:59], v[33:34]
	v_fma_f64 v[47:48], v[49:50], v[58:59], v[35:36]
	v_fma_f64 v[49:50], 0x80000000, v[58:59], v[41:42]
	v_fma_f64 v[43:44], 0x80000000, v[58:59], v[43:44]
	v_fma_f64 v[56:57], 0x80000000, v[58:59], v[39:40]
	v_fma_f64 v[51:52], v[51:52], v[58:59], v[37:38]
	v_fma_f64 v[98:99], 0x80000000, v[58:59], v[31:32]
	v_fma_f64 v[14:15], v[53:54], v[58:59], v[14:15]
	s_clause 0x1
	global_load_b128 v[31:34], v[29:30], off offset:592
	global_load_b128 v[35:38], v[29:30], off offset:576
	global_load_b128 v[39:42], v[96:97], off offset:32
	;; [unrolled: 21-line block ×3, first 2 shown]
	s_waitcnt vmcnt(12)
	v_fma_f64 v[70:71], v[80:81], 0, v[58:59]
	v_fma_f64 v[64:65], v[80:81], 0, v[64:65]
	;; [unrolled: 1-line block ×8, first 2 shown]
	v_subrev_nc_u32_e32 v80, s12, v102
	s_clause 0x1
	global_load_b128 v[56:59], v[29:30], off offset:1040
	global_load_b128 v[60:63], v[29:30], off offset:1024
	v_lshlrev_b32_e32 v80, 2, v80
	s_delay_alu instid0(VALU_DEP_1)
	v_ashrrev_i32_e32 v81, 31, v80
	v_fma_f64 v[70:71], v[72:73], v[82:83], v[70:71]
	v_fma_f64 v[72:73], v[74:75], v[82:83], v[64:65]
	;; [unrolled: 1-line block ×8, first 2 shown]
	v_lshlrev_b64 v[64:65], 4, v[80:81]
	s_delay_alu instid0(VALU_DEP_1) | instskip(NEXT) | instid1(VALU_DEP_2)
	v_add_co_u32 v80, vcc_lo, s4, v64
	v_add_co_ci_u32_e32 v81, vcc_lo, s5, v65, vcc_lo
	global_load_b128 v[64:67], v[80:81], off
	s_waitcnt vmcnt(12)
	v_fma_f64 v[70:71], v[92:93], 0, v[70:71]
	v_fma_f64 v[72:73], v[92:93], 0, v[72:73]
	v_fma_f64 v[74:75], v[88:89], v[92:93], v[74:75]
	v_fma_f64 v[68:69], v[90:91], v[92:93], v[68:69]
	v_fma_f64 v[78:79], v[84:85], v[92:93], v[96:97]
	v_fma_f64 v[76:77], v[92:93], 0, v[76:77]
	v_fma_f64 v[82:83], v[86:87], v[92:93], v[98:99]
	v_fma_f64 v[14:15], v[92:93], 0, v[14:15]
	v_fma_f64 v[88:89], v[88:89], v[94:95], v[70:71]
	v_fma_f64 v[90:91], v[90:91], v[94:95], v[72:73]
	v_fma_f64 v[92:93], 0x80000000, v[94:95], v[74:75]
	v_fma_f64 v[96:97], 0x80000000, v[94:95], v[68:69]
	v_fma_f64 v[98:99], 0x80000000, v[94:95], v[78:79]
	v_fma_f64 v[84:85], v[84:85], v[94:95], v[76:77]
	v_fma_f64 v[82:83], 0x80000000, v[94:95], v[82:83]
	v_fma_f64 v[14:15], v[86:87], v[94:95], v[14:15]
	s_clause 0x1
	global_load_b128 v[68:71], v[29:30], off offset:1056
	global_load_b128 v[72:75], v[29:30], off offset:1072
	global_load_b128 v[76:79], v[80:81], off offset:16
	s_waitcnt vmcnt(12)
	v_fma_f64 v[86:87], v[10:11], 0, v[88:89]
	v_fma_f64 v[88:89], v[10:11], 0, v[90:91]
	v_fma_f64 v[90:91], v[2:3], v[10:11], v[92:93]
	v_fma_f64 v[92:93], v[4:5], v[10:11], v[96:97]
	v_fma_f64 v[94:95], v[6:7], v[10:11], v[98:99]
	v_fma_f64 v[84:85], v[10:11], 0, v[84:85]
	v_fma_f64 v[82:83], v[8:9], v[10:11], v[82:83]
	v_fma_f64 v[10:11], v[10:11], 0, v[14:15]
	v_fma_f64 v[14:15], v[2:3], v[12:13], v[86:87]
	v_fma_f64 v[86:87], v[4:5], v[12:13], v[88:89]
	v_fma_f64 v[88:89], 0x80000000, v[12:13], v[90:91]
	v_fma_f64 v[90:91], 0x80000000, v[12:13], v[92:93]
	v_fma_f64 v[92:93], 0x80000000, v[12:13], v[94:95]
	v_fma_f64 v[84:85], v[6:7], v[12:13], v[84:85]
	v_fma_f64 v[82:83], 0x80000000, v[12:13], v[82:83]
	v_fma_f64 v[94:95], v[8:9], v[12:13], v[10:11]
	s_clause 0x1
	global_load_b128 v[2:5], v[29:30], off offset:1104
	global_load_b128 v[6:9], v[29:30], off offset:1088
	global_load_b128 v[10:13], v[80:81], off offset:32
	;; [unrolled: 21-line block ×3, first 2 shown]
	s_waitcnt vmcnt(12)
	v_fma_f64 v[14:15], v[51:52], 0, v[14:15]
	v_fma_f64 v[96:97], v[51:52], 0, v[86:87]
	v_fma_f64 v[88:89], v[43:44], v[51:52], v[88:89]
	v_fma_f64 v[90:91], v[45:46], v[51:52], v[90:91]
	v_fma_f64 v[92:93], v[47:48], v[51:52], v[92:93]
	v_fma_f64 v[98:99], v[51:52], 0, v[84:85]
	v_fma_f64 v[100:101], v[49:50], v[51:52], v[82:83]
	v_fma_f64 v[51:52], v[51:52], 0, v[94:95]
	v_subrev_nc_u32_e32 v94, s12, v103
	s_clause 0x1
	global_load_b128 v[80:83], v[29:30], off offset:1552
	global_load_b128 v[84:87], v[29:30], off offset:1536
	v_lshlrev_b32_e32 v94, 2, v94
	s_delay_alu instid0(VALU_DEP_1)
	v_ashrrev_i32_e32 v95, 31, v94
	v_fma_f64 v[14:15], v[43:44], v[53:54], v[14:15]
	v_fma_f64 v[96:97], v[45:46], v[53:54], v[96:97]
	;; [unrolled: 1-line block ×8, first 2 shown]
	v_lshlrev_b64 v[43:44], 4, v[94:95]
	s_delay_alu instid0(VALU_DEP_1) | instskip(NEXT) | instid1(VALU_DEP_2)
	v_add_co_u32 v94, vcc_lo, s4, v43
	v_add_co_ci_u32_e32 v95, vcc_lo, s5, v44, vcc_lo
	v_add_co_u32 v25, vcc_lo, v25, 16
	v_add_co_ci_u32_e32 v26, vcc_lo, 0, v26, vcc_lo
	global_load_b128 v[43:46], v[94:95], off
	s_waitcnt vmcnt(12)
	v_fma_f64 v[14:15], v[64:65], 0, v[14:15]
	v_fma_f64 v[51:52], v[60:61], v[64:65], v[88:89]
	v_fma_f64 v[53:54], v[62:63], v[64:65], v[90:91]
	v_fma_f64 v[88:89], v[64:65], 0, v[96:97]
	v_fma_f64 v[90:91], v[56:57], v[64:65], v[92:93]
	v_fma_f64 v[47:48], v[64:65], 0, v[47:48]
	v_fma_f64 v[92:93], v[58:59], v[64:65], v[98:99]
	v_fma_f64 v[49:50], v[64:65], 0, v[49:50]
	v_fma_f64 v[14:15], v[60:61], v[66:67], v[14:15]
	v_fma_f64 v[64:65], 0x80000000, v[66:67], v[51:52]
	v_fma_f64 v[60:61], 0x80000000, v[66:67], v[53:54]
	v_fma_f64 v[62:63], v[62:63], v[66:67], v[88:89]
	v_fma_f64 v[88:89], 0x80000000, v[66:67], v[90:91]
	v_fma_f64 v[90:91], v[56:57], v[66:67], v[47:48]
	v_fma_f64 v[92:93], 0x80000000, v[66:67], v[92:93]
	v_fma_f64 v[66:67], v[58:59], v[66:67], v[49:50]
	s_clause 0x1
	global_load_b128 v[47:50], v[29:30], off offset:1568
	global_load_b128 v[51:54], v[29:30], off offset:1584
	global_load_b128 v[56:59], v[94:95], off offset:16
	s_waitcnt vmcnt(12)
	v_fma_f64 v[14:15], v[76:77], 0, v[14:15]
	v_fma_f64 v[64:65], v[68:69], v[76:77], v[64:65]
	v_fma_f64 v[60:61], v[70:71], v[76:77], v[60:61]
	v_fma_f64 v[62:63], v[76:77], 0, v[62:63]
	v_fma_f64 v[88:89], v[72:73], v[76:77], v[88:89]
	v_fma_f64 v[90:91], v[76:77], 0, v[90:91]
	v_fma_f64 v[92:93], v[74:75], v[76:77], v[92:93]
	v_fma_f64 v[66:67], v[76:77], 0, v[66:67]
	v_fma_f64 v[14:15], v[68:69], v[78:79], v[14:15]
	v_fma_f64 v[76:77], 0x80000000, v[78:79], v[64:65]
	v_fma_f64 v[96:97], 0x80000000, v[78:79], v[60:61]
	v_fma_f64 v[98:99], v[70:71], v[78:79], v[62:63]
	v_fma_f64 v[88:89], 0x80000000, v[78:79], v[88:89]
	v_fma_f64 v[72:73], v[72:73], v[78:79], v[90:91]
	v_fma_f64 v[90:91], 0x80000000, v[78:79], v[92:93]
	v_fma_f64 v[74:75], v[74:75], v[78:79], v[66:67]
	s_clause 0x1
	global_load_b128 v[60:63], v[29:30], off offset:1616
	global_load_b128 v[64:67], v[29:30], off offset:1600
	global_load_b128 v[68:71], v[94:95], off offset:32
	;; [unrolled: 21-line block ×3, first 2 shown]
	v_add_co_u32 v29, vcc_lo, 0x800, v29
	v_add_co_ci_u32_e32 v30, vcc_lo, 0, v30, vcc_lo
	v_cmp_ge_i64_e32 vcc_lo, v[25:26], v[27:28]
	s_or_b32 s7, vcc_lo, s7
	s_waitcnt vmcnt(12)
	v_fma_f64 v[14:15], v[39:40], 0, v[14:15]
	v_fma_f64 v[74:75], v[31:32], v[39:40], v[74:75]
	v_fma_f64 v[76:77], v[33:34], v[39:40], v[76:77]
	v_fma_f64 v[78:79], v[39:40], 0, v[78:79]
	v_fma_f64 v[88:89], v[35:36], v[39:40], v[88:89]
	v_fma_f64 v[72:73], v[39:40], 0, v[72:73]
	v_fma_f64 v[90:91], v[37:38], v[39:40], v[90:91]
	v_fma_f64 v[39:40], v[39:40], 0, v[92:93]
	v_fma_f64 v[14:15], v[31:32], v[41:42], v[14:15]
	v_fma_f64 v[74:75], 0x80000000, v[41:42], v[74:75]
	v_fma_f64 v[31:32], 0x80000000, v[41:42], v[76:77]
	v_fma_f64 v[33:34], v[33:34], v[41:42], v[78:79]
	v_fma_f64 v[76:77], 0x80000000, v[41:42], v[88:89]
	v_fma_f64 v[35:36], v[35:36], v[41:42], v[72:73]
	v_fma_f64 v[72:73], 0x80000000, v[41:42], v[90:91]
	v_fma_f64 v[37:38], v[37:38], v[41:42], v[39:40]
	s_waitcnt vmcnt(9)
	v_fma_f64 v[14:15], v[43:44], 0, v[14:15]
	v_fma_f64 v[39:40], v[84:85], v[43:44], v[74:75]
	v_fma_f64 v[31:32], v[86:87], v[43:44], v[31:32]
	v_fma_f64 v[33:34], v[43:44], 0, v[33:34]
	v_fma_f64 v[41:42], v[80:81], v[43:44], v[76:77]
	v_fma_f64 v[35:36], v[43:44], 0, v[35:36]
	v_fma_f64 v[72:73], v[82:83], v[43:44], v[72:73]
	v_fma_f64 v[37:38], v[43:44], 0, v[37:38]
	v_fma_f64 v[14:15], v[84:85], v[45:46], v[14:15]
	v_fma_f64 v[39:40], 0x80000000, v[45:46], v[39:40]
	v_fma_f64 v[31:32], 0x80000000, v[45:46], v[31:32]
	v_fma_f64 v[33:34], v[86:87], v[45:46], v[33:34]
	v_fma_f64 v[41:42], 0x80000000, v[45:46], v[41:42]
	v_fma_f64 v[35:36], v[80:81], v[45:46], v[35:36]
	v_fma_f64 v[43:44], 0x80000000, v[45:46], v[72:73]
	v_fma_f64 v[37:38], v[82:83], v[45:46], v[37:38]
	;; [unrolled: 17-line block ×5, first 2 shown]
	s_and_not1_b32 exec_lo, exec_lo, s7
	s_cbranch_execnz .LBB140_35
; %bb.36:
	s_or_b32 exec_lo, exec_lo, s7
.LBB140_37:
	s_delay_alu instid0(SALU_CYCLE_1)
	s_or_b32 exec_lo, exec_lo, s6
.LBB140_38:
	s_delay_alu instid0(SALU_CYCLE_1)
	s_or_b32 exec_lo, exec_lo, s1
.LBB140_39:
	v_mbcnt_lo_u32_b32 v29, -1, 0
	s_delay_alu instid0(VALU_DEP_1) | instskip(NEXT) | instid1(VALU_DEP_1)
	v_xor_b32_e32 v0, 2, v29
	v_cmp_gt_i32_e32 vcc_lo, 32, v0
	v_cndmask_b32_e32 v0, v29, v0, vcc_lo
	s_delay_alu instid0(VALU_DEP_1)
	v_lshlrev_b32_e32 v14, 2, v0
	ds_bpermute_b32 v0, v14, v41
	ds_bpermute_b32 v1, v14, v42
	;; [unrolled: 1-line block ×16, first 2 shown]
	s_waitcnt lgkmcnt(0)
	v_add_f64 v[0:1], v[41:42], v[0:1]
	v_add_f64 v[27:28], v[35:36], v[2:3]
	;; [unrolled: 1-line block ×7, first 2 shown]
	v_xor_b32_e32 v12, 1, v29
	v_add_f64 v[8:9], v[33:34], v[25:26]
	s_delay_alu instid0(VALU_DEP_2) | instskip(SKIP_2) | instid1(VALU_DEP_2)
	v_cmp_gt_i32_e32 vcc_lo, 32, v12
	v_cndmask_b32_e32 v12, v29, v12, vcc_lo
	v_cmp_eq_u32_e32 vcc_lo, 3, v55
	v_lshlrev_b32_e32 v34, 2, v12
	ds_bpermute_b32 v12, v34, v0
	ds_bpermute_b32 v13, v34, v1
	;; [unrolled: 1-line block ×16, first 2 shown]
	s_and_b32 exec_lo, exec_lo, vcc_lo
	s_cbranch_execz .LBB140_12
; %bb.40:
	s_waitcnt lgkmcnt(12)
	v_add_f64 v[27:28], v[27:28], v[39:40]
	s_waitcnt lgkmcnt(8)
	v_add_f64 v[14:15], v[14:15], v[37:38]
	;; [unrolled: 2-line block ×4, first 2 shown]
	v_add_f64 v[0:1], v[0:1], v[12:13]
	v_add_f64 v[2:3], v[2:3], v[25:26]
	;; [unrolled: 1-line block ×4, first 2 shown]
	v_cmp_eq_f64_e32 vcc_lo, 0, v[16:17]
	v_cmp_eq_f64_e64 s0, 0, v[18:19]
	s_load_b64 s[2:3], s[2:3], 0x60
	v_mul_f64 v[4:5], v[27:28], -v[22:23]
	v_mul_f64 v[6:7], v[20:21], v[27:28]
	v_mul_f64 v[27:28], v[14:15], -v[22:23]
	v_mul_f64 v[31:32], v[20:21], v[14:15]
	;; [unrolled: 2-line block ×4, first 2 shown]
	s_and_b32 s0, vcc_lo, s0
	v_fma_f64 v[12:13], v[20:21], v[0:1], v[4:5]
	v_fma_f64 v[14:15], v[22:23], v[0:1], v[6:7]
	;; [unrolled: 1-line block ×8, first 2 shown]
	v_lshlrev_b32_e32 v20, 2, v24
	s_and_saveexec_b32 s1, s0
	s_delay_alu instid0(SALU_CYCLE_1)
	s_xor_b32 s0, exec_lo, s1
	s_cbranch_execz .LBB140_42
; %bb.41:
	s_delay_alu instid0(VALU_DEP_1) | instskip(NEXT) | instid1(VALU_DEP_1)
	v_ashrrev_i32_e32 v21, 31, v20
                                        ; implicit-def: $vgpr18_vgpr19
	v_lshlrev_b64 v[16:17], 4, v[20:21]
                                        ; implicit-def: $vgpr20
	s_waitcnt lgkmcnt(0)
	s_delay_alu instid0(VALU_DEP_1) | instskip(NEXT) | instid1(VALU_DEP_2)
	v_add_co_u32 v16, vcc_lo, s2, v16
	v_add_co_ci_u32_e32 v17, vcc_lo, s3, v17, vcc_lo
	s_clause 0x3
	global_store_b128 v[16:17], v[12:15], off
	global_store_b128 v[16:17], v[8:11], off offset:16
	global_store_b128 v[16:17], v[4:7], off offset:32
	;; [unrolled: 1-line block ×3, first 2 shown]
                                        ; implicit-def: $vgpr16_vgpr17
                                        ; implicit-def: $vgpr12_vgpr13
                                        ; implicit-def: $vgpr8_vgpr9
                                        ; implicit-def: $vgpr4_vgpr5
                                        ; implicit-def: $vgpr0_vgpr1
.LBB140_42:
	s_and_not1_saveexec_b32 s0, s0
	s_cbranch_execz .LBB140_12
; %bb.43:
	v_ashrrev_i32_e32 v21, 31, v20
	s_delay_alu instid0(VALU_DEP_1) | instskip(SKIP_1) | instid1(VALU_DEP_1)
	v_lshlrev_b64 v[20:21], 4, v[20:21]
	s_waitcnt lgkmcnt(0)
	v_add_co_u32 v36, vcc_lo, s2, v20
	s_delay_alu instid0(VALU_DEP_2)
	v_add_co_ci_u32_e32 v37, vcc_lo, s3, v21, vcc_lo
	s_clause 0x3
	global_load_b128 v[20:23], v[36:37], off
	global_load_b128 v[24:27], v[36:37], off offset:16
	global_load_b128 v[28:31], v[36:37], off offset:32
	;; [unrolled: 1-line block ×3, first 2 shown]
	s_waitcnt vmcnt(3)
	v_fma_f64 v[12:13], v[16:17], v[20:21], v[12:13]
	v_fma_f64 v[14:15], v[18:19], v[20:21], v[14:15]
	s_waitcnt vmcnt(2)
	v_fma_f64 v[8:9], v[16:17], v[24:25], v[8:9]
	v_fma_f64 v[10:11], v[18:19], v[24:25], v[10:11]
	;; [unrolled: 3-line block ×4, first 2 shown]
	v_fma_f64 v[0:1], -v[18:19], v[22:23], v[12:13]
	v_fma_f64 v[2:3], v[16:17], v[22:23], v[14:15]
	v_fma_f64 v[4:5], -v[18:19], v[26:27], v[8:9]
	v_fma_f64 v[6:7], v[16:17], v[26:27], v[10:11]
	;; [unrolled: 2-line block ×4, first 2 shown]
	s_clause 0x3
	global_store_b128 v[36:37], v[0:3], off
	global_store_b128 v[36:37], v[4:7], off offset:16
	global_store_b128 v[36:37], v[8:11], off offset:32
	;; [unrolled: 1-line block ×3, first 2 shown]
	s_nop 0
	s_sendmsg sendmsg(MSG_DEALLOC_VGPRS)
	s_endpgm
	.section	.rodata,"a",@progbits
	.p2align	6, 0x0
	.amdhsa_kernel _ZN9rocsparseL18bsrxmvn_4x4_kernelILj128ELj4E21rocsparse_complex_numIdElidS2_S2_EEvT3_20rocsparse_direction_NS_24const_host_device_scalarIT1_EES3_PKS3_PKT2_SC_S9_PKT4_PKT5_S7_PT6_21rocsparse_index_base_b
		.amdhsa_group_segment_fixed_size 2048
		.amdhsa_private_segment_fixed_size 0
		.amdhsa_kernarg_size 112
		.amdhsa_user_sgpr_count 15
		.amdhsa_user_sgpr_dispatch_ptr 1
		.amdhsa_user_sgpr_queue_ptr 0
		.amdhsa_user_sgpr_kernarg_segment_ptr 1
		.amdhsa_user_sgpr_dispatch_id 0
		.amdhsa_user_sgpr_private_segment_size 0
		.amdhsa_wavefront_size32 1
		.amdhsa_uses_dynamic_stack 0
		.amdhsa_enable_private_segment 0
		.amdhsa_system_sgpr_workgroup_id_x 1
		.amdhsa_system_sgpr_workgroup_id_y 0
		.amdhsa_system_sgpr_workgroup_id_z 0
		.amdhsa_system_sgpr_workgroup_info 0
		.amdhsa_system_vgpr_workitem_id 2
		.amdhsa_next_free_vgpr 117
		.amdhsa_next_free_sgpr 18
		.amdhsa_reserve_vcc 1
		.amdhsa_float_round_mode_32 0
		.amdhsa_float_round_mode_16_64 0
		.amdhsa_float_denorm_mode_32 3
		.amdhsa_float_denorm_mode_16_64 3
		.amdhsa_dx10_clamp 1
		.amdhsa_ieee_mode 1
		.amdhsa_fp16_overflow 0
		.amdhsa_workgroup_processor_mode 1
		.amdhsa_memory_ordered 1
		.amdhsa_forward_progress 0
		.amdhsa_shared_vgpr_count 0
		.amdhsa_exception_fp_ieee_invalid_op 0
		.amdhsa_exception_fp_denorm_src 0
		.amdhsa_exception_fp_ieee_div_zero 0
		.amdhsa_exception_fp_ieee_overflow 0
		.amdhsa_exception_fp_ieee_underflow 0
		.amdhsa_exception_fp_ieee_inexact 0
		.amdhsa_exception_int_div_zero 0
	.end_amdhsa_kernel
	.section	.text._ZN9rocsparseL18bsrxmvn_4x4_kernelILj128ELj4E21rocsparse_complex_numIdElidS2_S2_EEvT3_20rocsparse_direction_NS_24const_host_device_scalarIT1_EES3_PKS3_PKT2_SC_S9_PKT4_PKT5_S7_PT6_21rocsparse_index_base_b,"axG",@progbits,_ZN9rocsparseL18bsrxmvn_4x4_kernelILj128ELj4E21rocsparse_complex_numIdElidS2_S2_EEvT3_20rocsparse_direction_NS_24const_host_device_scalarIT1_EES3_PKS3_PKT2_SC_S9_PKT4_PKT5_S7_PT6_21rocsparse_index_base_b,comdat
.Lfunc_end140:
	.size	_ZN9rocsparseL18bsrxmvn_4x4_kernelILj128ELj4E21rocsparse_complex_numIdElidS2_S2_EEvT3_20rocsparse_direction_NS_24const_host_device_scalarIT1_EES3_PKS3_PKT2_SC_S9_PKT4_PKT5_S7_PT6_21rocsparse_index_base_b, .Lfunc_end140-_ZN9rocsparseL18bsrxmvn_4x4_kernelILj128ELj4E21rocsparse_complex_numIdElidS2_S2_EEvT3_20rocsparse_direction_NS_24const_host_device_scalarIT1_EES3_PKS3_PKT2_SC_S9_PKT4_PKT5_S7_PT6_21rocsparse_index_base_b
                                        ; -- End function
	.section	.AMDGPU.csdata,"",@progbits
; Kernel info:
; codeLenInByte = 10568
; NumSgprs: 20
; NumVgprs: 117
; ScratchSize: 0
; MemoryBound: 0
; FloatMode: 240
; IeeeMode: 1
; LDSByteSize: 2048 bytes/workgroup (compile time only)
; SGPRBlocks: 2
; VGPRBlocks: 14
; NumSGPRsForWavesPerEU: 20
; NumVGPRsForWavesPerEU: 117
; Occupancy: 12
; WaveLimiterHint : 1
; COMPUTE_PGM_RSRC2:SCRATCH_EN: 0
; COMPUTE_PGM_RSRC2:USER_SGPR: 15
; COMPUTE_PGM_RSRC2:TRAP_HANDLER: 0
; COMPUTE_PGM_RSRC2:TGID_X_EN: 1
; COMPUTE_PGM_RSRC2:TGID_Y_EN: 0
; COMPUTE_PGM_RSRC2:TGID_Z_EN: 0
; COMPUTE_PGM_RSRC2:TIDIG_COMP_CNT: 2
	.section	.text._ZN9rocsparseL18bsrxmvn_4x4_kernelILj128ELj8E21rocsparse_complex_numIdElidS2_S2_EEvT3_20rocsparse_direction_NS_24const_host_device_scalarIT1_EES3_PKS3_PKT2_SC_S9_PKT4_PKT5_S7_PT6_21rocsparse_index_base_b,"axG",@progbits,_ZN9rocsparseL18bsrxmvn_4x4_kernelILj128ELj8E21rocsparse_complex_numIdElidS2_S2_EEvT3_20rocsparse_direction_NS_24const_host_device_scalarIT1_EES3_PKS3_PKT2_SC_S9_PKT4_PKT5_S7_PT6_21rocsparse_index_base_b,comdat
	.globl	_ZN9rocsparseL18bsrxmvn_4x4_kernelILj128ELj8E21rocsparse_complex_numIdElidS2_S2_EEvT3_20rocsparse_direction_NS_24const_host_device_scalarIT1_EES3_PKS3_PKT2_SC_S9_PKT4_PKT5_S7_PT6_21rocsparse_index_base_b ; -- Begin function _ZN9rocsparseL18bsrxmvn_4x4_kernelILj128ELj8E21rocsparse_complex_numIdElidS2_S2_EEvT3_20rocsparse_direction_NS_24const_host_device_scalarIT1_EES3_PKS3_PKT2_SC_S9_PKT4_PKT5_S7_PT6_21rocsparse_index_base_b
	.p2align	8
	.type	_ZN9rocsparseL18bsrxmvn_4x4_kernelILj128ELj8E21rocsparse_complex_numIdElidS2_S2_EEvT3_20rocsparse_direction_NS_24const_host_device_scalarIT1_EES3_PKS3_PKT2_SC_S9_PKT4_PKT5_S7_PT6_21rocsparse_index_base_b,@function
_ZN9rocsparseL18bsrxmvn_4x4_kernelILj128ELj8E21rocsparse_complex_numIdElidS2_S2_EEvT3_20rocsparse_direction_NS_24const_host_device_scalarIT1_EES3_PKS3_PKT2_SC_S9_PKT4_PKT5_S7_PT6_21rocsparse_index_base_b: ; @_ZN9rocsparseL18bsrxmvn_4x4_kernelILj128ELj8E21rocsparse_complex_numIdElidS2_S2_EEvT3_20rocsparse_direction_NS_24const_host_device_scalarIT1_EES3_PKS3_PKT2_SC_S9_PKT4_PKT5_S7_PT6_21rocsparse_index_base_b
; %bb.0:
	s_load_b64 s[12:13], s[2:3], 0x68
	s_load_b64 s[16:17], s[0:1], 0x4
	s_load_b128 s[8:11], s[2:3], 0x8
	v_bfe_u32 v2, v0, 10, 10
	s_mov_b64 s[0:1], src_shared_base
	s_load_b128 s[4:7], s[2:3], 0x50
	v_and_b32_e32 v1, 0x3ff, v0
	v_bfe_u32 v0, v0, 20, 10
	s_waitcnt lgkmcnt(0)
	s_bitcmp1_b32 s13, 0
	v_mul_u32_u24_e32 v2, s17, v2
	s_cselect_b32 s0, -1, 0
	v_mov_b32_e32 v23, s11
	s_and_b32 vcc_lo, s0, exec_lo
	s_cselect_b32 s13, s1, s9
	s_lshr_b32 s14, s16, 16
	v_dual_mov_b32 v4, s4 :: v_dual_mov_b32 v5, s5
	s_mul_i32 s14, s14, s17
	v_dual_mov_b32 v7, s13 :: v_dual_mov_b32 v22, s10
	v_mad_u32_u24 v2, s14, v1, v2
	s_xor_b32 s10, s0, -1
	s_delay_alu instid0(VALU_DEP_1) | instskip(SKIP_1) | instid1(VALU_DEP_2)
	v_add_lshl_u32 v0, v2, v0, 3
	v_dual_mov_b32 v2, s8 :: v_dual_mov_b32 v3, s9
	v_add_nc_u32_e32 v6, 0x400, v0
	ds_store_2addr_stride64_b64 v0, v[4:5], v[2:3] offset1:2
	v_cndmask_b32_e64 v6, s8, v6, s0
	flat_load_b64 v[20:21], v[6:7]
	s_cbranch_vccnz .LBB141_2
; %bb.1:
	v_dual_mov_b32 v2, s8 :: v_dual_mov_b32 v3, s9
	flat_load_b64 v[22:23], v[2:3] offset:8
.LBB141_2:
	s_and_b32 s8, s0, exec_lo
	s_cselect_b32 s1, s1, s5
	v_cndmask_b32_e64 v2, s4, v0, s0
	v_mov_b32_e32 v3, s1
	v_dual_mov_b32 v19, s7 :: v_dual_mov_b32 v18, s6
	s_and_not1_b32 vcc_lo, exec_lo, s10
	flat_load_b64 v[16:17], v[2:3]
	s_cbranch_vccnz .LBB141_4
; %bb.3:
	v_dual_mov_b32 v2, s4 :: v_dual_mov_b32 v3, s5
	flat_load_b64 v[18:19], v[2:3] offset:8
.LBB141_4:
	s_waitcnt vmcnt(1) lgkmcnt(1)
	v_cmp_eq_f64_e32 vcc_lo, 0, v[20:21]
	v_cmp_eq_f64_e64 s0, 0, v[22:23]
	s_delay_alu instid0(VALU_DEP_1)
	s_and_b32 s4, vcc_lo, s0
	s_mov_b32 s0, -1
	s_and_saveexec_b32 s1, s4
	s_cbranch_execz .LBB141_6
; %bb.5:
	s_waitcnt vmcnt(0) lgkmcnt(0)
	v_cmp_neq_f64_e32 vcc_lo, 1.0, v[16:17]
	v_cmp_neq_f64_e64 s0, 0, v[18:19]
	s_delay_alu instid0(VALU_DEP_1) | instskip(NEXT) | instid1(SALU_CYCLE_1)
	s_or_b32 s0, vcc_lo, s0
	s_or_not1_b32 s0, s0, exec_lo
.LBB141_6:
	s_or_b32 exec_lo, exec_lo, s1
	s_and_saveexec_b32 s1, s0
	s_cbranch_execz .LBB141_12
; %bb.7:
	s_clause 0x1
	s_load_b64 s[4:5], s[2:3], 0x20
	s_load_b64 s[0:1], s[2:3], 0x0
	v_lshrrev_b32_e32 v0, 3, v1
	s_delay_alu instid0(VALU_DEP_1)
	v_lshl_or_b32 v24, s15, 4, v0
	s_waitcnt lgkmcnt(0)
	s_cmp_lg_u64 s[4:5], 0
	s_cbranch_scc0 .LBB141_13
; %bb.8:
	s_load_b32 s6, s[2:3], 0x18
	s_mov_b32 s7, 0
                                        ; implicit-def: $vgpr0
	s_waitcnt lgkmcnt(0)
	v_cmp_gt_i32_e32 vcc_lo, s6, v24
	s_mov_b32 s6, 0
	s_and_saveexec_b32 s8, vcc_lo
	s_delay_alu instid0(SALU_CYCLE_1)
	s_xor_b32 s8, exec_lo, s8
	s_cbranch_execz .LBB141_10
; %bb.9:
	v_ashrrev_i32_e32 v25, 31, v24
	s_mov_b32 s6, exec_lo
	s_delay_alu instid0(VALU_DEP_1) | instskip(NEXT) | instid1(VALU_DEP_1)
	v_lshlrev_b64 v[2:3], 2, v[24:25]
	v_add_co_u32 v2, vcc_lo, s4, v2
	s_delay_alu instid0(VALU_DEP_2)
	v_add_co_ci_u32_e32 v3, vcc_lo, s5, v3, vcc_lo
	global_load_b32 v0, v[2:3], off
	s_waitcnt vmcnt(0)
	v_subrev_nc_u32_e32 v0, s12, v0
.LBB141_10:
	s_or_b32 exec_lo, exec_lo, s8
	s_delay_alu instid0(SALU_CYCLE_1)
	s_and_b32 vcc_lo, exec_lo, s7
	s_cbranch_vccz .LBB141_14
.LBB141_11:
	v_cmp_gt_i32_e32 vcc_lo, s0, v24
	s_and_not1_b32 s0, s6, exec_lo
	s_and_b32 s4, vcc_lo, exec_lo
	s_delay_alu instid0(SALU_CYCLE_1) | instskip(NEXT) | instid1(SALU_CYCLE_1)
	s_or_b32 s6, s0, s4
	s_and_b32 exec_lo, exec_lo, s6
	s_cbranch_execnz .LBB141_15
.LBB141_12:
	s_nop 0
	s_sendmsg sendmsg(MSG_DEALLOC_VGPRS)
	s_endpgm
.LBB141_13:
	s_mov_b32 s6, 0
                                        ; implicit-def: $vgpr0
	s_cbranch_execnz .LBB141_11
.LBB141_14:
	s_delay_alu instid0(VALU_DEP_1)
	v_mov_b32_e32 v24, v0
	s_and_b32 exec_lo, exec_lo, s6
	s_cbranch_execz .LBB141_12
.LBB141_15:
	s_load_b256 s[4:11], s[2:3], 0x28
	s_delay_alu instid0(VALU_DEP_1) | instskip(SKIP_1) | instid1(VALU_DEP_2)
	v_ashrrev_i32_e32 v25, 31, v24
	v_and_b32_e32 v55, 7, v1
	v_lshlrev_b64 v[2:3], 3, v[24:25]
	s_waitcnt lgkmcnt(0)
	s_delay_alu instid0(VALU_DEP_1) | instskip(NEXT) | instid1(VALU_DEP_2)
	v_add_co_u32 v4, vcc_lo, s4, v2
	v_add_co_ci_u32_e32 v5, vcc_lo, s5, v3, vcc_lo
	v_add_co_u32 v0, vcc_lo, s6, v2
	v_add_co_ci_u32_e32 v2, vcc_lo, s7, v3, vcc_lo
	s_delay_alu instid0(VALU_DEP_4)
	v_add_co_u32 v6, vcc_lo, v4, 8
	global_load_b64 v[47:48], v[4:5], off
	v_add_co_ci_u32_e32 v3, vcc_lo, 0, v5, vcc_lo
	s_cmp_eq_u64 s[6:7], 0
	s_load_b64 s[4:5], s[2:3], 0x48
	s_cselect_b32 vcc_lo, -1, 0
	s_cmp_eq_u32 s1, 1
	v_dual_cndmask_b32 v3, v2, v3 :: v_dual_cndmask_b32 v2, v0, v6
	global_load_b64 v[2:3], v[2:3], off
	s_waitcnt vmcnt(1)
	v_sub_co_u32 v0, vcc_lo, v47, s12
	v_subrev_co_ci_u32_e32 v1, vcc_lo, 0, v48, vcc_lo
	s_delay_alu instid0(VALU_DEP_2) | instskip(NEXT) | instid1(VALU_DEP_2)
	v_add_co_u32 v25, vcc_lo, v0, v55
	v_add_co_ci_u32_e32 v26, vcc_lo, 0, v1, vcc_lo
	s_delay_alu instid0(VALU_DEP_1) | instskip(SKIP_3) | instid1(VALU_DEP_3)
	v_lshlrev_b64 v[0:1], 7, v[25:26]
	s_waitcnt vmcnt(0)
	v_sub_co_u32 v27, vcc_lo, v2, s12
	v_subrev_co_ci_u32_e32 v28, vcc_lo, 0, v3, vcc_lo
	v_add_co_u32 v29, vcc_lo, s10, v0
	s_delay_alu instid0(VALU_DEP_2)
	v_cmp_lt_i64_e64 s0, v[25:26], v[27:28]
	v_add_co_ci_u32_e32 v30, vcc_lo, s11, v1, vcc_lo
	s_cbranch_scc1 .LBB141_27
; %bb.16:
	v_mov_b32_e32 v35, 0
	v_mov_b32_e32 v36, 0
	s_delay_alu instid0(VALU_DEP_2) | instskip(NEXT) | instid1(VALU_DEP_2)
	v_mov_b32_e32 v33, v35
	v_dual_mov_b32 v31, v35 :: v_dual_mov_b32 v32, v36
	v_dual_mov_b32 v42, v36 :: v_dual_mov_b32 v41, v35
	;; [unrolled: 1-line block ×6, first 2 shown]
	v_mov_b32_e32 v34, v36
	s_and_saveexec_b32 s6, s0
	s_cbranch_execz .LBB141_26
; %bb.17:
	v_or_b32_e32 v0, 8, v55
	v_not_b32_e32 v3, v47
	v_not_b32_e32 v2, v48
	v_mov_b32_e32 v52, v26
	s_mov_b32 s10, 0
	v_sub_co_u32 v0, s1, v0, s12
	s_delay_alu instid0(VALU_DEP_1) | instskip(SKIP_1) | instid1(VALU_DEP_3)
	v_sub_co_ci_u32_e64 v1, null, 0, 0, s1
	v_sub_co_u32 v4, s1, s12, v55
	v_add_co_u32 v0, vcc_lo, v0, v47
	s_delay_alu instid0(VALU_DEP_3) | instskip(SKIP_2) | instid1(VALU_DEP_2)
	v_add_co_ci_u32_e32 v1, vcc_lo, v1, v48, vcc_lo
	v_sub_co_ci_u32_e64 v5, null, 0, 0, s1
	s_mov_b32 s7, exec_lo
	v_cmp_gt_i64_e32 vcc_lo, v[0:1], v[27:28]
	v_mov_b32_e32 v51, v25
	v_dual_cndmask_b32 v1, v28, v1 :: v_dual_cndmask_b32 v0, v27, v0
	v_add_co_u32 v3, vcc_lo, v4, v3
	v_add_co_ci_u32_e32 v2, vcc_lo, v5, v2, vcc_lo
	s_delay_alu instid0(VALU_DEP_2) | instskip(NEXT) | instid1(VALU_DEP_2)
	v_add_co_u32 v0, vcc_lo, v3, v0
	v_add_co_ci_u32_e32 v1, vcc_lo, v2, v1, vcc_lo
	s_delay_alu instid0(VALU_DEP_2) | instskip(SKIP_3) | instid1(VALU_DEP_4)
	v_lshrrev_b32_e32 v2, 3, v0
	v_mov_b32_e32 v31, 0
	v_mov_b32_e32 v32, 0
	v_dual_mov_b32 v50, v30 :: v_dual_mov_b32 v49, v29
	v_add_nc_u32_e32 v2, 1, v2
	s_delay_alu instid0(VALU_DEP_3)
	v_mov_b32_e32 v34, v32
	v_mov_b32_e32 v40, v32
	;; [unrolled: 1-line block ×6, first 2 shown]
	v_dual_mov_b32 v36, v32 :: v_dual_mov_b32 v33, v31
	v_mov_b32_e32 v39, v31
	v_dual_mov_b32 v37, v31 :: v_dual_and_b32 v2, 3, v2
	v_mov_b32_e32 v45, v31
	v_mov_b32_e32 v43, v31
	;; [unrolled: 1-line block ×4, first 2 shown]
	v_cmpx_ne_u32_e32 0, v2
	s_cbranch_execz .LBB141_21
; %bb.18:
	v_lshlrev_b64 v[4:5], 2, v[25:26]
	v_dual_mov_b32 v35, 0 :: v_dual_lshlrev_b32 v2, 2, v2
	v_dual_mov_b32 v3, 0 :: v_dual_mov_b32 v36, 0
	v_dual_mov_b32 v52, v26 :: v_dual_mov_b32 v51, v25
	s_delay_alu instid0(VALU_DEP_4)
	v_add_co_u32 v4, vcc_lo, s8, v4
	v_add_co_ci_u32_e32 v5, vcc_lo, s9, v5, vcc_lo
	v_dual_mov_b32 v50, v30 :: v_dual_mov_b32 v49, v29
	v_dual_mov_b32 v42, v36 :: v_dual_mov_b32 v41, v35
	;; [unrolled: 1-line block ×8, first 2 shown]
.LBB141_19:                             ; =>This Inner Loop Header: Depth=1
	global_load_b32 v14, v[4:5], off
	s_clause 0x7
	global_load_b128 v[6:9], v[49:50], off offset:48
	global_load_b128 v[10:13], v[49:50], off offset:32
	;; [unrolled: 1-line block ×3, first 2 shown]
	global_load_b128 v[60:63], v[49:50], off
	global_load_b128 v[64:67], v[49:50], off offset:112
	global_load_b128 v[68:71], v[49:50], off offset:96
	;; [unrolled: 1-line block ×4, first 2 shown]
	v_add_co_u32 v4, s1, v4, 32
	s_delay_alu instid0(VALU_DEP_1) | instskip(SKIP_2) | instid1(VALU_DEP_1)
	v_add_co_ci_u32_e64 v5, s1, 0, v5, s1
	s_waitcnt vmcnt(8)
	v_subrev_nc_u32_e32 v14, s12, v14
	v_lshlrev_b32_e32 v14, 2, v14
	s_delay_alu instid0(VALU_DEP_1) | instskip(NEXT) | instid1(VALU_DEP_1)
	v_ashrrev_i32_e32 v15, 31, v14
	v_lshlrev_b64 v[14:15], 4, v[14:15]
	s_waitcnt lgkmcnt(0)
	s_delay_alu instid0(VALU_DEP_1) | instskip(NEXT) | instid1(VALU_DEP_2)
	v_add_co_u32 v14, vcc_lo, s4, v14
	v_add_co_ci_u32_e32 v15, vcc_lo, s5, v15, vcc_lo
	v_add_co_u32 v49, vcc_lo, 0x400, v49
	v_add_co_ci_u32_e32 v50, vcc_lo, 0, v50, vcc_lo
	s_clause 0x3
	global_load_b128 v[80:83], v[14:15], off
	global_load_b128 v[84:87], v[14:15], off offset:16
	global_load_b128 v[88:91], v[14:15], off offset:32
	;; [unrolled: 1-line block ×3, first 2 shown]
	v_add_co_u32 v2, vcc_lo, v2, -4
	v_add_co_ci_u32_e32 v3, vcc_lo, -1, v3, vcc_lo
	v_add_co_u32 v51, vcc_lo, v51, 8
	v_add_co_ci_u32_e32 v52, vcc_lo, 0, v52, vcc_lo
	s_delay_alu instid0(VALU_DEP_3)
	v_cmp_eq_u64_e32 vcc_lo, 0, v[2:3]
	s_or_b32 s10, vcc_lo, s10
	s_waitcnt vmcnt(3)
	v_fma_f64 v[14:15], v[60:61], v[80:81], v[41:42]
	v_fma_f64 v[35:36], v[80:81], 0, v[35:36]
	v_fma_f64 v[41:42], v[10:11], v[80:81], v[43:44]
	v_fma_f64 v[43:44], v[80:81], 0, v[45:46]
	v_fma_f64 v[39:40], v[76:77], v[80:81], v[39:40]
	v_fma_f64 v[37:38], v[80:81], 0, v[37:38]
	v_fma_f64 v[31:32], v[68:69], v[80:81], v[31:32]
	v_fma_f64 v[33:34], v[80:81], 0, v[33:34]
	v_fma_f64 v[14:15], 0x80000000, v[82:83], v[14:15]
	v_fma_f64 v[35:36], v[60:61], v[82:83], v[35:36]
	v_fma_f64 v[41:42], 0x80000000, v[82:83], v[41:42]
	v_fma_f64 v[10:11], v[10:11], v[82:83], v[43:44]
	v_fma_f64 v[39:40], 0x80000000, v[82:83], v[39:40]
	v_fma_f64 v[37:38], v[76:77], v[82:83], v[37:38]
	v_fma_f64 v[31:32], 0x80000000, v[82:83], v[31:32]
	v_fma_f64 v[33:34], v[68:69], v[82:83], v[33:34]
	s_waitcnt vmcnt(2)
	v_fma_f64 v[14:15], v[62:63], v[84:85], v[14:15]
	v_fma_f64 v[35:36], v[84:85], 0, v[35:36]
	v_fma_f64 v[41:42], v[12:13], v[84:85], v[41:42]
	v_fma_f64 v[10:11], v[84:85], 0, v[10:11]
	v_fma_f64 v[39:40], v[78:79], v[84:85], v[39:40]
	v_fma_f64 v[37:38], v[84:85], 0, v[37:38]
	v_fma_f64 v[31:32], v[70:71], v[84:85], v[31:32]
	v_fma_f64 v[33:34], v[84:85], 0, v[33:34]
	v_fma_f64 v[14:15], 0x80000000, v[86:87], v[14:15]
	v_fma_f64 v[35:36], v[62:63], v[86:87], v[35:36]
	v_fma_f64 v[41:42], 0x80000000, v[86:87], v[41:42]
	v_fma_f64 v[10:11], v[12:13], v[86:87], v[10:11]
	v_fma_f64 v[12:13], 0x80000000, v[86:87], v[39:40]
	v_fma_f64 v[37:38], v[78:79], v[86:87], v[37:38]
	v_fma_f64 v[31:32], 0x80000000, v[86:87], v[31:32]
	v_fma_f64 v[33:34], v[70:71], v[86:87], v[33:34]
	;; [unrolled: 17-line block ×4, first 2 shown]
	s_and_not1_b32 exec_lo, exec_lo, s10
	s_cbranch_execnz .LBB141_19
; %bb.20:
	s_or_b32 exec_lo, exec_lo, s10
.LBB141_21:
	s_delay_alu instid0(SALU_CYCLE_1) | instskip(NEXT) | instid1(SALU_CYCLE_1)
	s_or_b32 exec_lo, exec_lo, s7
	s_mov_b32 s7, exec_lo
	v_cmpx_lt_u64_e32 23, v[0:1]
	s_cbranch_execz .LBB141_25
; %bb.22:
	v_lshlrev_b64 v[0:1], 2, v[51:52]
	s_mov_b32 s10, 0
	s_delay_alu instid0(VALU_DEP_1) | instskip(NEXT) | instid1(VALU_DEP_2)
	v_add_co_u32 v0, vcc_lo, v0, s8
	v_add_co_ci_u32_e32 v1, vcc_lo, s9, v1, vcc_lo
	s_delay_alu instid0(VALU_DEP_2) | instskip(NEXT) | instid1(VALU_DEP_2)
	v_add_co_u32 v53, vcc_lo, v0, 64
	v_add_co_ci_u32_e32 v54, vcc_lo, 0, v1, vcc_lo
.LBB141_23:                             ; =>This Inner Loop Header: Depth=1
	s_clause 0x1
	global_load_b32 v56, v[53:54], off offset:-64
	global_load_b32 v104, v[53:54], off offset:-32
	s_clause 0x3
	global_load_b128 v[4:7], v[49:50], off offset:32
	global_load_b128 v[8:11], v[49:50], off
	global_load_b128 v[0:3], v[49:50], off offset:96
	global_load_b128 v[12:15], v[49:50], off offset:64
	s_clause 0x1
	global_load_b32 v114, v[53:54], off
	global_load_b32 v116, v[53:54], off offset:32
	v_add_co_u32 v53, s1, 0x80, v53
	s_delay_alu instid0(VALU_DEP_1) | instskip(SKIP_4) | instid1(VALU_DEP_2)
	v_add_co_ci_u32_e64 v54, s1, 0, v54, s1
	s_waitcnt vmcnt(7)
	v_subrev_nc_u32_e32 v56, s12, v56
	s_waitcnt vmcnt(6)
	v_subrev_nc_u32_e32 v104, s12, v104
	v_lshlrev_b32_e32 v56, 2, v56
	s_delay_alu instid0(VALU_DEP_2) | instskip(SKIP_2) | instid1(VALU_DEP_3)
	v_lshlrev_b32_e32 v104, 2, v104
	s_waitcnt vmcnt(1)
	v_subrev_nc_u32_e32 v114, s12, v114
	v_ashrrev_i32_e32 v57, 31, v56
	s_delay_alu instid0(VALU_DEP_3) | instskip(NEXT) | instid1(VALU_DEP_3)
	v_ashrrev_i32_e32 v105, 31, v104
	v_lshlrev_b32_e32 v114, 2, v114
	s_delay_alu instid0(VALU_DEP_3) | instskip(NEXT) | instid1(VALU_DEP_3)
	v_lshlrev_b64 v[56:57], 4, v[56:57]
	v_lshlrev_b64 v[104:105], 4, v[104:105]
	s_delay_alu instid0(VALU_DEP_3) | instskip(SKIP_1) | instid1(VALU_DEP_3)
	v_ashrrev_i32_e32 v115, 31, v114
	s_waitcnt lgkmcnt(0)
	v_add_co_u32 v84, vcc_lo, s4, v56
	s_delay_alu instid0(VALU_DEP_4) | instskip(NEXT) | instid1(VALU_DEP_4)
	v_add_co_ci_u32_e32 v85, vcc_lo, s5, v57, vcc_lo
	v_add_co_u32 v108, vcc_lo, s4, v104
	v_add_co_ci_u32_e32 v109, vcc_lo, s5, v105, vcc_lo
	s_clause 0x1
	global_load_b128 v[56:59], v[84:85], off
	global_load_b128 v[60:63], v[84:85], off offset:16
	s_clause 0x3
	global_load_b128 v[64:67], v[49:50], off offset:48
	global_load_b128 v[68:71], v[49:50], off offset:16
	;; [unrolled: 1-line block ×4, first 2 shown]
	s_clause 0x1
	global_load_b128 v[80:83], v[84:85], off offset:32
	global_load_b128 v[84:87], v[84:85], off offset:48
	s_clause 0x3
	global_load_b128 v[88:91], v[49:50], off offset:1056
	global_load_b128 v[92:95], v[49:50], off offset:1024
	;; [unrolled: 1-line block ×4, first 2 shown]
	global_load_b128 v[104:107], v[108:109], off
	s_waitcnt vmcnt(12)
	v_fma_f64 v[35:36], v[56:57], 0, v[35:36]
	v_fma_f64 v[45:46], v[56:57], 0, v[45:46]
	;; [unrolled: 1-line block ×16, first 2 shown]
	global_load_b128 v[31:34], v[108:109], off offset:16
	s_waitcnt vmcnt(12)
	v_fma_f64 v[8:9], v[60:61], 0, v[8:9]
	v_fma_f64 v[4:5], v[60:61], 0, v[4:5]
	;; [unrolled: 1-line block ×16, first 2 shown]
	s_clause 0x3
	global_load_b128 v[0:3], v[49:50], off offset:1072
	global_load_b128 v[4:7], v[49:50], off offset:1040
	;; [unrolled: 1-line block ×5, first 2 shown]
	s_waitcnt vmcnt(12)
	v_fma_f64 v[43:44], v[80:81], 0, v[43:44]
	v_fma_f64 v[45:46], v[80:81], 0, v[45:46]
	;; [unrolled: 1-line block ×16, first 2 shown]
	global_load_b128 v[39:42], v[108:109], off offset:48
	s_waitcnt vmcnt(12)
	v_fma_f64 v[72:73], v[84:85], 0, v[43:44]
	v_fma_f64 v[76:77], v[84:85], 0, v[45:46]
	;; [unrolled: 1-line block ×8, first 2 shown]
	s_clause 0x3
	global_load_b128 v[43:46], v[49:50], off offset:2080
	global_load_b128 v[56:59], v[49:50], off offset:2048
	;; [unrolled: 1-line block ×4, first 2 shown]
	v_fma_f64 v[70:71], v[70:71], v[86:87], v[72:73]
	v_fma_f64 v[72:73], v[66:67], v[86:87], v[76:77]
	;; [unrolled: 1-line block ×8, first 2 shown]
	v_lshlrev_b64 v[64:65], 4, v[114:115]
	s_delay_alu instid0(VALU_DEP_1) | instskip(NEXT) | instid1(VALU_DEP_2)
	v_add_co_u32 v112, vcc_lo, s4, v64
	v_add_co_ci_u32_e32 v113, vcc_lo, s5, v65, vcc_lo
	global_load_b128 v[64:67], v[112:113], off
	s_waitcnt vmcnt(12)
	v_fma_f64 v[70:71], v[104:105], 0, v[70:71]
	v_fma_f64 v[72:73], v[104:105], 0, v[72:73]
	;; [unrolled: 1-line block ×15, first 2 shown]
	global_load_b128 v[68:71], v[112:113], off offset:16
	v_fma_f64 v[74:75], v[96:97], v[106:107], v[74:75]
	s_waitcnt vmcnt(12)
	v_fma_f64 v[92:93], v[31:32], 0, v[92:93]
	v_fma_f64 v[72:73], v[31:32], 0, v[72:73]
	;; [unrolled: 1-line block ×16, first 2 shown]
	s_clause 0x3
	global_load_b128 v[31:34], v[49:50], off offset:2096
	global_load_b128 v[72:75], v[49:50], off offset:2064
	;; [unrolled: 1-line block ×5, first 2 shown]
	s_waitcnt vmcnt(12)
	v_fma_f64 v[92:93], v[35:36], 0, v[92:93]
	v_fma_f64 v[94:95], v[35:36], 0, v[94:95]
	;; [unrolled: 1-line block ×16, first 2 shown]
	global_load_b128 v[35:38], v[112:113], off offset:48
	s_waitcnt vmcnt(12)
	v_fma_f64 v[4:5], v[39:40], 0, v[4:5]
	v_fma_f64 v[0:1], v[39:40], 0, v[0:1]
	;; [unrolled: 1-line block ×7, first 2 shown]
	s_clause 0x3
	global_load_b128 v[92:95], v[49:50], off offset:3104
	global_load_b128 v[96:99], v[49:50], off offset:3072
	;; [unrolled: 1-line block ×4, first 2 shown]
	v_fma_f64 v[8:9], v[39:40], 0, v[8:9]
	v_subrev_nc_u32_e32 v39, s12, v116
	s_delay_alu instid0(VALU_DEP_1) | instskip(NEXT) | instid1(VALU_DEP_1)
	v_lshlrev_b32_e32 v39, 2, v39
	v_ashrrev_i32_e32 v40, 31, v39
	v_fma_f64 v[4:5], v[6:7], v[41:42], v[4:5]
	v_fma_f64 v[6:7], v[2:3], v[41:42], v[0:1]
	;; [unrolled: 1-line block ×7, first 2 shown]
	v_lshlrev_b64 v[0:1], 4, v[39:40]
	v_fma_f64 v[8:9], v[10:11], v[41:42], v[8:9]
	s_delay_alu instid0(VALU_DEP_2) | instskip(NEXT) | instid1(VALU_DEP_3)
	v_add_co_u32 v114, vcc_lo, s4, v0
	v_add_co_ci_u32_e32 v115, vcc_lo, s5, v1, vcc_lo
	v_add_co_u32 v51, vcc_lo, v51, 32
	v_add_co_ci_u32_e32 v52, vcc_lo, 0, v52, vcc_lo
	global_load_b128 v[0:3], v[114:115], off
	s_waitcnt vmcnt(12)
	v_fma_f64 v[4:5], v[64:65], 0, v[4:5]
	v_fma_f64 v[6:7], v[64:65], 0, v[6:7]
	;; [unrolled: 1-line block ×10, first 2 shown]
	global_load_b128 v[4:7], v[114:115], off offset:16
	v_fma_f64 v[10:11], 0x80000000, v[66:67], v[10:11]
	v_fma_f64 v[14:15], 0x80000000, v[66:67], v[14:15]
	v_fma_f64 v[39:40], 0x80000000, v[66:67], v[39:40]
	v_fma_f64 v[12:13], v[80:81], v[66:67], v[12:13]
	v_fma_f64 v[41:42], 0x80000000, v[66:67], v[41:42]
	v_fma_f64 v[8:9], v[60:61], v[66:67], v[8:9]
	s_waitcnt vmcnt(12)
	v_fma_f64 v[56:57], v[68:69], 0, v[56:57]
	v_fma_f64 v[43:44], v[68:69], 0, v[43:44]
	v_fma_f64 v[10:11], v[58:59], v[68:69], v[10:11]
	v_fma_f64 v[14:15], v[45:46], v[68:69], v[14:15]
	v_fma_f64 v[39:40], v[82:83], v[68:69], v[39:40]
	v_fma_f64 v[12:13], v[68:69], 0, v[12:13]
	v_fma_f64 v[41:42], v[62:63], v[68:69], v[41:42]
	v_fma_f64 v[8:9], v[68:69], 0, v[8:9]
	v_fma_f64 v[66:67], v[58:59], v[70:71], v[56:57]
	v_fma_f64 v[43:44], v[45:46], v[70:71], v[43:44]
	v_fma_f64 v[64:65], 0x80000000, v[70:71], v[10:11]
	v_fma_f64 v[68:69], 0x80000000, v[70:71], v[14:15]
	v_fma_f64 v[45:46], 0x80000000, v[70:71], v[39:40]
	v_fma_f64 v[80:81], v[82:83], v[70:71], v[12:13]
	v_fma_f64 v[82:83], 0x80000000, v[70:71], v[41:42]
	v_fma_f64 v[70:71], v[62:63], v[70:71], v[8:9]
	s_clause 0x3
	global_load_b128 v[8:11], v[49:50], off offset:3120
	global_load_b128 v[12:15], v[49:50], off offset:3088
	;; [unrolled: 1-line block ×5, first 2 shown]
	v_add_co_u32 v49, vcc_lo, 0x1000, v49
	v_add_co_ci_u32_e32 v50, vcc_lo, 0, v50, vcc_lo
	v_cmp_ge_i64_e32 vcc_lo, v[51:52], v[27:28]
	s_or_b32 s10, vcc_lo, s10
	s_waitcnt vmcnt(12)
	v_fma_f64 v[66:67], v[88:89], 0, v[66:67]
	v_fma_f64 v[43:44], v[88:89], 0, v[43:44]
	;; [unrolled: 1-line block ×16, first 2 shown]
	global_load_b128 v[64:67], v[114:115], off offset:48
	s_waitcnt vmcnt(12)
	v_fma_f64 v[72:73], v[35:36], 0, v[72:73]
	v_fma_f64 v[31:32], v[35:36], 0, v[31:32]
	v_fma_f64 v[76:77], v[74:75], v[35:36], v[88:89]
	v_fma_f64 v[68:69], v[33:34], v[35:36], v[68:69]
	v_fma_f64 v[43:44], v[86:87], v[35:36], v[43:44]
	v_fma_f64 v[45:46], v[35:36], 0, v[45:46]
	v_fma_f64 v[80:81], v[78:79], v[35:36], v[80:81]
	v_fma_f64 v[35:36], v[35:36], 0, v[70:71]
	v_fma_f64 v[72:73], v[74:75], v[37:38], v[72:73]
	v_fma_f64 v[31:32], v[33:34], v[37:38], v[31:32]
	v_fma_f64 v[70:71], 0x80000000, v[37:38], v[76:77]
	v_fma_f64 v[68:69], 0x80000000, v[37:38], v[68:69]
	v_fma_f64 v[33:34], 0x80000000, v[37:38], v[43:44]
	v_fma_f64 v[43:44], v[86:87], v[37:38], v[45:46]
	v_fma_f64 v[45:46], 0x80000000, v[37:38], v[80:81]
	v_fma_f64 v[35:36], v[78:79], v[37:38], v[35:36]
	s_waitcnt vmcnt(7)
	v_fma_f64 v[31:32], v[0:1], 0, v[31:32]
	v_fma_f64 v[37:38], v[96:97], v[0:1], v[70:71]
	v_fma_f64 v[70:71], v[0:1], 0, v[72:73]
	v_fma_f64 v[68:69], v[92:93], v[0:1], v[68:69]
	v_fma_f64 v[33:34], v[104:105], v[0:1], v[33:34]
	v_fma_f64 v[43:44], v[0:1], 0, v[43:44]
	v_fma_f64 v[45:46], v[100:101], v[0:1], v[45:46]
	v_fma_f64 v[0:1], v[0:1], 0, v[35:36]
	v_fma_f64 v[31:32], v[92:93], v[2:3], v[31:32]
	v_fma_f64 v[35:36], 0x80000000, v[2:3], v[37:38]
	v_fma_f64 v[37:38], v[96:97], v[2:3], v[70:71]
	v_fma_f64 v[68:69], 0x80000000, v[2:3], v[68:69]
	v_fma_f64 v[33:34], 0x80000000, v[2:3], v[33:34]
	v_fma_f64 v[43:44], v[104:105], v[2:3], v[43:44]
	v_fma_f64 v[45:46], 0x80000000, v[2:3], v[45:46]
	v_fma_f64 v[0:1], v[100:101], v[2:3], v[0:1]
	;; [unrolled: 17-line block ×5, first 2 shown]
	s_and_not1_b32 exec_lo, exec_lo, s10
	s_cbranch_execnz .LBB141_23
; %bb.24:
	s_or_b32 exec_lo, exec_lo, s10
.LBB141_25:
	s_delay_alu instid0(SALU_CYCLE_1)
	s_or_b32 exec_lo, exec_lo, s7
.LBB141_26:
	s_delay_alu instid0(SALU_CYCLE_1)
	s_or_b32 exec_lo, exec_lo, s6
	s_cbranch_execz .LBB141_28
	s_branch .LBB141_39
.LBB141_27:
                                        ; implicit-def: $vgpr35_vgpr36
                                        ; implicit-def: $vgpr41_vgpr42
                                        ; implicit-def: $vgpr45_vgpr46
                                        ; implicit-def: $vgpr43_vgpr44
                                        ; implicit-def: $vgpr37_vgpr38
                                        ; implicit-def: $vgpr39_vgpr40
                                        ; implicit-def: $vgpr33_vgpr34
                                        ; implicit-def: $vgpr31_vgpr32
.LBB141_28:
	v_mov_b32_e32 v35, 0
	v_mov_b32_e32 v36, 0
	s_delay_alu instid0(VALU_DEP_2) | instskip(NEXT) | instid1(VALU_DEP_2)
	v_mov_b32_e32 v33, v35
	v_dual_mov_b32 v31, v35 :: v_dual_mov_b32 v32, v36
	v_dual_mov_b32 v42, v36 :: v_dual_mov_b32 v41, v35
	v_dual_mov_b32 v46, v36 :: v_dual_mov_b32 v45, v35
	v_dual_mov_b32 v44, v36 :: v_dual_mov_b32 v43, v35
	v_dual_mov_b32 v38, v36 :: v_dual_mov_b32 v37, v35
	v_dual_mov_b32 v40, v36 :: v_dual_mov_b32 v39, v35
	v_mov_b32_e32 v34, v36
	s_and_saveexec_b32 s1, s0
	s_cbranch_execz .LBB141_38
; %bb.29:
	v_or_b32_e32 v0, 8, v55
	v_not_b32_e32 v3, v47
	v_not_b32_e32 v2, v48
	s_mov_b32 s7, 0
	s_mov_b32 s6, exec_lo
	v_sub_co_u32 v0, s0, v0, s12
	s_delay_alu instid0(VALU_DEP_1) | instskip(SKIP_1) | instid1(VALU_DEP_3)
	v_sub_co_ci_u32_e64 v1, null, 0, 0, s0
	v_sub_co_u32 v4, s0, s12, v55
	v_add_co_u32 v0, vcc_lo, v0, v47
	s_delay_alu instid0(VALU_DEP_3) | instskip(SKIP_1) | instid1(VALU_DEP_2)
	v_add_co_ci_u32_e32 v1, vcc_lo, v1, v48, vcc_lo
	v_sub_co_ci_u32_e64 v5, null, 0, 0, s0
	v_cmp_gt_i64_e32 vcc_lo, v[0:1], v[27:28]
	v_dual_cndmask_b32 v1, v28, v1 :: v_dual_cndmask_b32 v0, v27, v0
	v_add_co_u32 v3, vcc_lo, v4, v3
	s_delay_alu instid0(VALU_DEP_4) | instskip(NEXT) | instid1(VALU_DEP_2)
	v_add_co_ci_u32_e32 v2, vcc_lo, v5, v2, vcc_lo
	v_add_co_u32 v0, vcc_lo, v3, v0
	s_delay_alu instid0(VALU_DEP_2) | instskip(NEXT) | instid1(VALU_DEP_2)
	v_add_co_ci_u32_e32 v1, vcc_lo, v2, v1, vcc_lo
	v_lshrrev_b32_e32 v2, 3, v0
	v_mov_b32_e32 v31, 0
	v_mov_b32_e32 v32, 0
	s_delay_alu instid0(VALU_DEP_3) | instskip(NEXT) | instid1(VALU_DEP_2)
	v_add_nc_u32_e32 v2, 1, v2
	v_mov_b32_e32 v38, v32
	v_mov_b32_e32 v44, v32
	;; [unrolled: 1-line block ×4, first 2 shown]
	v_dual_mov_b32 v36, v32 :: v_dual_mov_b32 v35, v31
	v_dual_mov_b32 v34, v32 :: v_dual_mov_b32 v33, v31
	;; [unrolled: 1-line block ×3, first 2 shown]
	v_dual_mov_b32 v37, v31 :: v_dual_and_b32 v2, 3, v2
	v_mov_b32_e32 v43, v31
	v_mov_b32_e32 v45, v31
	;; [unrolled: 1-line block ×3, first 2 shown]
	s_delay_alu instid0(VALU_DEP_4)
	v_cmpx_ne_u32_e32 0, v2
	s_cbranch_execz .LBB141_33
; %bb.30:
	v_lshlrev_b64 v[4:5], 2, v[25:26]
	v_dual_mov_b32 v35, 0 :: v_dual_lshlrev_b32 v2, 2, v2
	v_dual_mov_b32 v3, 0 :: v_dual_mov_b32 v36, 0
	s_delay_alu instid0(VALU_DEP_2) | instskip(NEXT) | instid1(VALU_DEP_4)
	v_mov_b32_e32 v33, v35
	v_add_co_u32 v4, vcc_lo, s8, v4
	v_add_co_ci_u32_e32 v5, vcc_lo, s9, v5, vcc_lo
	s_delay_alu instid0(VALU_DEP_4)
	v_mov_b32_e32 v34, v36
	v_dual_mov_b32 v42, v36 :: v_dual_mov_b32 v41, v35
	v_dual_mov_b32 v46, v36 :: v_dual_mov_b32 v45, v35
	;; [unrolled: 1-line block ×6, first 2 shown]
.LBB141_31:                             ; =>This Inner Loop Header: Depth=1
	global_load_b32 v14, v[4:5], off
	s_clause 0x1
	global_load_b128 v[6:9], v[29:30], off offset:16
	global_load_b128 v[10:13], v[29:30], off
	v_add_co_u32 v4, s0, v4, 32
	s_delay_alu instid0(VALU_DEP_1) | instskip(SKIP_2) | instid1(VALU_DEP_1)
	v_add_co_ci_u32_e64 v5, s0, 0, v5, s0
	s_waitcnt vmcnt(2)
	v_subrev_nc_u32_e32 v14, s12, v14
	v_lshlrev_b32_e32 v14, 2, v14
	s_delay_alu instid0(VALU_DEP_1) | instskip(NEXT) | instid1(VALU_DEP_1)
	v_ashrrev_i32_e32 v15, 31, v14
	v_lshlrev_b64 v[14:15], 4, v[14:15]
	s_waitcnt lgkmcnt(0)
	s_delay_alu instid0(VALU_DEP_1) | instskip(NEXT) | instid1(VALU_DEP_2)
	v_add_co_u32 v14, vcc_lo, s4, v14
	v_add_co_ci_u32_e32 v15, vcc_lo, s5, v15, vcc_lo
	s_clause 0x1
	global_load_b128 v[47:50], v[14:15], off
	global_load_b128 v[51:54], v[14:15], off offset:16
	s_clause 0x3
	global_load_b128 v[56:59], v[29:30], off offset:32
	global_load_b128 v[60:63], v[29:30], off offset:48
	;; [unrolled: 1-line block ×4, first 2 shown]
	s_clause 0x1
	global_load_b128 v[72:75], v[14:15], off offset:32
	global_load_b128 v[76:79], v[14:15], off offset:48
	s_clause 0x1
	global_load_b128 v[80:83], v[29:30], off offset:96
	global_load_b128 v[84:87], v[29:30], off offset:112
	v_add_co_u32 v29, vcc_lo, 0x400, v29
	v_add_co_ci_u32_e32 v30, vcc_lo, 0, v30, vcc_lo
	v_add_co_u32 v2, vcc_lo, v2, -4
	v_add_co_ci_u32_e32 v3, vcc_lo, -1, v3, vcc_lo
	v_add_co_u32 v25, vcc_lo, v25, 8
	v_add_co_ci_u32_e32 v26, vcc_lo, 0, v26, vcc_lo
	s_delay_alu instid0(VALU_DEP_3)
	v_cmp_eq_u64_e32 vcc_lo, 0, v[2:3]
	s_or_b32 s7, vcc_lo, s7
	s_waitcnt vmcnt(9)
	v_fma_f64 v[14:15], v[10:11], v[47:48], v[41:42]
	v_fma_f64 v[35:36], v[47:48], 0, v[35:36]
	;; [unrolled: 1-line block ×16, first 2 shown]
	s_waitcnt vmcnt(7)
	v_fma_f64 v[14:15], v[56:57], v[51:52], v[14:15]
	v_fma_f64 v[10:11], v[51:52], 0, v[10:11]
	;; [unrolled: 1-line block ×4, first 2 shown]
	s_waitcnt vmcnt(6)
	v_fma_f64 v[35:36], v[60:61], v[51:52], v[39:40]
	v_fma_f64 v[6:7], v[51:52], 0, v[6:7]
	;; [unrolled: 1-line block ×12, first 2 shown]
	s_waitcnt vmcnt(3)
	v_fma_f64 v[14:15], v[68:69], v[72:73], v[14:15]
	v_fma_f64 v[10:11], v[72:73], 0, v[10:11]
	;; [unrolled: 1-line block ×16, first 2 shown]
	s_waitcnt vmcnt(1)
	v_fma_f64 v[14:15], v[80:81], v[76:77], v[14:15]
	v_fma_f64 v[10:11], v[76:77], 0, v[10:11]
	;; [unrolled: 1-line block ×4, first 2 shown]
	s_waitcnt vmcnt(0)
	v_fma_f64 v[37:38], v[84:85], v[76:77], v[35:36]
	v_fma_f64 v[6:7], v[76:77], 0, v[6:7]
	;; [unrolled: 1-line block ×12, first 2 shown]
	s_and_not1_b32 exec_lo, exec_lo, s7
	s_cbranch_execnz .LBB141_31
; %bb.32:
	s_or_b32 exec_lo, exec_lo, s7
.LBB141_33:
	s_delay_alu instid0(SALU_CYCLE_1) | instskip(NEXT) | instid1(SALU_CYCLE_1)
	s_or_b32 exec_lo, exec_lo, s6
	s_mov_b32 s6, exec_lo
	v_cmpx_lt_u64_e32 23, v[0:1]
	s_cbranch_execz .LBB141_37
; %bb.34:
	v_lshlrev_b64 v[0:1], 2, v[25:26]
	s_mov_b32 s7, 0
	s_delay_alu instid0(VALU_DEP_1) | instskip(NEXT) | instid1(VALU_DEP_2)
	v_add_co_u32 v0, vcc_lo, v0, s8
	v_add_co_ci_u32_e32 v1, vcc_lo, s9, v1, vcc_lo
	s_delay_alu instid0(VALU_DEP_2) | instskip(NEXT) | instid1(VALU_DEP_2)
	v_add_co_u32 v0, vcc_lo, v0, 64
	v_add_co_ci_u32_e32 v1, vcc_lo, 0, v1, vcc_lo
.LBB141_35:                             ; =>This Inner Loop Header: Depth=1
	s_clause 0x1
	global_load_b32 v2, v[0:1], off offset:-64
	global_load_b32 v15, v[0:1], off offset:-32
	s_clause 0x1
	global_load_b128 v[3:6], v[29:30], off offset:16
	global_load_b128 v[7:10], v[29:30], off
	s_clause 0x1
	global_load_b32 v102, v[0:1], off
	global_load_b32 v103, v[0:1], off offset:32
	v_add_co_u32 v0, s0, 0x80, v0
	s_delay_alu instid0(VALU_DEP_1) | instskip(SKIP_2) | instid1(VALU_DEP_1)
	v_add_co_ci_u32_e64 v1, s0, 0, v1, s0
	s_waitcnt vmcnt(5)
	v_subrev_nc_u32_e32 v2, s12, v2
	v_lshlrev_b32_e32 v11, 2, v2
	s_waitcnt vmcnt(4)
	v_subrev_nc_u32_e32 v2, s12, v15
	s_delay_alu instid0(VALU_DEP_2) | instskip(NEXT) | instid1(VALU_DEP_2)
	v_ashrrev_i32_e32 v12, 31, v11
	v_lshlrev_b32_e32 v92, 2, v2
	s_delay_alu instid0(VALU_DEP_2) | instskip(NEXT) | instid1(VALU_DEP_2)
	v_lshlrev_b64 v[11:12], 4, v[11:12]
	v_ashrrev_i32_e32 v93, 31, v92
	s_delay_alu instid0(VALU_DEP_1) | instskip(SKIP_1) | instid1(VALU_DEP_3)
	v_lshlrev_b64 v[92:93], 4, v[92:93]
	s_waitcnt lgkmcnt(0)
	v_add_co_u32 v80, vcc_lo, s4, v11
	s_delay_alu instid0(VALU_DEP_4)
	v_add_co_ci_u32_e32 v81, vcc_lo, s5, v12, vcc_lo
	global_load_b128 v[11:14], v[80:81], off
	s_clause 0x1
	global_load_b128 v[47:50], v[29:30], off offset:32
	global_load_b128 v[51:54], v[29:30], off offset:48
	global_load_b128 v[56:59], v[80:81], off offset:16
	s_clause 0x1
	global_load_b128 v[60:63], v[29:30], off offset:80
	global_load_b128 v[64:67], v[29:30], off offset:64
	global_load_b128 v[68:71], v[80:81], off offset:32
	;; [unrolled: 4-line block ×3, first 2 shown]
	s_clause 0x1
	global_load_b128 v[84:87], v[29:30], off offset:1040
	global_load_b128 v[88:91], v[29:30], off offset:1024
	v_add_co_u32 v96, vcc_lo, s4, v92
	v_add_co_ci_u32_e32 v97, vcc_lo, s5, v93, vcc_lo
	global_load_b128 v[92:95], v[96:97], off
	s_waitcnt vmcnt(12)
	v_fma_f64 v[35:36], v[11:12], 0, v[35:36]
	v_fma_f64 v[45:46], v[11:12], 0, v[45:46]
	v_fma_f64 v[41:42], v[7:8], v[11:12], v[41:42]
	v_fma_f64 v[43:44], v[9:10], v[11:12], v[43:44]
	v_fma_f64 v[39:40], v[3:4], v[11:12], v[39:40]
	v_fma_f64 v[37:38], v[11:12], 0, v[37:38]
	v_fma_f64 v[31:32], v[5:6], v[11:12], v[31:32]
	v_fma_f64 v[11:12], v[11:12], 0, v[33:34]
	v_fma_f64 v[33:34], v[7:8], v[13:14], v[35:36]
	v_fma_f64 v[35:36], v[9:10], v[13:14], v[45:46]
	v_fma_f64 v[41:42], 0x80000000, v[13:14], v[41:42]
	v_fma_f64 v[43:44], 0x80000000, v[13:14], v[43:44]
	v_fma_f64 v[39:40], 0x80000000, v[13:14], v[39:40]
	v_fma_f64 v[37:38], v[3:4], v[13:14], v[37:38]
	v_fma_f64 v[31:32], 0x80000000, v[13:14], v[31:32]
	v_fma_f64 v[14:15], v[5:6], v[13:14], v[11:12]
	s_clause 0x1
	global_load_b128 v[2:5], v[29:30], off offset:1056
	global_load_b128 v[6:9], v[29:30], off offset:1072
	global_load_b128 v[10:13], v[96:97], off offset:16
	s_waitcnt vmcnt(12)
	v_fma_f64 v[33:34], v[56:57], 0, v[33:34]
	v_fma_f64 v[35:36], v[56:57], 0, v[35:36]
	v_fma_f64 v[41:42], v[47:48], v[56:57], v[41:42]
	v_fma_f64 v[43:44], v[49:50], v[56:57], v[43:44]
	v_fma_f64 v[39:40], v[51:52], v[56:57], v[39:40]
	v_fma_f64 v[37:38], v[56:57], 0, v[37:38]
	v_fma_f64 v[31:32], v[53:54], v[56:57], v[31:32]
	v_fma_f64 v[14:15], v[56:57], 0, v[14:15]
	v_fma_f64 v[45:46], v[47:48], v[58:59], v[33:34]
	v_fma_f64 v[47:48], v[49:50], v[58:59], v[35:36]
	v_fma_f64 v[49:50], 0x80000000, v[58:59], v[41:42]
	v_fma_f64 v[43:44], 0x80000000, v[58:59], v[43:44]
	v_fma_f64 v[56:57], 0x80000000, v[58:59], v[39:40]
	v_fma_f64 v[51:52], v[51:52], v[58:59], v[37:38]
	v_fma_f64 v[98:99], 0x80000000, v[58:59], v[31:32]
	v_fma_f64 v[14:15], v[53:54], v[58:59], v[14:15]
	s_clause 0x1
	global_load_b128 v[31:34], v[29:30], off offset:1104
	global_load_b128 v[35:38], v[29:30], off offset:1088
	global_load_b128 v[39:42], v[96:97], off offset:32
	;; [unrolled: 21-line block ×3, first 2 shown]
	s_waitcnt vmcnt(12)
	v_fma_f64 v[70:71], v[80:81], 0, v[58:59]
	v_fma_f64 v[64:65], v[80:81], 0, v[64:65]
	;; [unrolled: 1-line block ×8, first 2 shown]
	v_subrev_nc_u32_e32 v80, s12, v102
	s_clause 0x1
	global_load_b128 v[56:59], v[29:30], off offset:2064
	global_load_b128 v[60:63], v[29:30], off offset:2048
	v_lshlrev_b32_e32 v80, 2, v80
	s_delay_alu instid0(VALU_DEP_1)
	v_ashrrev_i32_e32 v81, 31, v80
	v_fma_f64 v[70:71], v[72:73], v[82:83], v[70:71]
	v_fma_f64 v[72:73], v[74:75], v[82:83], v[64:65]
	;; [unrolled: 1-line block ×8, first 2 shown]
	v_lshlrev_b64 v[64:65], 4, v[80:81]
	s_delay_alu instid0(VALU_DEP_1) | instskip(NEXT) | instid1(VALU_DEP_2)
	v_add_co_u32 v80, vcc_lo, s4, v64
	v_add_co_ci_u32_e32 v81, vcc_lo, s5, v65, vcc_lo
	global_load_b128 v[64:67], v[80:81], off
	s_waitcnt vmcnt(12)
	v_fma_f64 v[70:71], v[92:93], 0, v[70:71]
	v_fma_f64 v[72:73], v[92:93], 0, v[72:73]
	v_fma_f64 v[74:75], v[88:89], v[92:93], v[74:75]
	v_fma_f64 v[68:69], v[90:91], v[92:93], v[68:69]
	v_fma_f64 v[78:79], v[84:85], v[92:93], v[96:97]
	v_fma_f64 v[76:77], v[92:93], 0, v[76:77]
	v_fma_f64 v[82:83], v[86:87], v[92:93], v[98:99]
	v_fma_f64 v[14:15], v[92:93], 0, v[14:15]
	v_fma_f64 v[88:89], v[88:89], v[94:95], v[70:71]
	v_fma_f64 v[90:91], v[90:91], v[94:95], v[72:73]
	v_fma_f64 v[92:93], 0x80000000, v[94:95], v[74:75]
	v_fma_f64 v[96:97], 0x80000000, v[94:95], v[68:69]
	v_fma_f64 v[98:99], 0x80000000, v[94:95], v[78:79]
	v_fma_f64 v[84:85], v[84:85], v[94:95], v[76:77]
	v_fma_f64 v[82:83], 0x80000000, v[94:95], v[82:83]
	v_fma_f64 v[14:15], v[86:87], v[94:95], v[14:15]
	s_clause 0x1
	global_load_b128 v[68:71], v[29:30], off offset:2080
	global_load_b128 v[72:75], v[29:30], off offset:2096
	global_load_b128 v[76:79], v[80:81], off offset:16
	s_waitcnt vmcnt(12)
	v_fma_f64 v[86:87], v[10:11], 0, v[88:89]
	v_fma_f64 v[88:89], v[10:11], 0, v[90:91]
	v_fma_f64 v[90:91], v[2:3], v[10:11], v[92:93]
	v_fma_f64 v[92:93], v[4:5], v[10:11], v[96:97]
	v_fma_f64 v[94:95], v[6:7], v[10:11], v[98:99]
	v_fma_f64 v[84:85], v[10:11], 0, v[84:85]
	v_fma_f64 v[82:83], v[8:9], v[10:11], v[82:83]
	v_fma_f64 v[10:11], v[10:11], 0, v[14:15]
	v_fma_f64 v[14:15], v[2:3], v[12:13], v[86:87]
	v_fma_f64 v[86:87], v[4:5], v[12:13], v[88:89]
	v_fma_f64 v[88:89], 0x80000000, v[12:13], v[90:91]
	v_fma_f64 v[90:91], 0x80000000, v[12:13], v[92:93]
	v_fma_f64 v[92:93], 0x80000000, v[12:13], v[94:95]
	v_fma_f64 v[84:85], v[6:7], v[12:13], v[84:85]
	v_fma_f64 v[82:83], 0x80000000, v[12:13], v[82:83]
	v_fma_f64 v[94:95], v[8:9], v[12:13], v[10:11]
	s_clause 0x1
	global_load_b128 v[2:5], v[29:30], off offset:2128
	global_load_b128 v[6:9], v[29:30], off offset:2112
	global_load_b128 v[10:13], v[80:81], off offset:32
	;; [unrolled: 21-line block ×3, first 2 shown]
	s_waitcnt vmcnt(12)
	v_fma_f64 v[14:15], v[51:52], 0, v[14:15]
	v_fma_f64 v[96:97], v[51:52], 0, v[86:87]
	;; [unrolled: 1-line block ×8, first 2 shown]
	v_subrev_nc_u32_e32 v94, s12, v103
	s_clause 0x1
	global_load_b128 v[80:83], v[29:30], off offset:3088
	global_load_b128 v[84:87], v[29:30], off offset:3072
	v_lshlrev_b32_e32 v94, 2, v94
	s_delay_alu instid0(VALU_DEP_1)
	v_ashrrev_i32_e32 v95, 31, v94
	v_fma_f64 v[14:15], v[43:44], v[53:54], v[14:15]
	v_fma_f64 v[96:97], v[45:46], v[53:54], v[96:97]
	v_fma_f64 v[88:89], 0x80000000, v[53:54], v[88:89]
	v_fma_f64 v[90:91], 0x80000000, v[53:54], v[90:91]
	v_fma_f64 v[92:93], 0x80000000, v[53:54], v[92:93]
	v_fma_f64 v[47:48], v[47:48], v[53:54], v[98:99]
	v_fma_f64 v[98:99], 0x80000000, v[53:54], v[100:101]
	v_fma_f64 v[49:50], v[49:50], v[53:54], v[51:52]
	v_lshlrev_b64 v[43:44], 4, v[94:95]
	s_delay_alu instid0(VALU_DEP_1) | instskip(NEXT) | instid1(VALU_DEP_2)
	v_add_co_u32 v94, vcc_lo, s4, v43
	v_add_co_ci_u32_e32 v95, vcc_lo, s5, v44, vcc_lo
	v_add_co_u32 v25, vcc_lo, v25, 32
	v_add_co_ci_u32_e32 v26, vcc_lo, 0, v26, vcc_lo
	global_load_b128 v[43:46], v[94:95], off
	s_waitcnt vmcnt(12)
	v_fma_f64 v[14:15], v[64:65], 0, v[14:15]
	v_fma_f64 v[51:52], v[60:61], v[64:65], v[88:89]
	v_fma_f64 v[53:54], v[62:63], v[64:65], v[90:91]
	v_fma_f64 v[88:89], v[64:65], 0, v[96:97]
	v_fma_f64 v[90:91], v[56:57], v[64:65], v[92:93]
	v_fma_f64 v[47:48], v[64:65], 0, v[47:48]
	v_fma_f64 v[92:93], v[58:59], v[64:65], v[98:99]
	v_fma_f64 v[49:50], v[64:65], 0, v[49:50]
	v_fma_f64 v[14:15], v[60:61], v[66:67], v[14:15]
	v_fma_f64 v[64:65], 0x80000000, v[66:67], v[51:52]
	v_fma_f64 v[60:61], 0x80000000, v[66:67], v[53:54]
	v_fma_f64 v[62:63], v[62:63], v[66:67], v[88:89]
	v_fma_f64 v[88:89], 0x80000000, v[66:67], v[90:91]
	v_fma_f64 v[90:91], v[56:57], v[66:67], v[47:48]
	v_fma_f64 v[92:93], 0x80000000, v[66:67], v[92:93]
	v_fma_f64 v[66:67], v[58:59], v[66:67], v[49:50]
	s_clause 0x1
	global_load_b128 v[47:50], v[29:30], off offset:3104
	global_load_b128 v[51:54], v[29:30], off offset:3120
	global_load_b128 v[56:59], v[94:95], off offset:16
	s_waitcnt vmcnt(12)
	v_fma_f64 v[14:15], v[76:77], 0, v[14:15]
	v_fma_f64 v[64:65], v[68:69], v[76:77], v[64:65]
	v_fma_f64 v[60:61], v[70:71], v[76:77], v[60:61]
	v_fma_f64 v[62:63], v[76:77], 0, v[62:63]
	v_fma_f64 v[88:89], v[72:73], v[76:77], v[88:89]
	v_fma_f64 v[90:91], v[76:77], 0, v[90:91]
	v_fma_f64 v[92:93], v[74:75], v[76:77], v[92:93]
	v_fma_f64 v[66:67], v[76:77], 0, v[66:67]
	v_fma_f64 v[14:15], v[68:69], v[78:79], v[14:15]
	v_fma_f64 v[76:77], 0x80000000, v[78:79], v[64:65]
	v_fma_f64 v[96:97], 0x80000000, v[78:79], v[60:61]
	v_fma_f64 v[98:99], v[70:71], v[78:79], v[62:63]
	v_fma_f64 v[88:89], 0x80000000, v[78:79], v[88:89]
	v_fma_f64 v[72:73], v[72:73], v[78:79], v[90:91]
	v_fma_f64 v[90:91], 0x80000000, v[78:79], v[92:93]
	v_fma_f64 v[74:75], v[74:75], v[78:79], v[66:67]
	s_clause 0x1
	global_load_b128 v[60:63], v[29:30], off offset:3152
	global_load_b128 v[64:67], v[29:30], off offset:3136
	global_load_b128 v[68:71], v[94:95], off offset:32
	;; [unrolled: 21-line block ×3, first 2 shown]
	v_add_co_u32 v29, vcc_lo, 0x1000, v29
	v_add_co_ci_u32_e32 v30, vcc_lo, 0, v30, vcc_lo
	v_cmp_ge_i64_e32 vcc_lo, v[25:26], v[27:28]
	s_or_b32 s7, vcc_lo, s7
	s_waitcnt vmcnt(12)
	v_fma_f64 v[14:15], v[39:40], 0, v[14:15]
	v_fma_f64 v[74:75], v[31:32], v[39:40], v[74:75]
	v_fma_f64 v[76:77], v[33:34], v[39:40], v[76:77]
	v_fma_f64 v[78:79], v[39:40], 0, v[78:79]
	v_fma_f64 v[88:89], v[35:36], v[39:40], v[88:89]
	v_fma_f64 v[72:73], v[39:40], 0, v[72:73]
	v_fma_f64 v[90:91], v[37:38], v[39:40], v[90:91]
	v_fma_f64 v[39:40], v[39:40], 0, v[92:93]
	v_fma_f64 v[14:15], v[31:32], v[41:42], v[14:15]
	v_fma_f64 v[74:75], 0x80000000, v[41:42], v[74:75]
	v_fma_f64 v[31:32], 0x80000000, v[41:42], v[76:77]
	v_fma_f64 v[33:34], v[33:34], v[41:42], v[78:79]
	v_fma_f64 v[76:77], 0x80000000, v[41:42], v[88:89]
	v_fma_f64 v[35:36], v[35:36], v[41:42], v[72:73]
	v_fma_f64 v[72:73], 0x80000000, v[41:42], v[90:91]
	v_fma_f64 v[37:38], v[37:38], v[41:42], v[39:40]
	s_waitcnt vmcnt(9)
	v_fma_f64 v[14:15], v[43:44], 0, v[14:15]
	v_fma_f64 v[39:40], v[84:85], v[43:44], v[74:75]
	v_fma_f64 v[31:32], v[86:87], v[43:44], v[31:32]
	v_fma_f64 v[33:34], v[43:44], 0, v[33:34]
	v_fma_f64 v[41:42], v[80:81], v[43:44], v[76:77]
	v_fma_f64 v[35:36], v[43:44], 0, v[35:36]
	v_fma_f64 v[72:73], v[82:83], v[43:44], v[72:73]
	v_fma_f64 v[37:38], v[43:44], 0, v[37:38]
	v_fma_f64 v[14:15], v[84:85], v[45:46], v[14:15]
	v_fma_f64 v[39:40], 0x80000000, v[45:46], v[39:40]
	v_fma_f64 v[31:32], 0x80000000, v[45:46], v[31:32]
	v_fma_f64 v[33:34], v[86:87], v[45:46], v[33:34]
	v_fma_f64 v[41:42], 0x80000000, v[45:46], v[41:42]
	v_fma_f64 v[35:36], v[80:81], v[45:46], v[35:36]
	v_fma_f64 v[43:44], 0x80000000, v[45:46], v[72:73]
	v_fma_f64 v[37:38], v[82:83], v[45:46], v[37:38]
	;; [unrolled: 17-line block ×5, first 2 shown]
	s_and_not1_b32 exec_lo, exec_lo, s7
	s_cbranch_execnz .LBB141_35
; %bb.36:
	s_or_b32 exec_lo, exec_lo, s7
.LBB141_37:
	s_delay_alu instid0(SALU_CYCLE_1)
	s_or_b32 exec_lo, exec_lo, s6
.LBB141_38:
	s_delay_alu instid0(SALU_CYCLE_1)
	s_or_b32 exec_lo, exec_lo, s1
.LBB141_39:
	v_mbcnt_lo_u32_b32 v47, -1, 0
	s_delay_alu instid0(VALU_DEP_1) | instskip(NEXT) | instid1(VALU_DEP_1)
	v_xor_b32_e32 v0, 4, v47
	v_cmp_gt_i32_e32 vcc_lo, 32, v0
	v_cndmask_b32_e32 v0, v47, v0, vcc_lo
	s_delay_alu instid0(VALU_DEP_1)
	v_lshlrev_b32_e32 v15, 2, v0
	ds_bpermute_b32 v0, v15, v41
	ds_bpermute_b32 v1, v15, v42
	;; [unrolled: 1-line block ×16, first 2 shown]
	s_waitcnt lgkmcnt(0)
	v_add_f64 v[0:1], v[41:42], v[0:1]
	v_add_f64 v[2:3], v[35:36], v[2:3]
	;; [unrolled: 1-line block ×8, first 2 shown]
	v_xor_b32_e32 v14, 2, v47
	s_delay_alu instid0(VALU_DEP_1) | instskip(SKIP_1) | instid1(VALU_DEP_1)
	v_cmp_gt_i32_e32 vcc_lo, 32, v14
	v_cndmask_b32_e32 v14, v47, v14, vcc_lo
	v_lshlrev_b32_e32 v40, 2, v14
	ds_bpermute_b32 v14, v40, v0
	ds_bpermute_b32 v15, v40, v1
	;; [unrolled: 1-line block ×16, first 2 shown]
	s_waitcnt lgkmcnt(14)
	v_add_f64 v[0:1], v[0:1], v[14:15]
	s_waitcnt lgkmcnt(12)
	v_add_f64 v[27:28], v[2:3], v[27:28]
	;; [unrolled: 2-line block ×7, first 2 shown]
	v_xor_b32_e32 v12, 1, v47
	s_waitcnt lgkmcnt(0)
	v_add_f64 v[8:9], v[25:26], v[39:40]
	s_delay_alu instid0(VALU_DEP_2) | instskip(SKIP_2) | instid1(VALU_DEP_2)
	v_cmp_gt_i32_e32 vcc_lo, 32, v12
	v_cndmask_b32_e32 v12, v47, v12, vcc_lo
	v_cmp_eq_u32_e32 vcc_lo, 7, v55
	v_lshlrev_b32_e32 v34, 2, v12
	ds_bpermute_b32 v12, v34, v0
	ds_bpermute_b32 v13, v34, v1
	ds_bpermute_b32 v39, v34, v27
	ds_bpermute_b32 v40, v34, v28
	ds_bpermute_b32 v25, v34, v2
	ds_bpermute_b32 v26, v34, v3
	ds_bpermute_b32 v37, v34, v14
	ds_bpermute_b32 v38, v34, v15
	ds_bpermute_b32 v29, v34, v4
	ds_bpermute_b32 v30, v34, v5
	ds_bpermute_b32 v35, v34, v10
	ds_bpermute_b32 v36, v34, v11
	ds_bpermute_b32 v31, v34, v6
	ds_bpermute_b32 v32, v34, v7
	ds_bpermute_b32 v33, v34, v8
	ds_bpermute_b32 v34, v34, v9
	s_and_b32 exec_lo, exec_lo, vcc_lo
	s_cbranch_execz .LBB141_12
; %bb.40:
	s_waitcnt lgkmcnt(12)
	v_add_f64 v[27:28], v[27:28], v[39:40]
	s_waitcnt lgkmcnt(8)
	v_add_f64 v[14:15], v[14:15], v[37:38]
	;; [unrolled: 2-line block ×4, first 2 shown]
	v_add_f64 v[0:1], v[0:1], v[12:13]
	v_add_f64 v[2:3], v[2:3], v[25:26]
	;; [unrolled: 1-line block ×4, first 2 shown]
	v_cmp_eq_f64_e32 vcc_lo, 0, v[16:17]
	v_cmp_eq_f64_e64 s0, 0, v[18:19]
	s_load_b64 s[2:3], s[2:3], 0x60
	v_mul_f64 v[4:5], v[27:28], -v[22:23]
	v_mul_f64 v[6:7], v[20:21], v[27:28]
	v_mul_f64 v[27:28], v[14:15], -v[22:23]
	v_mul_f64 v[31:32], v[20:21], v[14:15]
	;; [unrolled: 2-line block ×4, first 2 shown]
	s_and_b32 s0, vcc_lo, s0
	v_fma_f64 v[12:13], v[20:21], v[0:1], v[4:5]
	v_fma_f64 v[14:15], v[22:23], v[0:1], v[6:7]
	;; [unrolled: 1-line block ×8, first 2 shown]
	v_lshlrev_b32_e32 v20, 2, v24
	s_and_saveexec_b32 s1, s0
	s_delay_alu instid0(SALU_CYCLE_1)
	s_xor_b32 s0, exec_lo, s1
	s_cbranch_execz .LBB141_42
; %bb.41:
	s_delay_alu instid0(VALU_DEP_1) | instskip(NEXT) | instid1(VALU_DEP_1)
	v_ashrrev_i32_e32 v21, 31, v20
                                        ; implicit-def: $vgpr18_vgpr19
	v_lshlrev_b64 v[16:17], 4, v[20:21]
                                        ; implicit-def: $vgpr20
	s_waitcnt lgkmcnt(0)
	s_delay_alu instid0(VALU_DEP_1) | instskip(NEXT) | instid1(VALU_DEP_2)
	v_add_co_u32 v16, vcc_lo, s2, v16
	v_add_co_ci_u32_e32 v17, vcc_lo, s3, v17, vcc_lo
	s_clause 0x3
	global_store_b128 v[16:17], v[12:15], off
	global_store_b128 v[16:17], v[8:11], off offset:16
	global_store_b128 v[16:17], v[4:7], off offset:32
	;; [unrolled: 1-line block ×3, first 2 shown]
                                        ; implicit-def: $vgpr16_vgpr17
                                        ; implicit-def: $vgpr12_vgpr13
                                        ; implicit-def: $vgpr8_vgpr9
                                        ; implicit-def: $vgpr4_vgpr5
                                        ; implicit-def: $vgpr0_vgpr1
.LBB141_42:
	s_and_not1_saveexec_b32 s0, s0
	s_cbranch_execz .LBB141_12
; %bb.43:
	v_ashrrev_i32_e32 v21, 31, v20
	s_delay_alu instid0(VALU_DEP_1) | instskip(SKIP_1) | instid1(VALU_DEP_1)
	v_lshlrev_b64 v[20:21], 4, v[20:21]
	s_waitcnt lgkmcnt(0)
	v_add_co_u32 v36, vcc_lo, s2, v20
	s_delay_alu instid0(VALU_DEP_2)
	v_add_co_ci_u32_e32 v37, vcc_lo, s3, v21, vcc_lo
	s_clause 0x3
	global_load_b128 v[20:23], v[36:37], off
	global_load_b128 v[24:27], v[36:37], off offset:16
	global_load_b128 v[28:31], v[36:37], off offset:32
	;; [unrolled: 1-line block ×3, first 2 shown]
	s_waitcnt vmcnt(3)
	v_fma_f64 v[12:13], v[16:17], v[20:21], v[12:13]
	v_fma_f64 v[14:15], v[18:19], v[20:21], v[14:15]
	s_waitcnt vmcnt(2)
	v_fma_f64 v[8:9], v[16:17], v[24:25], v[8:9]
	v_fma_f64 v[10:11], v[18:19], v[24:25], v[10:11]
	;; [unrolled: 3-line block ×4, first 2 shown]
	v_fma_f64 v[0:1], -v[18:19], v[22:23], v[12:13]
	v_fma_f64 v[2:3], v[16:17], v[22:23], v[14:15]
	v_fma_f64 v[4:5], -v[18:19], v[26:27], v[8:9]
	v_fma_f64 v[6:7], v[16:17], v[26:27], v[10:11]
	v_fma_f64 v[8:9], -v[18:19], v[30:31], v[20:21]
	v_fma_f64 v[10:11], v[16:17], v[30:31], v[24:25]
	v_fma_f64 v[12:13], -v[18:19], v[34:35], v[28:29]
	v_fma_f64 v[14:15], v[16:17], v[34:35], v[32:33]
	s_clause 0x3
	global_store_b128 v[36:37], v[0:3], off
	global_store_b128 v[36:37], v[4:7], off offset:16
	global_store_b128 v[36:37], v[8:11], off offset:32
	;; [unrolled: 1-line block ×3, first 2 shown]
	s_nop 0
	s_sendmsg sendmsg(MSG_DEALLOC_VGPRS)
	s_endpgm
	.section	.rodata,"a",@progbits
	.p2align	6, 0x0
	.amdhsa_kernel _ZN9rocsparseL18bsrxmvn_4x4_kernelILj128ELj8E21rocsparse_complex_numIdElidS2_S2_EEvT3_20rocsparse_direction_NS_24const_host_device_scalarIT1_EES3_PKS3_PKT2_SC_S9_PKT4_PKT5_S7_PT6_21rocsparse_index_base_b
		.amdhsa_group_segment_fixed_size 2048
		.amdhsa_private_segment_fixed_size 0
		.amdhsa_kernarg_size 112
		.amdhsa_user_sgpr_count 15
		.amdhsa_user_sgpr_dispatch_ptr 1
		.amdhsa_user_sgpr_queue_ptr 0
		.amdhsa_user_sgpr_kernarg_segment_ptr 1
		.amdhsa_user_sgpr_dispatch_id 0
		.amdhsa_user_sgpr_private_segment_size 0
		.amdhsa_wavefront_size32 1
		.amdhsa_uses_dynamic_stack 0
		.amdhsa_enable_private_segment 0
		.amdhsa_system_sgpr_workgroup_id_x 1
		.amdhsa_system_sgpr_workgroup_id_y 0
		.amdhsa_system_sgpr_workgroup_id_z 0
		.amdhsa_system_sgpr_workgroup_info 0
		.amdhsa_system_vgpr_workitem_id 2
		.amdhsa_next_free_vgpr 117
		.amdhsa_next_free_sgpr 18
		.amdhsa_reserve_vcc 1
		.amdhsa_float_round_mode_32 0
		.amdhsa_float_round_mode_16_64 0
		.amdhsa_float_denorm_mode_32 3
		.amdhsa_float_denorm_mode_16_64 3
		.amdhsa_dx10_clamp 1
		.amdhsa_ieee_mode 1
		.amdhsa_fp16_overflow 0
		.amdhsa_workgroup_processor_mode 1
		.amdhsa_memory_ordered 1
		.amdhsa_forward_progress 0
		.amdhsa_shared_vgpr_count 0
		.amdhsa_exception_fp_ieee_invalid_op 0
		.amdhsa_exception_fp_denorm_src 0
		.amdhsa_exception_fp_ieee_div_zero 0
		.amdhsa_exception_fp_ieee_overflow 0
		.amdhsa_exception_fp_ieee_underflow 0
		.amdhsa_exception_fp_ieee_inexact 0
		.amdhsa_exception_int_div_zero 0
	.end_amdhsa_kernel
	.section	.text._ZN9rocsparseL18bsrxmvn_4x4_kernelILj128ELj8E21rocsparse_complex_numIdElidS2_S2_EEvT3_20rocsparse_direction_NS_24const_host_device_scalarIT1_EES3_PKS3_PKT2_SC_S9_PKT4_PKT5_S7_PT6_21rocsparse_index_base_b,"axG",@progbits,_ZN9rocsparseL18bsrxmvn_4x4_kernelILj128ELj8E21rocsparse_complex_numIdElidS2_S2_EEvT3_20rocsparse_direction_NS_24const_host_device_scalarIT1_EES3_PKS3_PKT2_SC_S9_PKT4_PKT5_S7_PT6_21rocsparse_index_base_b,comdat
.Lfunc_end141:
	.size	_ZN9rocsparseL18bsrxmvn_4x4_kernelILj128ELj8E21rocsparse_complex_numIdElidS2_S2_EEvT3_20rocsparse_direction_NS_24const_host_device_scalarIT1_EES3_PKS3_PKT2_SC_S9_PKT4_PKT5_S7_PT6_21rocsparse_index_base_b, .Lfunc_end141-_ZN9rocsparseL18bsrxmvn_4x4_kernelILj128ELj8E21rocsparse_complex_numIdElidS2_S2_EEvT3_20rocsparse_direction_NS_24const_host_device_scalarIT1_EES3_PKS3_PKT2_SC_S9_PKT4_PKT5_S7_PT6_21rocsparse_index_base_b
                                        ; -- End function
	.section	.AMDGPU.csdata,"",@progbits
; Kernel info:
; codeLenInByte = 10820
; NumSgprs: 20
; NumVgprs: 117
; ScratchSize: 0
; MemoryBound: 0
; FloatMode: 240
; IeeeMode: 1
; LDSByteSize: 2048 bytes/workgroup (compile time only)
; SGPRBlocks: 2
; VGPRBlocks: 14
; NumSGPRsForWavesPerEU: 20
; NumVGPRsForWavesPerEU: 117
; Occupancy: 12
; WaveLimiterHint : 1
; COMPUTE_PGM_RSRC2:SCRATCH_EN: 0
; COMPUTE_PGM_RSRC2:USER_SGPR: 15
; COMPUTE_PGM_RSRC2:TRAP_HANDLER: 0
; COMPUTE_PGM_RSRC2:TGID_X_EN: 1
; COMPUTE_PGM_RSRC2:TGID_Y_EN: 0
; COMPUTE_PGM_RSRC2:TGID_Z_EN: 0
; COMPUTE_PGM_RSRC2:TIDIG_COMP_CNT: 2
	.section	.text._ZN9rocsparseL18bsrxmvn_4x4_kernelILj128ELj16E21rocsparse_complex_numIdElidS2_S2_EEvT3_20rocsparse_direction_NS_24const_host_device_scalarIT1_EES3_PKS3_PKT2_SC_S9_PKT4_PKT5_S7_PT6_21rocsparse_index_base_b,"axG",@progbits,_ZN9rocsparseL18bsrxmvn_4x4_kernelILj128ELj16E21rocsparse_complex_numIdElidS2_S2_EEvT3_20rocsparse_direction_NS_24const_host_device_scalarIT1_EES3_PKS3_PKT2_SC_S9_PKT4_PKT5_S7_PT6_21rocsparse_index_base_b,comdat
	.globl	_ZN9rocsparseL18bsrxmvn_4x4_kernelILj128ELj16E21rocsparse_complex_numIdElidS2_S2_EEvT3_20rocsparse_direction_NS_24const_host_device_scalarIT1_EES3_PKS3_PKT2_SC_S9_PKT4_PKT5_S7_PT6_21rocsparse_index_base_b ; -- Begin function _ZN9rocsparseL18bsrxmvn_4x4_kernelILj128ELj16E21rocsparse_complex_numIdElidS2_S2_EEvT3_20rocsparse_direction_NS_24const_host_device_scalarIT1_EES3_PKS3_PKT2_SC_S9_PKT4_PKT5_S7_PT6_21rocsparse_index_base_b
	.p2align	8
	.type	_ZN9rocsparseL18bsrxmvn_4x4_kernelILj128ELj16E21rocsparse_complex_numIdElidS2_S2_EEvT3_20rocsparse_direction_NS_24const_host_device_scalarIT1_EES3_PKS3_PKT2_SC_S9_PKT4_PKT5_S7_PT6_21rocsparse_index_base_b,@function
_ZN9rocsparseL18bsrxmvn_4x4_kernelILj128ELj16E21rocsparse_complex_numIdElidS2_S2_EEvT3_20rocsparse_direction_NS_24const_host_device_scalarIT1_EES3_PKS3_PKT2_SC_S9_PKT4_PKT5_S7_PT6_21rocsparse_index_base_b: ; @_ZN9rocsparseL18bsrxmvn_4x4_kernelILj128ELj16E21rocsparse_complex_numIdElidS2_S2_EEvT3_20rocsparse_direction_NS_24const_host_device_scalarIT1_EES3_PKS3_PKT2_SC_S9_PKT4_PKT5_S7_PT6_21rocsparse_index_base_b
; %bb.0:
	s_load_b64 s[12:13], s[2:3], 0x68
	s_load_b64 s[16:17], s[0:1], 0x4
	s_load_b128 s[8:11], s[2:3], 0x8
	v_bfe_u32 v2, v0, 10, 10
	s_mov_b64 s[0:1], src_shared_base
	s_load_b128 s[4:7], s[2:3], 0x50
	v_and_b32_e32 v1, 0x3ff, v0
	v_bfe_u32 v0, v0, 20, 10
	s_waitcnt lgkmcnt(0)
	s_bitcmp1_b32 s13, 0
	v_mul_u32_u24_e32 v2, s17, v2
	s_cselect_b32 s0, -1, 0
	v_mov_b32_e32 v23, s11
	s_and_b32 vcc_lo, s0, exec_lo
	s_cselect_b32 s13, s1, s9
	s_lshr_b32 s14, s16, 16
	v_dual_mov_b32 v4, s4 :: v_dual_mov_b32 v5, s5
	s_mul_i32 s14, s14, s17
	v_dual_mov_b32 v7, s13 :: v_dual_mov_b32 v22, s10
	v_mad_u32_u24 v2, s14, v1, v2
	s_xor_b32 s10, s0, -1
	s_delay_alu instid0(VALU_DEP_1) | instskip(SKIP_1) | instid1(VALU_DEP_2)
	v_add_lshl_u32 v0, v2, v0, 3
	v_dual_mov_b32 v2, s8 :: v_dual_mov_b32 v3, s9
	v_add_nc_u32_e32 v6, 0x400, v0
	ds_store_2addr_stride64_b64 v0, v[4:5], v[2:3] offset1:2
	v_cndmask_b32_e64 v6, s8, v6, s0
	flat_load_b64 v[20:21], v[6:7]
	s_cbranch_vccnz .LBB142_2
; %bb.1:
	v_dual_mov_b32 v2, s8 :: v_dual_mov_b32 v3, s9
	flat_load_b64 v[22:23], v[2:3] offset:8
.LBB142_2:
	s_and_b32 s8, s0, exec_lo
	s_cselect_b32 s1, s1, s5
	v_cndmask_b32_e64 v2, s4, v0, s0
	v_mov_b32_e32 v3, s1
	v_dual_mov_b32 v19, s7 :: v_dual_mov_b32 v18, s6
	s_and_not1_b32 vcc_lo, exec_lo, s10
	flat_load_b64 v[16:17], v[2:3]
	s_cbranch_vccnz .LBB142_4
; %bb.3:
	v_dual_mov_b32 v2, s4 :: v_dual_mov_b32 v3, s5
	flat_load_b64 v[18:19], v[2:3] offset:8
.LBB142_4:
	s_waitcnt vmcnt(1) lgkmcnt(1)
	v_cmp_eq_f64_e32 vcc_lo, 0, v[20:21]
	v_cmp_eq_f64_e64 s0, 0, v[22:23]
	s_delay_alu instid0(VALU_DEP_1)
	s_and_b32 s4, vcc_lo, s0
	s_mov_b32 s0, -1
	s_and_saveexec_b32 s1, s4
	s_cbranch_execz .LBB142_6
; %bb.5:
	s_waitcnt vmcnt(0) lgkmcnt(0)
	v_cmp_neq_f64_e32 vcc_lo, 1.0, v[16:17]
	v_cmp_neq_f64_e64 s0, 0, v[18:19]
	s_delay_alu instid0(VALU_DEP_1) | instskip(NEXT) | instid1(SALU_CYCLE_1)
	s_or_b32 s0, vcc_lo, s0
	s_or_not1_b32 s0, s0, exec_lo
.LBB142_6:
	s_or_b32 exec_lo, exec_lo, s1
	s_and_saveexec_b32 s1, s0
	s_cbranch_execz .LBB142_12
; %bb.7:
	s_clause 0x1
	s_load_b64 s[4:5], s[2:3], 0x20
	s_load_b64 s[0:1], s[2:3], 0x0
	v_lshrrev_b32_e32 v0, 4, v1
	s_delay_alu instid0(VALU_DEP_1)
	v_lshl_or_b32 v24, s15, 3, v0
	s_waitcnt lgkmcnt(0)
	s_cmp_lg_u64 s[4:5], 0
	s_cbranch_scc0 .LBB142_13
; %bb.8:
	s_load_b32 s6, s[2:3], 0x18
	s_mov_b32 s7, 0
                                        ; implicit-def: $vgpr0
	s_waitcnt lgkmcnt(0)
	v_cmp_gt_i32_e32 vcc_lo, s6, v24
	s_mov_b32 s6, 0
	s_and_saveexec_b32 s8, vcc_lo
	s_delay_alu instid0(SALU_CYCLE_1)
	s_xor_b32 s8, exec_lo, s8
	s_cbranch_execz .LBB142_10
; %bb.9:
	v_ashrrev_i32_e32 v25, 31, v24
	s_mov_b32 s6, exec_lo
	s_delay_alu instid0(VALU_DEP_1) | instskip(NEXT) | instid1(VALU_DEP_1)
	v_lshlrev_b64 v[2:3], 2, v[24:25]
	v_add_co_u32 v2, vcc_lo, s4, v2
	s_delay_alu instid0(VALU_DEP_2)
	v_add_co_ci_u32_e32 v3, vcc_lo, s5, v3, vcc_lo
	global_load_b32 v0, v[2:3], off
	s_waitcnt vmcnt(0)
	v_subrev_nc_u32_e32 v0, s12, v0
.LBB142_10:
	s_or_b32 exec_lo, exec_lo, s8
	s_delay_alu instid0(SALU_CYCLE_1)
	s_and_b32 vcc_lo, exec_lo, s7
	s_cbranch_vccz .LBB142_14
.LBB142_11:
	v_cmp_gt_i32_e32 vcc_lo, s0, v24
	s_and_not1_b32 s0, s6, exec_lo
	s_and_b32 s4, vcc_lo, exec_lo
	s_delay_alu instid0(SALU_CYCLE_1) | instskip(NEXT) | instid1(SALU_CYCLE_1)
	s_or_b32 s6, s0, s4
	s_and_b32 exec_lo, exec_lo, s6
	s_cbranch_execnz .LBB142_15
.LBB142_12:
	s_nop 0
	s_sendmsg sendmsg(MSG_DEALLOC_VGPRS)
	s_endpgm
.LBB142_13:
	s_mov_b32 s6, 0
                                        ; implicit-def: $vgpr0
	s_cbranch_execnz .LBB142_11
.LBB142_14:
	s_delay_alu instid0(VALU_DEP_1)
	v_mov_b32_e32 v24, v0
	s_and_b32 exec_lo, exec_lo, s6
	s_cbranch_execz .LBB142_12
.LBB142_15:
	s_load_b256 s[4:11], s[2:3], 0x28
	s_delay_alu instid0(VALU_DEP_1) | instskip(SKIP_1) | instid1(VALU_DEP_2)
	v_ashrrev_i32_e32 v25, 31, v24
	v_and_b32_e32 v55, 15, v1
	v_lshlrev_b64 v[2:3], 3, v[24:25]
	s_waitcnt lgkmcnt(0)
	s_delay_alu instid0(VALU_DEP_1) | instskip(NEXT) | instid1(VALU_DEP_2)
	v_add_co_u32 v4, vcc_lo, s4, v2
	v_add_co_ci_u32_e32 v5, vcc_lo, s5, v3, vcc_lo
	v_add_co_u32 v0, vcc_lo, s6, v2
	v_add_co_ci_u32_e32 v2, vcc_lo, s7, v3, vcc_lo
	s_delay_alu instid0(VALU_DEP_4)
	v_add_co_u32 v6, vcc_lo, v4, 8
	global_load_b64 v[47:48], v[4:5], off
	v_add_co_ci_u32_e32 v3, vcc_lo, 0, v5, vcc_lo
	s_cmp_eq_u64 s[6:7], 0
	s_load_b64 s[4:5], s[2:3], 0x48
	s_cselect_b32 vcc_lo, -1, 0
	s_cmp_eq_u32 s1, 1
	v_dual_cndmask_b32 v3, v2, v3 :: v_dual_cndmask_b32 v2, v0, v6
	global_load_b64 v[2:3], v[2:3], off
	s_waitcnt vmcnt(1)
	v_sub_co_u32 v0, vcc_lo, v47, s12
	v_subrev_co_ci_u32_e32 v1, vcc_lo, 0, v48, vcc_lo
	s_delay_alu instid0(VALU_DEP_2) | instskip(NEXT) | instid1(VALU_DEP_2)
	v_add_co_u32 v25, vcc_lo, v0, v55
	v_add_co_ci_u32_e32 v26, vcc_lo, 0, v1, vcc_lo
	s_delay_alu instid0(VALU_DEP_1) | instskip(SKIP_3) | instid1(VALU_DEP_3)
	v_lshlrev_b64 v[0:1], 7, v[25:26]
	s_waitcnt vmcnt(0)
	v_sub_co_u32 v27, vcc_lo, v2, s12
	v_subrev_co_ci_u32_e32 v28, vcc_lo, 0, v3, vcc_lo
	v_add_co_u32 v29, vcc_lo, s10, v0
	s_delay_alu instid0(VALU_DEP_2)
	v_cmp_lt_i64_e64 s0, v[25:26], v[27:28]
	v_add_co_ci_u32_e32 v30, vcc_lo, s11, v1, vcc_lo
	s_cbranch_scc1 .LBB142_27
; %bb.16:
	v_mov_b32_e32 v35, 0
	v_mov_b32_e32 v36, 0
	s_delay_alu instid0(VALU_DEP_2) | instskip(NEXT) | instid1(VALU_DEP_2)
	v_mov_b32_e32 v33, v35
	v_dual_mov_b32 v31, v35 :: v_dual_mov_b32 v32, v36
	v_dual_mov_b32 v42, v36 :: v_dual_mov_b32 v41, v35
	;; [unrolled: 1-line block ×6, first 2 shown]
	v_mov_b32_e32 v34, v36
	s_and_saveexec_b32 s6, s0
	s_cbranch_execz .LBB142_26
; %bb.17:
	v_or_b32_e32 v0, 16, v55
	v_not_b32_e32 v3, v47
	v_not_b32_e32 v2, v48
	v_mov_b32_e32 v52, v26
	s_mov_b32 s10, 0
	v_sub_co_u32 v0, s1, v0, s12
	s_delay_alu instid0(VALU_DEP_1) | instskip(SKIP_1) | instid1(VALU_DEP_3)
	v_sub_co_ci_u32_e64 v1, null, 0, 0, s1
	v_sub_co_u32 v4, s1, s12, v55
	v_add_co_u32 v0, vcc_lo, v0, v47
	s_delay_alu instid0(VALU_DEP_3) | instskip(SKIP_2) | instid1(VALU_DEP_2)
	v_add_co_ci_u32_e32 v1, vcc_lo, v1, v48, vcc_lo
	v_sub_co_ci_u32_e64 v5, null, 0, 0, s1
	s_mov_b32 s7, exec_lo
	v_cmp_gt_i64_e32 vcc_lo, v[0:1], v[27:28]
	v_mov_b32_e32 v51, v25
	v_dual_cndmask_b32 v1, v28, v1 :: v_dual_cndmask_b32 v0, v27, v0
	v_add_co_u32 v3, vcc_lo, v4, v3
	v_add_co_ci_u32_e32 v2, vcc_lo, v5, v2, vcc_lo
	s_delay_alu instid0(VALU_DEP_2) | instskip(NEXT) | instid1(VALU_DEP_2)
	v_add_co_u32 v0, vcc_lo, v3, v0
	v_add_co_ci_u32_e32 v1, vcc_lo, v2, v1, vcc_lo
	s_delay_alu instid0(VALU_DEP_2) | instskip(SKIP_3) | instid1(VALU_DEP_4)
	v_lshrrev_b32_e32 v2, 4, v0
	v_mov_b32_e32 v31, 0
	v_mov_b32_e32 v32, 0
	v_dual_mov_b32 v50, v30 :: v_dual_mov_b32 v49, v29
	v_add_nc_u32_e32 v2, 1, v2
	s_delay_alu instid0(VALU_DEP_3)
	v_mov_b32_e32 v34, v32
	v_mov_b32_e32 v40, v32
	;; [unrolled: 1-line block ×6, first 2 shown]
	v_dual_mov_b32 v36, v32 :: v_dual_mov_b32 v33, v31
	v_mov_b32_e32 v39, v31
	v_dual_mov_b32 v37, v31 :: v_dual_and_b32 v2, 3, v2
	v_mov_b32_e32 v45, v31
	v_mov_b32_e32 v43, v31
	;; [unrolled: 1-line block ×4, first 2 shown]
	v_cmpx_ne_u32_e32 0, v2
	s_cbranch_execz .LBB142_21
; %bb.18:
	v_lshlrev_b64 v[4:5], 2, v[25:26]
	v_dual_mov_b32 v35, 0 :: v_dual_lshlrev_b32 v2, 2, v2
	v_dual_mov_b32 v3, 0 :: v_dual_mov_b32 v36, 0
	v_dual_mov_b32 v52, v26 :: v_dual_mov_b32 v51, v25
	s_delay_alu instid0(VALU_DEP_4)
	v_add_co_u32 v4, vcc_lo, s8, v4
	v_add_co_ci_u32_e32 v5, vcc_lo, s9, v5, vcc_lo
	v_dual_mov_b32 v50, v30 :: v_dual_mov_b32 v49, v29
	v_dual_mov_b32 v42, v36 :: v_dual_mov_b32 v41, v35
	;; [unrolled: 1-line block ×8, first 2 shown]
.LBB142_19:                             ; =>This Inner Loop Header: Depth=1
	global_load_b32 v14, v[4:5], off
	s_clause 0x7
	global_load_b128 v[6:9], v[49:50], off offset:48
	global_load_b128 v[10:13], v[49:50], off offset:32
	;; [unrolled: 1-line block ×3, first 2 shown]
	global_load_b128 v[60:63], v[49:50], off
	global_load_b128 v[64:67], v[49:50], off offset:112
	global_load_b128 v[68:71], v[49:50], off offset:96
	;; [unrolled: 1-line block ×4, first 2 shown]
	v_add_co_u32 v4, s1, v4, 64
	s_delay_alu instid0(VALU_DEP_1) | instskip(SKIP_2) | instid1(VALU_DEP_1)
	v_add_co_ci_u32_e64 v5, s1, 0, v5, s1
	s_waitcnt vmcnt(8)
	v_subrev_nc_u32_e32 v14, s12, v14
	v_lshlrev_b32_e32 v14, 2, v14
	s_delay_alu instid0(VALU_DEP_1) | instskip(NEXT) | instid1(VALU_DEP_1)
	v_ashrrev_i32_e32 v15, 31, v14
	v_lshlrev_b64 v[14:15], 4, v[14:15]
	s_waitcnt lgkmcnt(0)
	s_delay_alu instid0(VALU_DEP_1) | instskip(NEXT) | instid1(VALU_DEP_2)
	v_add_co_u32 v14, vcc_lo, s4, v14
	v_add_co_ci_u32_e32 v15, vcc_lo, s5, v15, vcc_lo
	v_add_co_u32 v49, vcc_lo, 0x800, v49
	v_add_co_ci_u32_e32 v50, vcc_lo, 0, v50, vcc_lo
	s_clause 0x3
	global_load_b128 v[80:83], v[14:15], off
	global_load_b128 v[84:87], v[14:15], off offset:16
	global_load_b128 v[88:91], v[14:15], off offset:32
	;; [unrolled: 1-line block ×3, first 2 shown]
	v_add_co_u32 v2, vcc_lo, v2, -4
	v_add_co_ci_u32_e32 v3, vcc_lo, -1, v3, vcc_lo
	v_add_co_u32 v51, vcc_lo, v51, 16
	v_add_co_ci_u32_e32 v52, vcc_lo, 0, v52, vcc_lo
	s_delay_alu instid0(VALU_DEP_3)
	v_cmp_eq_u64_e32 vcc_lo, 0, v[2:3]
	s_or_b32 s10, vcc_lo, s10
	s_waitcnt vmcnt(3)
	v_fma_f64 v[14:15], v[60:61], v[80:81], v[41:42]
	v_fma_f64 v[35:36], v[80:81], 0, v[35:36]
	v_fma_f64 v[41:42], v[10:11], v[80:81], v[43:44]
	v_fma_f64 v[43:44], v[80:81], 0, v[45:46]
	v_fma_f64 v[39:40], v[76:77], v[80:81], v[39:40]
	v_fma_f64 v[37:38], v[80:81], 0, v[37:38]
	v_fma_f64 v[31:32], v[68:69], v[80:81], v[31:32]
	v_fma_f64 v[33:34], v[80:81], 0, v[33:34]
	v_fma_f64 v[14:15], 0x80000000, v[82:83], v[14:15]
	v_fma_f64 v[35:36], v[60:61], v[82:83], v[35:36]
	v_fma_f64 v[41:42], 0x80000000, v[82:83], v[41:42]
	v_fma_f64 v[10:11], v[10:11], v[82:83], v[43:44]
	v_fma_f64 v[39:40], 0x80000000, v[82:83], v[39:40]
	v_fma_f64 v[37:38], v[76:77], v[82:83], v[37:38]
	v_fma_f64 v[31:32], 0x80000000, v[82:83], v[31:32]
	v_fma_f64 v[33:34], v[68:69], v[82:83], v[33:34]
	s_waitcnt vmcnt(2)
	v_fma_f64 v[14:15], v[62:63], v[84:85], v[14:15]
	v_fma_f64 v[35:36], v[84:85], 0, v[35:36]
	v_fma_f64 v[41:42], v[12:13], v[84:85], v[41:42]
	v_fma_f64 v[10:11], v[84:85], 0, v[10:11]
	v_fma_f64 v[39:40], v[78:79], v[84:85], v[39:40]
	v_fma_f64 v[37:38], v[84:85], 0, v[37:38]
	v_fma_f64 v[31:32], v[70:71], v[84:85], v[31:32]
	v_fma_f64 v[33:34], v[84:85], 0, v[33:34]
	v_fma_f64 v[14:15], 0x80000000, v[86:87], v[14:15]
	v_fma_f64 v[35:36], v[62:63], v[86:87], v[35:36]
	v_fma_f64 v[41:42], 0x80000000, v[86:87], v[41:42]
	v_fma_f64 v[10:11], v[12:13], v[86:87], v[10:11]
	v_fma_f64 v[12:13], 0x80000000, v[86:87], v[39:40]
	v_fma_f64 v[37:38], v[78:79], v[86:87], v[37:38]
	v_fma_f64 v[31:32], 0x80000000, v[86:87], v[31:32]
	v_fma_f64 v[33:34], v[70:71], v[86:87], v[33:34]
	s_waitcnt vmcnt(1)
	v_fma_f64 v[14:15], v[56:57], v[88:89], v[14:15]
	v_fma_f64 v[35:36], v[88:89], 0, v[35:36]
	v_fma_f64 v[39:40], v[6:7], v[88:89], v[41:42]
	v_fma_f64 v[10:11], v[88:89], 0, v[10:11]
	v_fma_f64 v[12:13], v[72:73], v[88:89], v[12:13]
	v_fma_f64 v[37:38], v[88:89], 0, v[37:38]
	v_fma_f64 v[31:32], v[64:65], v[88:89], v[31:32]
	v_fma_f64 v[33:34], v[88:89], 0, v[33:34]
	v_fma_f64 v[14:15], 0x80000000, v[90:91], v[14:15]
	v_fma_f64 v[35:36], v[56:57], v[90:91], v[35:36]
	v_fma_f64 v[39:40], 0x80000000, v[90:91], v[39:40]
	v_fma_f64 v[6:7], v[6:7], v[90:91], v[10:11]
	v_fma_f64 v[10:11], 0x80000000, v[90:91], v[12:13]
	v_fma_f64 v[12:13], v[72:73], v[90:91], v[37:38]
	v_fma_f64 v[31:32], 0x80000000, v[90:91], v[31:32]
	v_fma_f64 v[33:34], v[64:65], v[90:91], v[33:34]
	s_waitcnt vmcnt(0)
	v_fma_f64 v[14:15], v[58:59], v[92:93], v[14:15]
	v_fma_f64 v[35:36], v[92:93], 0, v[35:36]
	v_fma_f64 v[37:38], v[8:9], v[92:93], v[39:40]
	v_fma_f64 v[6:7], v[92:93], 0, v[6:7]
	v_fma_f64 v[10:11], v[74:75], v[92:93], v[10:11]
	v_fma_f64 v[12:13], v[92:93], 0, v[12:13]
	v_fma_f64 v[31:32], v[66:67], v[92:93], v[31:32]
	v_fma_f64 v[33:34], v[92:93], 0, v[33:34]
	v_fma_f64 v[41:42], 0x80000000, v[94:95], v[14:15]
	v_fma_f64 v[35:36], v[58:59], v[94:95], v[35:36]
	v_fma_f64 v[43:44], 0x80000000, v[94:95], v[37:38]
	v_fma_f64 v[45:46], v[8:9], v[94:95], v[6:7]
	v_fma_f64 v[39:40], 0x80000000, v[94:95], v[10:11]
	v_fma_f64 v[37:38], v[74:75], v[94:95], v[12:13]
	v_fma_f64 v[31:32], 0x80000000, v[94:95], v[31:32]
	v_fma_f64 v[33:34], v[66:67], v[94:95], v[33:34]
	s_and_not1_b32 exec_lo, exec_lo, s10
	s_cbranch_execnz .LBB142_19
; %bb.20:
	s_or_b32 exec_lo, exec_lo, s10
.LBB142_21:
	s_delay_alu instid0(SALU_CYCLE_1) | instskip(NEXT) | instid1(SALU_CYCLE_1)
	s_or_b32 exec_lo, exec_lo, s7
	s_mov_b32 s7, exec_lo
	v_cmpx_lt_u64_e32 47, v[0:1]
	s_cbranch_execz .LBB142_25
; %bb.22:
	v_lshlrev_b64 v[0:1], 2, v[51:52]
	s_mov_b32 s10, 0
	s_delay_alu instid0(VALU_DEP_1) | instskip(NEXT) | instid1(VALU_DEP_2)
	v_add_co_u32 v0, vcc_lo, v0, s8
	v_add_co_ci_u32_e32 v1, vcc_lo, s9, v1, vcc_lo
	s_delay_alu instid0(VALU_DEP_2) | instskip(NEXT) | instid1(VALU_DEP_2)
	v_add_co_u32 v53, vcc_lo, 0x80, v0
	v_add_co_ci_u32_e32 v54, vcc_lo, 0, v1, vcc_lo
.LBB142_23:                             ; =>This Inner Loop Header: Depth=1
	s_clause 0x1
	global_load_b32 v56, v[53:54], off offset:-128
	global_load_b32 v104, v[53:54], off offset:-64
	s_clause 0x3
	global_load_b128 v[4:7], v[49:50], off offset:32
	global_load_b128 v[8:11], v[49:50], off
	global_load_b128 v[0:3], v[49:50], off offset:96
	global_load_b128 v[12:15], v[49:50], off offset:64
	s_clause 0x1
	global_load_b32 v116, v[53:54], off
	global_load_b32 v118, v[53:54], off offset:64
	s_waitcnt vmcnt(7)
	v_subrev_nc_u32_e32 v56, s12, v56
	s_waitcnt vmcnt(6)
	v_subrev_nc_u32_e32 v104, s12, v104
	s_delay_alu instid0(VALU_DEP_2) | instskip(NEXT) | instid1(VALU_DEP_2)
	v_lshlrev_b32_e32 v56, 2, v56
	v_lshlrev_b32_e32 v104, 2, v104
	s_waitcnt vmcnt(1)
	v_subrev_nc_u32_e32 v116, s12, v116
	s_delay_alu instid0(VALU_DEP_3) | instskip(NEXT) | instid1(VALU_DEP_3)
	v_ashrrev_i32_e32 v57, 31, v56
	v_ashrrev_i32_e32 v105, 31, v104
	s_delay_alu instid0(VALU_DEP_3) | instskip(NEXT) | instid1(VALU_DEP_3)
	v_lshlrev_b32_e32 v116, 2, v116
	v_lshlrev_b64 v[56:57], 4, v[56:57]
	s_delay_alu instid0(VALU_DEP_3) | instskip(NEXT) | instid1(VALU_DEP_3)
	v_lshlrev_b64 v[104:105], 4, v[104:105]
	v_ashrrev_i32_e32 v117, 31, v116
	s_waitcnt lgkmcnt(0)
	s_delay_alu instid0(VALU_DEP_3) | instskip(NEXT) | instid1(VALU_DEP_4)
	v_add_co_u32 v84, vcc_lo, s4, v56
	v_add_co_ci_u32_e32 v85, vcc_lo, s5, v57, vcc_lo
	s_delay_alu instid0(VALU_DEP_4)
	v_add_co_u32 v108, vcc_lo, s4, v104
	v_add_co_ci_u32_e32 v109, vcc_lo, s5, v105, vcc_lo
	s_clause 0x1
	global_load_b128 v[56:59], v[84:85], off
	global_load_b128 v[60:63], v[84:85], off offset:16
	s_clause 0x3
	global_load_b128 v[64:67], v[49:50], off offset:48
	global_load_b128 v[68:71], v[49:50], off offset:16
	;; [unrolled: 1-line block ×4, first 2 shown]
	s_clause 0x1
	global_load_b128 v[80:83], v[84:85], off offset:32
	global_load_b128 v[84:87], v[84:85], off offset:48
	s_clause 0x3
	global_load_b128 v[88:91], v[49:50], off offset:2080
	global_load_b128 v[92:95], v[49:50], off offset:2048
	;; [unrolled: 1-line block ×4, first 2 shown]
	v_add_co_u32 v114, vcc_lo, 0x1000, v49
	global_load_b128 v[104:107], v[108:109], off
	v_add_co_ci_u32_e32 v115, vcc_lo, 0, v50, vcc_lo
	s_waitcnt vmcnt(12)
	v_fma_f64 v[35:36], v[56:57], 0, v[35:36]
	v_fma_f64 v[45:46], v[56:57], 0, v[45:46]
	;; [unrolled: 1-line block ×16, first 2 shown]
	global_load_b128 v[31:34], v[108:109], off offset:16
	s_waitcnt vmcnt(12)
	v_fma_f64 v[8:9], v[60:61], 0, v[8:9]
	v_fma_f64 v[4:5], v[60:61], 0, v[4:5]
	;; [unrolled: 1-line block ×16, first 2 shown]
	s_clause 0x3
	global_load_b128 v[0:3], v[49:50], off offset:2096
	global_load_b128 v[4:7], v[49:50], off offset:2064
	;; [unrolled: 1-line block ×5, first 2 shown]
	v_add_co_u32 v49, s1, 0x2000, v49
	s_delay_alu instid0(VALU_DEP_1)
	v_add_co_ci_u32_e64 v50, s1, 0, v50, s1
	s_waitcnt vmcnt(12)
	v_fma_f64 v[43:44], v[80:81], 0, v[43:44]
	v_fma_f64 v[45:46], v[80:81], 0, v[45:46]
	;; [unrolled: 1-line block ×16, first 2 shown]
	global_load_b128 v[39:42], v[108:109], off offset:48
	s_waitcnt vmcnt(12)
	v_fma_f64 v[72:73], v[84:85], 0, v[43:44]
	v_fma_f64 v[76:77], v[84:85], 0, v[45:46]
	;; [unrolled: 1-line block ×8, first 2 shown]
	s_clause 0x3
	global_load_b128 v[43:46], v[114:115], off
	global_load_b128 v[56:59], v[114:115], off offset:32
	global_load_b128 v[60:63], v[114:115], off offset:96
	;; [unrolled: 1-line block ×3, first 2 shown]
	v_fma_f64 v[70:71], v[70:71], v[86:87], v[72:73]
	v_fma_f64 v[72:73], v[66:67], v[86:87], v[76:77]
	;; [unrolled: 1-line block ×8, first 2 shown]
	v_lshlrev_b64 v[64:65], 4, v[116:117]
	s_delay_alu instid0(VALU_DEP_1) | instskip(NEXT) | instid1(VALU_DEP_2)
	v_add_co_u32 v112, vcc_lo, s4, v64
	v_add_co_ci_u32_e32 v113, vcc_lo, s5, v65, vcc_lo
	global_load_b128 v[64:67], v[112:113], off
	s_waitcnt vmcnt(12)
	v_fma_f64 v[70:71], v[104:105], 0, v[70:71]
	v_fma_f64 v[72:73], v[104:105], 0, v[72:73]
	v_fma_f64 v[76:77], v[104:105], 0, v[76:77]
	v_fma_f64 v[78:79], v[92:93], v[104:105], v[78:79]
	v_fma_f64 v[84:85], v[88:89], v[104:105], v[108:109]
	v_fma_f64 v[86:87], v[100:101], v[104:105], v[110:111]
	v_fma_f64 v[68:69], v[96:97], v[104:105], v[68:69]
	v_fma_f64 v[74:75], v[104:105], 0, v[74:75]
	v_fma_f64 v[92:93], v[92:93], v[106:107], v[70:71]
	v_fma_f64 v[72:73], v[88:89], v[106:107], v[72:73]
	v_fma_f64 v[76:77], v[100:101], v[106:107], v[76:77]
	v_fma_f64 v[78:79], 0x80000000, v[106:107], v[78:79]
	v_fma_f64 v[84:85], 0x80000000, v[106:107], v[84:85]
	v_fma_f64 v[86:87], 0x80000000, v[106:107], v[86:87]
	v_fma_f64 v[88:89], 0x80000000, v[106:107], v[68:69]
	global_load_b128 v[68:71], v[112:113], off offset:16
	v_fma_f64 v[74:75], v[96:97], v[106:107], v[74:75]
	s_waitcnt vmcnt(12)
	v_fma_f64 v[92:93], v[31:32], 0, v[92:93]
	v_fma_f64 v[72:73], v[31:32], 0, v[72:73]
	;; [unrolled: 1-line block ×16, first 2 shown]
	s_clause 0x3
	global_load_b128 v[31:34], v[114:115], off offset:48
	global_load_b128 v[72:75], v[114:115], off offset:112
	;; [unrolled: 1-line block ×5, first 2 shown]
	s_waitcnt vmcnt(12)
	v_fma_f64 v[92:93], v[35:36], 0, v[92:93]
	v_fma_f64 v[94:95], v[35:36], 0, v[94:95]
	;; [unrolled: 1-line block ×16, first 2 shown]
	global_load_b128 v[35:38], v[112:113], off offset:48
	s_waitcnt vmcnt(12)
	v_fma_f64 v[4:5], v[39:40], 0, v[4:5]
	v_fma_f64 v[0:1], v[39:40], 0, v[0:1]
	;; [unrolled: 1-line block ×7, first 2 shown]
	s_clause 0x3
	global_load_b128 v[92:95], v[114:115], off offset:2080
	global_load_b128 v[96:99], v[114:115], off offset:2048
	;; [unrolled: 1-line block ×4, first 2 shown]
	v_fma_f64 v[8:9], v[39:40], 0, v[8:9]
	v_subrev_nc_u32_e32 v39, s12, v118
	s_delay_alu instid0(VALU_DEP_1) | instskip(NEXT) | instid1(VALU_DEP_1)
	v_lshlrev_b32_e32 v39, 2, v39
	v_ashrrev_i32_e32 v40, 31, v39
	v_fma_f64 v[4:5], v[6:7], v[41:42], v[4:5]
	v_fma_f64 v[6:7], v[2:3], v[41:42], v[0:1]
	;; [unrolled: 1-line block ×7, first 2 shown]
	v_lshlrev_b64 v[0:1], 4, v[39:40]
	v_fma_f64 v[8:9], v[10:11], v[41:42], v[8:9]
	s_delay_alu instid0(VALU_DEP_2) | instskip(NEXT) | instid1(VALU_DEP_3)
	v_add_co_u32 v116, vcc_lo, s4, v0
	v_add_co_ci_u32_e32 v117, vcc_lo, s5, v1, vcc_lo
	v_add_co_u32 v51, vcc_lo, v51, 64
	v_add_co_ci_u32_e32 v52, vcc_lo, 0, v52, vcc_lo
	global_load_b128 v[0:3], v[116:117], off
	v_add_co_u32 v53, vcc_lo, 0x100, v53
	v_add_co_ci_u32_e32 v54, vcc_lo, 0, v54, vcc_lo
	v_cmp_ge_i64_e32 vcc_lo, v[51:52], v[27:28]
	s_or_b32 s10, vcc_lo, s10
	s_waitcnt vmcnt(12)
	v_fma_f64 v[4:5], v[64:65], 0, v[4:5]
	v_fma_f64 v[6:7], v[64:65], 0, v[6:7]
	;; [unrolled: 1-line block ×10, first 2 shown]
	global_load_b128 v[4:7], v[116:117], off offset:16
	v_fma_f64 v[10:11], 0x80000000, v[66:67], v[10:11]
	v_fma_f64 v[14:15], 0x80000000, v[66:67], v[14:15]
	;; [unrolled: 1-line block ×6, first 2 shown]
	s_waitcnt vmcnt(12)
	v_fma_f64 v[43:44], v[68:69], 0, v[43:44]
	v_fma_f64 v[56:57], v[68:69], 0, v[56:57]
	v_fma_f64 v[10:11], v[45:46], v[68:69], v[10:11]
	v_fma_f64 v[14:15], v[58:59], v[68:69], v[14:15]
	v_fma_f64 v[39:40], v[82:83], v[68:69], v[39:40]
	v_fma_f64 v[12:13], v[68:69], 0, v[12:13]
	v_fma_f64 v[41:42], v[62:63], v[68:69], v[41:42]
	v_fma_f64 v[8:9], v[68:69], 0, v[8:9]
	v_fma_f64 v[43:44], v[45:46], v[70:71], v[43:44]
	v_fma_f64 v[66:67], v[58:59], v[70:71], v[56:57]
	v_fma_f64 v[64:65], 0x80000000, v[70:71], v[10:11]
	v_fma_f64 v[45:46], 0x80000000, v[70:71], v[14:15]
	v_fma_f64 v[68:69], 0x80000000, v[70:71], v[39:40]
	v_fma_f64 v[80:81], v[82:83], v[70:71], v[12:13]
	v_fma_f64 v[82:83], 0x80000000, v[70:71], v[41:42]
	v_fma_f64 v[70:71], v[62:63], v[70:71], v[8:9]
	s_clause 0x3
	global_load_b128 v[8:11], v[114:115], off offset:2096
	global_load_b128 v[12:15], v[114:115], off offset:2064
	;; [unrolled: 1-line block ×5, first 2 shown]
	s_waitcnt vmcnt(12)
	v_fma_f64 v[43:44], v[88:89], 0, v[43:44]
	v_fma_f64 v[66:67], v[88:89], 0, v[66:67]
	v_fma_f64 v[64:65], v[84:85], v[88:89], v[64:65]
	v_fma_f64 v[45:46], v[31:32], v[88:89], v[45:46]
	v_fma_f64 v[68:69], v[76:77], v[88:89], v[68:69]
	v_fma_f64 v[80:81], v[88:89], 0, v[80:81]
	v_fma_f64 v[82:83], v[72:73], v[88:89], v[82:83]
	v_fma_f64 v[70:71], v[88:89], 0, v[70:71]
	v_fma_f64 v[43:44], v[84:85], v[90:91], v[43:44]
	v_fma_f64 v[31:32], v[31:32], v[90:91], v[66:67]
	v_fma_f64 v[88:89], 0x80000000, v[90:91], v[64:65]
	v_fma_f64 v[45:46], 0x80000000, v[90:91], v[45:46]
	v_fma_f64 v[68:69], 0x80000000, v[90:91], v[68:69]
	v_fma_f64 v[76:77], v[76:77], v[90:91], v[80:81]
	v_fma_f64 v[80:81], 0x80000000, v[90:91], v[82:83]
	v_fma_f64 v[70:71], v[72:73], v[90:91], v[70:71]
	global_load_b128 v[64:67], v[116:117], off offset:48
	s_waitcnt vmcnt(12)
	v_fma_f64 v[43:44], v[35:36], 0, v[43:44]
	v_fma_f64 v[31:32], v[35:36], 0, v[31:32]
	v_fma_f64 v[72:73], v[86:87], v[35:36], v[88:89]
	v_fma_f64 v[45:46], v[33:34], v[35:36], v[45:46]
	v_fma_f64 v[68:69], v[78:79], v[35:36], v[68:69]
	v_fma_f64 v[76:77], v[35:36], 0, v[76:77]
	v_fma_f64 v[80:81], v[74:75], v[35:36], v[80:81]
	v_fma_f64 v[35:36], v[35:36], 0, v[70:71]
	v_fma_f64 v[43:44], v[86:87], v[37:38], v[43:44]
	v_fma_f64 v[31:32], v[33:34], v[37:38], v[31:32]
	v_fma_f64 v[70:71], 0x80000000, v[37:38], v[72:73]
	v_fma_f64 v[45:46], 0x80000000, v[37:38], v[45:46]
	v_fma_f64 v[33:34], 0x80000000, v[37:38], v[68:69]
	v_fma_f64 v[68:69], v[78:79], v[37:38], v[76:77]
	v_fma_f64 v[72:73], 0x80000000, v[37:38], v[80:81]
	v_fma_f64 v[35:36], v[74:75], v[37:38], v[35:36]
	s_waitcnt vmcnt(7)
	v_fma_f64 v[43:44], v[0:1], 0, v[43:44]
	v_fma_f64 v[31:32], v[0:1], 0, v[31:32]
	v_fma_f64 v[37:38], v[96:97], v[0:1], v[70:71]
	v_fma_f64 v[45:46], v[92:93], v[0:1], v[45:46]
	v_fma_f64 v[33:34], v[104:105], v[0:1], v[33:34]
	v_fma_f64 v[68:69], v[0:1], 0, v[68:69]
	v_fma_f64 v[70:71], v[100:101], v[0:1], v[72:73]
	v_fma_f64 v[0:1], v[0:1], 0, v[35:36]
	v_fma_f64 v[31:32], v[92:93], v[2:3], v[31:32]
	v_fma_f64 v[35:36], 0x80000000, v[2:3], v[37:38]
	v_fma_f64 v[37:38], v[96:97], v[2:3], v[43:44]
	v_fma_f64 v[43:44], 0x80000000, v[2:3], v[45:46]
	v_fma_f64 v[33:34], 0x80000000, v[2:3], v[33:34]
	v_fma_f64 v[45:46], v[104:105], v[2:3], v[68:69]
	v_fma_f64 v[68:69], 0x80000000, v[2:3], v[70:71]
	v_fma_f64 v[0:1], v[100:101], v[2:3], v[0:1]
	;; [unrolled: 17-line block ×5, first 2 shown]
	s_and_not1_b32 exec_lo, exec_lo, s10
	s_cbranch_execnz .LBB142_23
; %bb.24:
	s_or_b32 exec_lo, exec_lo, s10
.LBB142_25:
	s_delay_alu instid0(SALU_CYCLE_1)
	s_or_b32 exec_lo, exec_lo, s7
.LBB142_26:
	s_delay_alu instid0(SALU_CYCLE_1)
	s_or_b32 exec_lo, exec_lo, s6
	s_cbranch_execz .LBB142_28
	s_branch .LBB142_39
.LBB142_27:
                                        ; implicit-def: $vgpr35_vgpr36
                                        ; implicit-def: $vgpr41_vgpr42
                                        ; implicit-def: $vgpr45_vgpr46
                                        ; implicit-def: $vgpr43_vgpr44
                                        ; implicit-def: $vgpr37_vgpr38
                                        ; implicit-def: $vgpr39_vgpr40
                                        ; implicit-def: $vgpr33_vgpr34
                                        ; implicit-def: $vgpr31_vgpr32
.LBB142_28:
	v_mov_b32_e32 v35, 0
	v_mov_b32_e32 v36, 0
	s_delay_alu instid0(VALU_DEP_2) | instskip(NEXT) | instid1(VALU_DEP_2)
	v_mov_b32_e32 v33, v35
	v_dual_mov_b32 v31, v35 :: v_dual_mov_b32 v32, v36
	v_dual_mov_b32 v42, v36 :: v_dual_mov_b32 v41, v35
	;; [unrolled: 1-line block ×6, first 2 shown]
	v_mov_b32_e32 v34, v36
	s_and_saveexec_b32 s1, s0
	s_cbranch_execz .LBB142_38
; %bb.29:
	v_or_b32_e32 v0, 16, v55
	v_not_b32_e32 v3, v47
	v_not_b32_e32 v2, v48
	s_mov_b32 s7, 0
	s_mov_b32 s6, exec_lo
	v_sub_co_u32 v0, s0, v0, s12
	s_delay_alu instid0(VALU_DEP_1) | instskip(SKIP_1) | instid1(VALU_DEP_3)
	v_sub_co_ci_u32_e64 v1, null, 0, 0, s0
	v_sub_co_u32 v4, s0, s12, v55
	v_add_co_u32 v0, vcc_lo, v0, v47
	s_delay_alu instid0(VALU_DEP_3) | instskip(SKIP_1) | instid1(VALU_DEP_2)
	v_add_co_ci_u32_e32 v1, vcc_lo, v1, v48, vcc_lo
	v_sub_co_ci_u32_e64 v5, null, 0, 0, s0
	v_cmp_gt_i64_e32 vcc_lo, v[0:1], v[27:28]
	v_dual_cndmask_b32 v1, v28, v1 :: v_dual_cndmask_b32 v0, v27, v0
	v_add_co_u32 v3, vcc_lo, v4, v3
	s_delay_alu instid0(VALU_DEP_4) | instskip(NEXT) | instid1(VALU_DEP_2)
	v_add_co_ci_u32_e32 v2, vcc_lo, v5, v2, vcc_lo
	v_add_co_u32 v0, vcc_lo, v3, v0
	s_delay_alu instid0(VALU_DEP_2) | instskip(NEXT) | instid1(VALU_DEP_2)
	v_add_co_ci_u32_e32 v1, vcc_lo, v2, v1, vcc_lo
	v_lshrrev_b32_e32 v2, 4, v0
	v_mov_b32_e32 v31, 0
	v_mov_b32_e32 v32, 0
	s_delay_alu instid0(VALU_DEP_3) | instskip(NEXT) | instid1(VALU_DEP_2)
	v_add_nc_u32_e32 v2, 1, v2
	v_mov_b32_e32 v38, v32
	v_mov_b32_e32 v44, v32
	;; [unrolled: 1-line block ×4, first 2 shown]
	v_dual_mov_b32 v36, v32 :: v_dual_mov_b32 v35, v31
	v_dual_mov_b32 v34, v32 :: v_dual_mov_b32 v33, v31
	;; [unrolled: 1-line block ×3, first 2 shown]
	v_dual_mov_b32 v37, v31 :: v_dual_and_b32 v2, 3, v2
	v_mov_b32_e32 v43, v31
	v_mov_b32_e32 v45, v31
	;; [unrolled: 1-line block ×3, first 2 shown]
	s_delay_alu instid0(VALU_DEP_4)
	v_cmpx_ne_u32_e32 0, v2
	s_cbranch_execz .LBB142_33
; %bb.30:
	v_lshlrev_b64 v[4:5], 2, v[25:26]
	v_dual_mov_b32 v35, 0 :: v_dual_lshlrev_b32 v2, 2, v2
	v_dual_mov_b32 v3, 0 :: v_dual_mov_b32 v36, 0
	s_delay_alu instid0(VALU_DEP_2) | instskip(NEXT) | instid1(VALU_DEP_4)
	v_mov_b32_e32 v33, v35
	v_add_co_u32 v4, vcc_lo, s8, v4
	v_add_co_ci_u32_e32 v5, vcc_lo, s9, v5, vcc_lo
	s_delay_alu instid0(VALU_DEP_4)
	v_mov_b32_e32 v34, v36
	v_dual_mov_b32 v42, v36 :: v_dual_mov_b32 v41, v35
	v_dual_mov_b32 v46, v36 :: v_dual_mov_b32 v45, v35
	;; [unrolled: 1-line block ×6, first 2 shown]
.LBB142_31:                             ; =>This Inner Loop Header: Depth=1
	global_load_b32 v14, v[4:5], off
	s_clause 0x1
	global_load_b128 v[6:9], v[29:30], off offset:16
	global_load_b128 v[10:13], v[29:30], off
	v_add_co_u32 v4, s0, v4, 64
	s_delay_alu instid0(VALU_DEP_1) | instskip(SKIP_2) | instid1(VALU_DEP_1)
	v_add_co_ci_u32_e64 v5, s0, 0, v5, s0
	s_waitcnt vmcnt(2)
	v_subrev_nc_u32_e32 v14, s12, v14
	v_lshlrev_b32_e32 v14, 2, v14
	s_delay_alu instid0(VALU_DEP_1) | instskip(NEXT) | instid1(VALU_DEP_1)
	v_ashrrev_i32_e32 v15, 31, v14
	v_lshlrev_b64 v[14:15], 4, v[14:15]
	s_waitcnt lgkmcnt(0)
	s_delay_alu instid0(VALU_DEP_1) | instskip(NEXT) | instid1(VALU_DEP_2)
	v_add_co_u32 v14, vcc_lo, s4, v14
	v_add_co_ci_u32_e32 v15, vcc_lo, s5, v15, vcc_lo
	s_clause 0x1
	global_load_b128 v[47:50], v[14:15], off
	global_load_b128 v[51:54], v[14:15], off offset:16
	s_clause 0x3
	global_load_b128 v[56:59], v[29:30], off offset:32
	global_load_b128 v[60:63], v[29:30], off offset:48
	;; [unrolled: 1-line block ×4, first 2 shown]
	s_clause 0x1
	global_load_b128 v[72:75], v[14:15], off offset:32
	global_load_b128 v[76:79], v[14:15], off offset:48
	s_clause 0x1
	global_load_b128 v[80:83], v[29:30], off offset:96
	global_load_b128 v[84:87], v[29:30], off offset:112
	v_add_co_u32 v29, vcc_lo, 0x800, v29
	v_add_co_ci_u32_e32 v30, vcc_lo, 0, v30, vcc_lo
	v_add_co_u32 v2, vcc_lo, v2, -4
	v_add_co_ci_u32_e32 v3, vcc_lo, -1, v3, vcc_lo
	v_add_co_u32 v25, vcc_lo, v25, 16
	v_add_co_ci_u32_e32 v26, vcc_lo, 0, v26, vcc_lo
	s_delay_alu instid0(VALU_DEP_3)
	v_cmp_eq_u64_e32 vcc_lo, 0, v[2:3]
	s_or_b32 s7, vcc_lo, s7
	s_waitcnt vmcnt(9)
	v_fma_f64 v[14:15], v[10:11], v[47:48], v[41:42]
	v_fma_f64 v[35:36], v[47:48], 0, v[35:36]
	v_fma_f64 v[41:42], v[12:13], v[47:48], v[43:44]
	v_fma_f64 v[43:44], v[47:48], 0, v[45:46]
	v_fma_f64 v[39:40], v[6:7], v[47:48], v[39:40]
	v_fma_f64 v[37:38], v[47:48], 0, v[37:38]
	v_fma_f64 v[31:32], v[8:9], v[47:48], v[31:32]
	v_fma_f64 v[33:34], v[47:48], 0, v[33:34]
	v_fma_f64 v[14:15], 0x80000000, v[49:50], v[14:15]
	v_fma_f64 v[10:11], v[10:11], v[49:50], v[35:36]
	v_fma_f64 v[35:36], 0x80000000, v[49:50], v[41:42]
	v_fma_f64 v[12:13], v[12:13], v[49:50], v[43:44]
	v_fma_f64 v[39:40], 0x80000000, v[49:50], v[39:40]
	v_fma_f64 v[6:7], v[6:7], v[49:50], v[37:38]
	v_fma_f64 v[31:32], 0x80000000, v[49:50], v[31:32]
	v_fma_f64 v[8:9], v[8:9], v[49:50], v[33:34]
	s_waitcnt vmcnt(7)
	v_fma_f64 v[14:15], v[56:57], v[51:52], v[14:15]
	v_fma_f64 v[10:11], v[51:52], 0, v[10:11]
	;; [unrolled: 1-line block ×4, first 2 shown]
	s_waitcnt vmcnt(6)
	v_fma_f64 v[35:36], v[60:61], v[51:52], v[39:40]
	v_fma_f64 v[6:7], v[51:52], 0, v[6:7]
	;; [unrolled: 1-line block ×12, first 2 shown]
	s_waitcnt vmcnt(3)
	v_fma_f64 v[14:15], v[68:69], v[72:73], v[14:15]
	v_fma_f64 v[10:11], v[72:73], 0, v[10:11]
	;; [unrolled: 1-line block ×16, first 2 shown]
	s_waitcnt vmcnt(1)
	v_fma_f64 v[14:15], v[80:81], v[76:77], v[14:15]
	v_fma_f64 v[10:11], v[76:77], 0, v[10:11]
	;; [unrolled: 1-line block ×4, first 2 shown]
	s_waitcnt vmcnt(0)
	v_fma_f64 v[37:38], v[84:85], v[76:77], v[35:36]
	v_fma_f64 v[6:7], v[76:77], 0, v[6:7]
	;; [unrolled: 1-line block ×12, first 2 shown]
	s_and_not1_b32 exec_lo, exec_lo, s7
	s_cbranch_execnz .LBB142_31
; %bb.32:
	s_or_b32 exec_lo, exec_lo, s7
.LBB142_33:
	s_delay_alu instid0(SALU_CYCLE_1) | instskip(NEXT) | instid1(SALU_CYCLE_1)
	s_or_b32 exec_lo, exec_lo, s6
	s_mov_b32 s6, exec_lo
	v_cmpx_lt_u64_e32 47, v[0:1]
	s_cbranch_execz .LBB142_37
; %bb.34:
	v_lshlrev_b64 v[0:1], 2, v[25:26]
	s_mov_b32 s7, 0
	s_delay_alu instid0(VALU_DEP_1) | instskip(NEXT) | instid1(VALU_DEP_2)
	v_add_co_u32 v0, vcc_lo, v0, s8
	v_add_co_ci_u32_e32 v1, vcc_lo, s9, v1, vcc_lo
	s_delay_alu instid0(VALU_DEP_2) | instskip(NEXT) | instid1(VALU_DEP_2)
	v_add_co_u32 v0, vcc_lo, 0x80, v0
	v_add_co_ci_u32_e32 v1, vcc_lo, 0, v1, vcc_lo
.LBB142_35:                             ; =>This Inner Loop Header: Depth=1
	s_clause 0x1
	global_load_b32 v2, v[0:1], off offset:-128
	global_load_b32 v15, v[0:1], off offset:-64
	s_clause 0x1
	global_load_b128 v[3:6], v[29:30], off offset:16
	global_load_b128 v[7:10], v[29:30], off
	s_clause 0x1
	global_load_b32 v104, v[0:1], off
	global_load_b32 v105, v[0:1], off offset:64
	s_waitcnt vmcnt(5)
	v_subrev_nc_u32_e32 v2, s12, v2
	s_delay_alu instid0(VALU_DEP_1) | instskip(SKIP_2) | instid1(VALU_DEP_2)
	v_lshlrev_b32_e32 v11, 2, v2
	s_waitcnt vmcnt(4)
	v_subrev_nc_u32_e32 v2, s12, v15
	v_ashrrev_i32_e32 v12, 31, v11
	s_delay_alu instid0(VALU_DEP_2) | instskip(NEXT) | instid1(VALU_DEP_2)
	v_lshlrev_b32_e32 v92, 2, v2
	v_lshlrev_b64 v[11:12], 4, v[11:12]
	s_delay_alu instid0(VALU_DEP_2) | instskip(NEXT) | instid1(VALU_DEP_1)
	v_ashrrev_i32_e32 v93, 31, v92
	v_lshlrev_b64 v[92:93], 4, v[92:93]
	s_waitcnt lgkmcnt(0)
	s_delay_alu instid0(VALU_DEP_3) | instskip(NEXT) | instid1(VALU_DEP_4)
	v_add_co_u32 v80, vcc_lo, s4, v11
	v_add_co_ci_u32_e32 v81, vcc_lo, s5, v12, vcc_lo
	global_load_b128 v[11:14], v[80:81], off
	s_clause 0x1
	global_load_b128 v[47:50], v[29:30], off offset:32
	global_load_b128 v[51:54], v[29:30], off offset:48
	global_load_b128 v[56:59], v[80:81], off offset:16
	s_clause 0x1
	global_load_b128 v[60:63], v[29:30], off offset:80
	global_load_b128 v[64:67], v[29:30], off offset:64
	global_load_b128 v[68:71], v[80:81], off offset:32
	s_clause 0x1
	global_load_b128 v[72:75], v[29:30], off offset:112
	global_load_b128 v[76:79], v[29:30], off offset:96
	global_load_b128 v[80:83], v[80:81], off offset:48
	s_clause 0x1
	global_load_b128 v[84:87], v[29:30], off offset:2064
	global_load_b128 v[88:91], v[29:30], off offset:2048
	v_add_co_u32 v96, vcc_lo, s4, v92
	v_add_co_ci_u32_e32 v97, vcc_lo, s5, v93, vcc_lo
	global_load_b128 v[92:95], v[96:97], off
	s_waitcnt vmcnt(12)
	v_fma_f64 v[35:36], v[11:12], 0, v[35:36]
	v_fma_f64 v[45:46], v[11:12], 0, v[45:46]
	v_fma_f64 v[41:42], v[7:8], v[11:12], v[41:42]
	v_fma_f64 v[43:44], v[9:10], v[11:12], v[43:44]
	v_fma_f64 v[39:40], v[3:4], v[11:12], v[39:40]
	v_fma_f64 v[37:38], v[11:12], 0, v[37:38]
	v_fma_f64 v[31:32], v[5:6], v[11:12], v[31:32]
	v_fma_f64 v[11:12], v[11:12], 0, v[33:34]
	v_fma_f64 v[33:34], v[7:8], v[13:14], v[35:36]
	v_fma_f64 v[35:36], v[9:10], v[13:14], v[45:46]
	v_fma_f64 v[41:42], 0x80000000, v[13:14], v[41:42]
	v_fma_f64 v[43:44], 0x80000000, v[13:14], v[43:44]
	v_fma_f64 v[39:40], 0x80000000, v[13:14], v[39:40]
	v_fma_f64 v[37:38], v[3:4], v[13:14], v[37:38]
	v_fma_f64 v[31:32], 0x80000000, v[13:14], v[31:32]
	v_fma_f64 v[14:15], v[5:6], v[13:14], v[11:12]
	s_clause 0x1
	global_load_b128 v[2:5], v[29:30], off offset:2096
	global_load_b128 v[6:9], v[29:30], off offset:2080
	;; [unrolled: 1-line block ×3, first 2 shown]
	s_waitcnt vmcnt(12)
	v_fma_f64 v[33:34], v[56:57], 0, v[33:34]
	v_fma_f64 v[35:36], v[56:57], 0, v[35:36]
	;; [unrolled: 1-line block ×16, first 2 shown]
	s_clause 0x1
	global_load_b128 v[31:34], v[29:30], off offset:2128
	global_load_b128 v[35:38], v[29:30], off offset:2112
	s_clause 0x1
	global_load_b128 v[39:42], v[96:97], off offset:32
	global_load_b128 v[43:46], v[96:97], off offset:48
	s_waitcnt vmcnt(13)
	v_fma_f64 v[47:48], v[68:69], 0, v[47:48]
	v_fma_f64 v[49:50], v[68:69], 0, v[49:50]
	;; [unrolled: 1-line block ×8, first 2 shown]
	v_add_co_u32 v102, vcc_lo, 0x1000, v29
	v_add_co_ci_u32_e32 v103, vcc_lo, 0, v30, vcc_lo
	v_fma_f64 v[64:65], v[64:65], v[70:71], v[47:48]
	v_fma_f64 v[66:67], v[66:67], v[70:71], v[49:50]
	;; [unrolled: 1-line block ×8, first 2 shown]
	s_clause 0x1
	global_load_b128 v[47:50], v[29:30], off offset:2144
	global_load_b128 v[51:54], v[29:30], off offset:2160
	v_add_co_u32 v29, s0, 0x2000, v29
	s_delay_alu instid0(VALU_DEP_1)
	v_add_co_ci_u32_e64 v30, s0, 0, v30, s0
	s_waitcnt vmcnt(12)
	v_fma_f64 v[64:65], v[80:81], 0, v[64:65]
	v_fma_f64 v[66:67], v[80:81], 0, v[66:67]
	;; [unrolled: 1-line block ×8, first 2 shown]
	v_subrev_nc_u32_e32 v80, s12, v104
	s_clause 0x1
	global_load_b128 v[56:59], v[102:103], off
	global_load_b128 v[60:63], v[102:103], off offset:16
	v_lshlrev_b32_e32 v80, 2, v80
	s_delay_alu instid0(VALU_DEP_1)
	v_ashrrev_i32_e32 v81, 31, v80
	v_fma_f64 v[76:77], v[76:77], v[82:83], v[64:65]
	v_fma_f64 v[78:79], v[78:79], v[82:83], v[66:67]
	;; [unrolled: 1-line block ×8, first 2 shown]
	v_lshlrev_b64 v[64:65], 4, v[80:81]
	s_delay_alu instid0(VALU_DEP_1) | instskip(NEXT) | instid1(VALU_DEP_2)
	v_add_co_u32 v80, vcc_lo, s4, v64
	v_add_co_ci_u32_e32 v81, vcc_lo, s5, v65, vcc_lo
	global_load_b128 v[64:67], v[80:81], off
	s_waitcnt vmcnt(12)
	v_fma_f64 v[74:75], v[92:93], 0, v[76:77]
	v_fma_f64 v[76:77], v[92:93], 0, v[78:79]
	v_fma_f64 v[68:69], v[88:89], v[92:93], v[68:69]
	v_fma_f64 v[70:71], v[90:91], v[92:93], v[70:71]
	v_fma_f64 v[78:79], v[84:85], v[92:93], v[98:99]
	v_fma_f64 v[72:73], v[92:93], 0, v[72:73]
	v_fma_f64 v[82:83], v[86:87], v[92:93], v[96:97]
	v_fma_f64 v[14:15], v[92:93], 0, v[14:15]
	v_fma_f64 v[88:89], v[88:89], v[94:95], v[74:75]
	v_fma_f64 v[90:91], v[90:91], v[94:95], v[76:77]
	v_fma_f64 v[92:93], 0x80000000, v[94:95], v[68:69]
	v_fma_f64 v[96:97], 0x80000000, v[94:95], v[70:71]
	v_fma_f64 v[98:99], 0x80000000, v[94:95], v[78:79]
	v_fma_f64 v[84:85], v[84:85], v[94:95], v[72:73]
	v_fma_f64 v[82:83], 0x80000000, v[94:95], v[82:83]
	v_fma_f64 v[14:15], v[86:87], v[94:95], v[14:15]
	s_clause 0x1
	global_load_b128 v[68:71], v[102:103], off offset:32
	global_load_b128 v[72:75], v[102:103], off offset:48
	global_load_b128 v[76:79], v[80:81], off offset:16
	s_waitcnt vmcnt(12)
	v_fma_f64 v[86:87], v[10:11], 0, v[88:89]
	v_fma_f64 v[88:89], v[10:11], 0, v[90:91]
	v_fma_f64 v[90:91], v[6:7], v[10:11], v[92:93]
	v_fma_f64 v[92:93], v[8:9], v[10:11], v[96:97]
	v_fma_f64 v[94:95], v[2:3], v[10:11], v[98:99]
	v_fma_f64 v[84:85], v[10:11], 0, v[84:85]
	v_fma_f64 v[82:83], v[4:5], v[10:11], v[82:83]
	v_fma_f64 v[10:11], v[10:11], 0, v[14:15]
	v_fma_f64 v[14:15], v[6:7], v[12:13], v[86:87]
	v_fma_f64 v[86:87], v[8:9], v[12:13], v[88:89]
	v_fma_f64 v[88:89], 0x80000000, v[12:13], v[90:91]
	v_fma_f64 v[90:91], 0x80000000, v[12:13], v[92:93]
	v_fma_f64 v[92:93], 0x80000000, v[12:13], v[94:95]
	v_fma_f64 v[84:85], v[2:3], v[12:13], v[84:85]
	v_fma_f64 v[82:83], 0x80000000, v[12:13], v[82:83]
	v_fma_f64 v[94:95], v[4:5], v[12:13], v[10:11]
	s_clause 0x1
	global_load_b128 v[2:5], v[102:103], off offset:80
	global_load_b128 v[6:9], v[102:103], off offset:64
	global_load_b128 v[10:13], v[80:81], off offset:32
	;; [unrolled: 21-line block ×3, first 2 shown]
	s_waitcnt vmcnt(14)
	v_fma_f64 v[14:15], v[43:44], 0, v[14:15]
	v_fma_f64 v[96:97], v[43:44], 0, v[86:87]
	s_waitcnt vmcnt(13)
	v_fma_f64 v[88:89], v[47:48], v[43:44], v[88:89]
	v_fma_f64 v[90:91], v[49:50], v[43:44], v[90:91]
	;; [unrolled: 3-line block ×3, first 2 shown]
	v_fma_f64 v[100:101], v[53:54], v[43:44], v[82:83]
	v_fma_f64 v[43:44], v[43:44], 0, v[94:95]
	v_subrev_nc_u32_e32 v94, s12, v105
	s_clause 0x1
	global_load_b128 v[80:83], v[102:103], off offset:2064
	global_load_b128 v[84:87], v[102:103], off offset:2048
	v_lshlrev_b32_e32 v94, 2, v94
	s_delay_alu instid0(VALU_DEP_1)
	v_ashrrev_i32_e32 v95, 31, v94
	v_fma_f64 v[14:15], v[47:48], v[45:46], v[14:15]
	v_fma_f64 v[47:48], v[49:50], v[45:46], v[96:97]
	;; [unrolled: 1-line block ×8, first 2 shown]
	v_lshlrev_b64 v[43:44], 4, v[94:95]
	s_delay_alu instid0(VALU_DEP_1) | instskip(NEXT) | instid1(VALU_DEP_2)
	v_add_co_u32 v94, vcc_lo, s4, v43
	v_add_co_ci_u32_e32 v95, vcc_lo, s5, v44, vcc_lo
	v_add_co_u32 v25, vcc_lo, v25, 64
	v_add_co_ci_u32_e32 v26, vcc_lo, 0, v26, vcc_lo
	global_load_b128 v[43:46], v[94:95], off
	v_add_co_u32 v0, vcc_lo, 0x100, v0
	v_add_co_ci_u32_e32 v1, vcc_lo, 0, v1, vcc_lo
	v_cmp_ge_i64_e32 vcc_lo, v[25:26], v[27:28]
	s_or_b32 s7, vcc_lo, s7
	s_waitcnt vmcnt(12)
	v_fma_f64 v[14:15], v[64:65], 0, v[14:15]
	v_fma_f64 v[47:48], v[64:65], 0, v[47:48]
	v_fma_f64 v[49:50], v[56:57], v[64:65], v[49:50]
	v_fma_f64 v[88:89], v[58:59], v[64:65], v[88:89]
	v_fma_f64 v[90:91], v[60:61], v[64:65], v[90:91]
	v_fma_f64 v[51:52], v[64:65], 0, v[51:52]
	v_fma_f64 v[92:93], v[62:63], v[64:65], v[92:93]
	v_fma_f64 v[53:54], v[64:65], 0, v[53:54]
	v_fma_f64 v[14:15], v[56:57], v[66:67], v[14:15]
	v_fma_f64 v[96:97], v[58:59], v[66:67], v[47:48]
	v_fma_f64 v[64:65], 0x80000000, v[66:67], v[49:50]
	v_fma_f64 v[88:89], 0x80000000, v[66:67], v[88:89]
	v_fma_f64 v[90:91], 0x80000000, v[66:67], v[90:91]
	v_fma_f64 v[60:61], v[60:61], v[66:67], v[51:52]
	v_fma_f64 v[92:93], 0x80000000, v[66:67], v[92:93]
	v_fma_f64 v[62:63], v[62:63], v[66:67], v[53:54]
	s_clause 0x1
	global_load_b128 v[47:50], v[102:103], off offset:2080
	global_load_b128 v[51:54], v[102:103], off offset:2096
	global_load_b128 v[56:59], v[94:95], off offset:16
	s_waitcnt vmcnt(12)
	v_fma_f64 v[14:15], v[76:77], 0, v[14:15]
	v_fma_f64 v[64:65], v[68:69], v[76:77], v[64:65]
	v_fma_f64 v[66:67], v[70:71], v[76:77], v[88:89]
	v_fma_f64 v[88:89], v[76:77], 0, v[96:97]
	v_fma_f64 v[90:91], v[72:73], v[76:77], v[90:91]
	v_fma_f64 v[60:61], v[76:77], 0, v[60:61]
	v_fma_f64 v[92:93], v[74:75], v[76:77], v[92:93]
	v_fma_f64 v[62:63], v[76:77], 0, v[62:63]
	v_fma_f64 v[14:15], v[68:69], v[78:79], v[14:15]
	v_fma_f64 v[76:77], 0x80000000, v[78:79], v[64:65]
	v_fma_f64 v[96:97], 0x80000000, v[78:79], v[66:67]
	v_fma_f64 v[88:89], v[70:71], v[78:79], v[88:89]
	v_fma_f64 v[90:91], 0x80000000, v[78:79], v[90:91]
	v_fma_f64 v[72:73], v[72:73], v[78:79], v[60:61]
	v_fma_f64 v[92:93], 0x80000000, v[78:79], v[92:93]
	v_fma_f64 v[74:75], v[74:75], v[78:79], v[62:63]
	s_clause 0x1
	global_load_b128 v[60:63], v[102:103], off offset:2128
	global_load_b128 v[64:67], v[102:103], off offset:2112
	global_load_b128 v[68:71], v[94:95], off offset:32
	;; [unrolled: 21-line block ×3, first 2 shown]
	s_waitcnt vmcnt(12)
	v_fma_f64 v[14:15], v[39:40], 0, v[14:15]
	v_fma_f64 v[74:75], v[31:32], v[39:40], v[74:75]
	v_fma_f64 v[76:77], v[33:34], v[39:40], v[76:77]
	v_fma_f64 v[78:79], v[39:40], 0, v[78:79]
	v_fma_f64 v[88:89], v[35:36], v[39:40], v[88:89]
	v_fma_f64 v[72:73], v[39:40], 0, v[72:73]
	v_fma_f64 v[90:91], v[37:38], v[39:40], v[90:91]
	v_fma_f64 v[39:40], v[39:40], 0, v[92:93]
	v_fma_f64 v[14:15], v[31:32], v[41:42], v[14:15]
	v_fma_f64 v[74:75], 0x80000000, v[41:42], v[74:75]
	v_fma_f64 v[31:32], 0x80000000, v[41:42], v[76:77]
	v_fma_f64 v[33:34], v[33:34], v[41:42], v[78:79]
	v_fma_f64 v[76:77], 0x80000000, v[41:42], v[88:89]
	v_fma_f64 v[35:36], v[35:36], v[41:42], v[72:73]
	v_fma_f64 v[72:73], 0x80000000, v[41:42], v[90:91]
	v_fma_f64 v[37:38], v[37:38], v[41:42], v[39:40]
	s_waitcnt vmcnt(9)
	v_fma_f64 v[14:15], v[43:44], 0, v[14:15]
	v_fma_f64 v[39:40], v[84:85], v[43:44], v[74:75]
	v_fma_f64 v[31:32], v[86:87], v[43:44], v[31:32]
	v_fma_f64 v[33:34], v[43:44], 0, v[33:34]
	v_fma_f64 v[41:42], v[80:81], v[43:44], v[76:77]
	v_fma_f64 v[35:36], v[43:44], 0, v[35:36]
	v_fma_f64 v[72:73], v[82:83], v[43:44], v[72:73]
	v_fma_f64 v[37:38], v[43:44], 0, v[37:38]
	v_fma_f64 v[14:15], v[84:85], v[45:46], v[14:15]
	v_fma_f64 v[39:40], 0x80000000, v[45:46], v[39:40]
	v_fma_f64 v[31:32], 0x80000000, v[45:46], v[31:32]
	v_fma_f64 v[33:34], v[86:87], v[45:46], v[33:34]
	v_fma_f64 v[41:42], 0x80000000, v[45:46], v[41:42]
	v_fma_f64 v[35:36], v[80:81], v[45:46], v[35:36]
	v_fma_f64 v[43:44], 0x80000000, v[45:46], v[72:73]
	v_fma_f64 v[37:38], v[82:83], v[45:46], v[37:38]
	;; [unrolled: 17-line block ×5, first 2 shown]
	s_and_not1_b32 exec_lo, exec_lo, s7
	s_cbranch_execnz .LBB142_35
; %bb.36:
	s_or_b32 exec_lo, exec_lo, s7
.LBB142_37:
	s_delay_alu instid0(SALU_CYCLE_1)
	s_or_b32 exec_lo, exec_lo, s6
.LBB142_38:
	s_delay_alu instid0(SALU_CYCLE_1)
	s_or_b32 exec_lo, exec_lo, s1
.LBB142_39:
	v_mbcnt_lo_u32_b32 v47, -1, 0
	s_delay_alu instid0(VALU_DEP_1) | instskip(SKIP_1) | instid1(VALU_DEP_2)
	v_xor_b32_e32 v0, 8, v47
	v_xor_b32_e32 v25, 4, v47
	v_cmp_gt_i32_e32 vcc_lo, 32, v0
	v_cndmask_b32_e32 v0, v47, v0, vcc_lo
	s_delay_alu instid0(VALU_DEP_3) | instskip(NEXT) | instid1(VALU_DEP_2)
	v_cmp_gt_i32_e32 vcc_lo, 32, v25
	v_lshlrev_b32_e32 v15, 2, v0
	v_cndmask_b32_e32 v25, v47, v25, vcc_lo
	ds_bpermute_b32 v0, v15, v41
	ds_bpermute_b32 v1, v15, v42
	;; [unrolled: 1-line block ×16, first 2 shown]
	s_waitcnt lgkmcnt(0)
	v_add_f64 v[0:1], v[41:42], v[0:1]
	v_add_f64 v[2:3], v[35:36], v[2:3]
	;; [unrolled: 1-line block ×5, first 2 shown]
	v_lshlrev_b32_e32 v40, 2, v25
	v_add_f64 v[10:11], v[37:38], v[10:11]
	v_add_f64 v[12:13], v[31:32], v[12:13]
	v_add_f64 v[14:15], v[33:34], v[14:15]
	ds_bpermute_b32 v25, v40, v0
	ds_bpermute_b32 v26, v40, v1
	;; [unrolled: 1-line block ×16, first 2 shown]
	s_waitcnt lgkmcnt(14)
	v_add_f64 v[0:1], v[0:1], v[25:26]
	s_waitcnt lgkmcnt(12)
	v_add_f64 v[2:3], v[2:3], v[27:28]
	;; [unrolled: 2-line block ×8, first 2 shown]
	v_xor_b32_e32 v14, 2, v47
	s_delay_alu instid0(VALU_DEP_1) | instskip(SKIP_1) | instid1(VALU_DEP_1)
	v_cmp_gt_i32_e32 vcc_lo, 32, v14
	v_cndmask_b32_e32 v14, v47, v14, vcc_lo
	v_lshlrev_b32_e32 v40, 2, v14
	ds_bpermute_b32 v14, v40, v0
	ds_bpermute_b32 v15, v40, v1
	;; [unrolled: 1-line block ×16, first 2 shown]
	s_waitcnt lgkmcnt(14)
	v_add_f64 v[0:1], v[0:1], v[14:15]
	s_waitcnt lgkmcnt(12)
	v_add_f64 v[27:28], v[2:3], v[27:28]
	;; [unrolled: 2-line block ×7, first 2 shown]
	v_xor_b32_e32 v12, 1, v47
	s_waitcnt lgkmcnt(0)
	v_add_f64 v[8:9], v[25:26], v[39:40]
	s_delay_alu instid0(VALU_DEP_2) | instskip(SKIP_2) | instid1(VALU_DEP_2)
	v_cmp_gt_i32_e32 vcc_lo, 32, v12
	v_cndmask_b32_e32 v12, v47, v12, vcc_lo
	v_cmp_eq_u32_e32 vcc_lo, 15, v55
	v_lshlrev_b32_e32 v34, 2, v12
	ds_bpermute_b32 v12, v34, v0
	ds_bpermute_b32 v13, v34, v1
	;; [unrolled: 1-line block ×16, first 2 shown]
	s_and_b32 exec_lo, exec_lo, vcc_lo
	s_cbranch_execz .LBB142_12
; %bb.40:
	s_waitcnt lgkmcnt(12)
	v_add_f64 v[27:28], v[27:28], v[39:40]
	s_waitcnt lgkmcnt(8)
	v_add_f64 v[14:15], v[14:15], v[37:38]
	;; [unrolled: 2-line block ×4, first 2 shown]
	v_add_f64 v[0:1], v[0:1], v[12:13]
	v_add_f64 v[2:3], v[2:3], v[25:26]
	;; [unrolled: 1-line block ×4, first 2 shown]
	v_cmp_eq_f64_e32 vcc_lo, 0, v[16:17]
	v_cmp_eq_f64_e64 s0, 0, v[18:19]
	s_load_b64 s[2:3], s[2:3], 0x60
	v_mul_f64 v[4:5], v[27:28], -v[22:23]
	v_mul_f64 v[6:7], v[20:21], v[27:28]
	v_mul_f64 v[27:28], v[14:15], -v[22:23]
	v_mul_f64 v[31:32], v[20:21], v[14:15]
	v_mul_f64 v[33:34], v[10:11], -v[22:23]
	v_mul_f64 v[35:36], v[20:21], v[10:11]
	v_mul_f64 v[37:38], v[8:9], -v[22:23]
	v_mul_f64 v[39:40], v[20:21], v[8:9]
	s_and_b32 s0, vcc_lo, s0
	v_fma_f64 v[12:13], v[20:21], v[0:1], v[4:5]
	v_fma_f64 v[14:15], v[22:23], v[0:1], v[6:7]
	;; [unrolled: 1-line block ×8, first 2 shown]
	v_lshlrev_b32_e32 v20, 2, v24
	s_and_saveexec_b32 s1, s0
	s_delay_alu instid0(SALU_CYCLE_1)
	s_xor_b32 s0, exec_lo, s1
	s_cbranch_execz .LBB142_42
; %bb.41:
	s_delay_alu instid0(VALU_DEP_1) | instskip(NEXT) | instid1(VALU_DEP_1)
	v_ashrrev_i32_e32 v21, 31, v20
                                        ; implicit-def: $vgpr18_vgpr19
	v_lshlrev_b64 v[16:17], 4, v[20:21]
                                        ; implicit-def: $vgpr20
	s_waitcnt lgkmcnt(0)
	s_delay_alu instid0(VALU_DEP_1) | instskip(NEXT) | instid1(VALU_DEP_2)
	v_add_co_u32 v16, vcc_lo, s2, v16
	v_add_co_ci_u32_e32 v17, vcc_lo, s3, v17, vcc_lo
	s_clause 0x3
	global_store_b128 v[16:17], v[12:15], off
	global_store_b128 v[16:17], v[8:11], off offset:16
	global_store_b128 v[16:17], v[4:7], off offset:32
	;; [unrolled: 1-line block ×3, first 2 shown]
                                        ; implicit-def: $vgpr16_vgpr17
                                        ; implicit-def: $vgpr12_vgpr13
                                        ; implicit-def: $vgpr8_vgpr9
                                        ; implicit-def: $vgpr4_vgpr5
                                        ; implicit-def: $vgpr0_vgpr1
.LBB142_42:
	s_and_not1_saveexec_b32 s0, s0
	s_cbranch_execz .LBB142_12
; %bb.43:
	v_ashrrev_i32_e32 v21, 31, v20
	s_delay_alu instid0(VALU_DEP_1) | instskip(SKIP_1) | instid1(VALU_DEP_1)
	v_lshlrev_b64 v[20:21], 4, v[20:21]
	s_waitcnt lgkmcnt(0)
	v_add_co_u32 v36, vcc_lo, s2, v20
	s_delay_alu instid0(VALU_DEP_2)
	v_add_co_ci_u32_e32 v37, vcc_lo, s3, v21, vcc_lo
	s_clause 0x3
	global_load_b128 v[20:23], v[36:37], off
	global_load_b128 v[24:27], v[36:37], off offset:16
	global_load_b128 v[28:31], v[36:37], off offset:32
	;; [unrolled: 1-line block ×3, first 2 shown]
	s_waitcnt vmcnt(3)
	v_fma_f64 v[12:13], v[16:17], v[20:21], v[12:13]
	v_fma_f64 v[14:15], v[18:19], v[20:21], v[14:15]
	s_waitcnt vmcnt(2)
	v_fma_f64 v[8:9], v[16:17], v[24:25], v[8:9]
	v_fma_f64 v[10:11], v[18:19], v[24:25], v[10:11]
	;; [unrolled: 3-line block ×4, first 2 shown]
	v_fma_f64 v[0:1], -v[18:19], v[22:23], v[12:13]
	v_fma_f64 v[2:3], v[16:17], v[22:23], v[14:15]
	v_fma_f64 v[4:5], -v[18:19], v[26:27], v[8:9]
	v_fma_f64 v[6:7], v[16:17], v[26:27], v[10:11]
	;; [unrolled: 2-line block ×4, first 2 shown]
	s_clause 0x3
	global_store_b128 v[36:37], v[0:3], off
	global_store_b128 v[36:37], v[4:7], off offset:16
	global_store_b128 v[36:37], v[8:11], off offset:32
	;; [unrolled: 1-line block ×3, first 2 shown]
	s_nop 0
	s_sendmsg sendmsg(MSG_DEALLOC_VGPRS)
	s_endpgm
	.section	.rodata,"a",@progbits
	.p2align	6, 0x0
	.amdhsa_kernel _ZN9rocsparseL18bsrxmvn_4x4_kernelILj128ELj16E21rocsparse_complex_numIdElidS2_S2_EEvT3_20rocsparse_direction_NS_24const_host_device_scalarIT1_EES3_PKS3_PKT2_SC_S9_PKT4_PKT5_S7_PT6_21rocsparse_index_base_b
		.amdhsa_group_segment_fixed_size 2048
		.amdhsa_private_segment_fixed_size 0
		.amdhsa_kernarg_size 112
		.amdhsa_user_sgpr_count 15
		.amdhsa_user_sgpr_dispatch_ptr 1
		.amdhsa_user_sgpr_queue_ptr 0
		.amdhsa_user_sgpr_kernarg_segment_ptr 1
		.amdhsa_user_sgpr_dispatch_id 0
		.amdhsa_user_sgpr_private_segment_size 0
		.amdhsa_wavefront_size32 1
		.amdhsa_uses_dynamic_stack 0
		.amdhsa_enable_private_segment 0
		.amdhsa_system_sgpr_workgroup_id_x 1
		.amdhsa_system_sgpr_workgroup_id_y 0
		.amdhsa_system_sgpr_workgroup_id_z 0
		.amdhsa_system_sgpr_workgroup_info 0
		.amdhsa_system_vgpr_workitem_id 2
		.amdhsa_next_free_vgpr 119
		.amdhsa_next_free_sgpr 18
		.amdhsa_reserve_vcc 1
		.amdhsa_float_round_mode_32 0
		.amdhsa_float_round_mode_16_64 0
		.amdhsa_float_denorm_mode_32 3
		.amdhsa_float_denorm_mode_16_64 3
		.amdhsa_dx10_clamp 1
		.amdhsa_ieee_mode 1
		.amdhsa_fp16_overflow 0
		.amdhsa_workgroup_processor_mode 1
		.amdhsa_memory_ordered 1
		.amdhsa_forward_progress 0
		.amdhsa_shared_vgpr_count 0
		.amdhsa_exception_fp_ieee_invalid_op 0
		.amdhsa_exception_fp_denorm_src 0
		.amdhsa_exception_fp_ieee_div_zero 0
		.amdhsa_exception_fp_ieee_overflow 0
		.amdhsa_exception_fp_ieee_underflow 0
		.amdhsa_exception_fp_ieee_inexact 0
		.amdhsa_exception_int_div_zero 0
	.end_amdhsa_kernel
	.section	.text._ZN9rocsparseL18bsrxmvn_4x4_kernelILj128ELj16E21rocsparse_complex_numIdElidS2_S2_EEvT3_20rocsparse_direction_NS_24const_host_device_scalarIT1_EES3_PKS3_PKT2_SC_S9_PKT4_PKT5_S7_PT6_21rocsparse_index_base_b,"axG",@progbits,_ZN9rocsparseL18bsrxmvn_4x4_kernelILj128ELj16E21rocsparse_complex_numIdElidS2_S2_EEvT3_20rocsparse_direction_NS_24const_host_device_scalarIT1_EES3_PKS3_PKT2_SC_S9_PKT4_PKT5_S7_PT6_21rocsparse_index_base_b,comdat
.Lfunc_end142:
	.size	_ZN9rocsparseL18bsrxmvn_4x4_kernelILj128ELj16E21rocsparse_complex_numIdElidS2_S2_EEvT3_20rocsparse_direction_NS_24const_host_device_scalarIT1_EES3_PKS3_PKT2_SC_S9_PKT4_PKT5_S7_PT6_21rocsparse_index_base_b, .Lfunc_end142-_ZN9rocsparseL18bsrxmvn_4x4_kernelILj128ELj16E21rocsparse_complex_numIdElidS2_S2_EEvT3_20rocsparse_direction_NS_24const_host_device_scalarIT1_EES3_PKS3_PKT2_SC_S9_PKT4_PKT5_S7_PT6_21rocsparse_index_base_b
                                        ; -- End function
	.section	.AMDGPU.csdata,"",@progbits
; Kernel info:
; codeLenInByte = 11116
; NumSgprs: 20
; NumVgprs: 119
; ScratchSize: 0
; MemoryBound: 0
; FloatMode: 240
; IeeeMode: 1
; LDSByteSize: 2048 bytes/workgroup (compile time only)
; SGPRBlocks: 2
; VGPRBlocks: 14
; NumSGPRsForWavesPerEU: 20
; NumVGPRsForWavesPerEU: 119
; Occupancy: 12
; WaveLimiterHint : 1
; COMPUTE_PGM_RSRC2:SCRATCH_EN: 0
; COMPUTE_PGM_RSRC2:USER_SGPR: 15
; COMPUTE_PGM_RSRC2:TRAP_HANDLER: 0
; COMPUTE_PGM_RSRC2:TGID_X_EN: 1
; COMPUTE_PGM_RSRC2:TGID_Y_EN: 0
; COMPUTE_PGM_RSRC2:TGID_Z_EN: 0
; COMPUTE_PGM_RSRC2:TIDIG_COMP_CNT: 2
	.section	.text._ZN9rocsparseL18bsrxmvn_4x4_kernelILj128ELj32E21rocsparse_complex_numIdElidS2_S2_EEvT3_20rocsparse_direction_NS_24const_host_device_scalarIT1_EES3_PKS3_PKT2_SC_S9_PKT4_PKT5_S7_PT6_21rocsparse_index_base_b,"axG",@progbits,_ZN9rocsparseL18bsrxmvn_4x4_kernelILj128ELj32E21rocsparse_complex_numIdElidS2_S2_EEvT3_20rocsparse_direction_NS_24const_host_device_scalarIT1_EES3_PKS3_PKT2_SC_S9_PKT4_PKT5_S7_PT6_21rocsparse_index_base_b,comdat
	.globl	_ZN9rocsparseL18bsrxmvn_4x4_kernelILj128ELj32E21rocsparse_complex_numIdElidS2_S2_EEvT3_20rocsparse_direction_NS_24const_host_device_scalarIT1_EES3_PKS3_PKT2_SC_S9_PKT4_PKT5_S7_PT6_21rocsparse_index_base_b ; -- Begin function _ZN9rocsparseL18bsrxmvn_4x4_kernelILj128ELj32E21rocsparse_complex_numIdElidS2_S2_EEvT3_20rocsparse_direction_NS_24const_host_device_scalarIT1_EES3_PKS3_PKT2_SC_S9_PKT4_PKT5_S7_PT6_21rocsparse_index_base_b
	.p2align	8
	.type	_ZN9rocsparseL18bsrxmvn_4x4_kernelILj128ELj32E21rocsparse_complex_numIdElidS2_S2_EEvT3_20rocsparse_direction_NS_24const_host_device_scalarIT1_EES3_PKS3_PKT2_SC_S9_PKT4_PKT5_S7_PT6_21rocsparse_index_base_b,@function
_ZN9rocsparseL18bsrxmvn_4x4_kernelILj128ELj32E21rocsparse_complex_numIdElidS2_S2_EEvT3_20rocsparse_direction_NS_24const_host_device_scalarIT1_EES3_PKS3_PKT2_SC_S9_PKT4_PKT5_S7_PT6_21rocsparse_index_base_b: ; @_ZN9rocsparseL18bsrxmvn_4x4_kernelILj128ELj32E21rocsparse_complex_numIdElidS2_S2_EEvT3_20rocsparse_direction_NS_24const_host_device_scalarIT1_EES3_PKS3_PKT2_SC_S9_PKT4_PKT5_S7_PT6_21rocsparse_index_base_b
; %bb.0:
	s_load_b64 s[12:13], s[2:3], 0x68
	s_load_b64 s[16:17], s[0:1], 0x4
	s_load_b128 s[8:11], s[2:3], 0x8
	v_bfe_u32 v2, v0, 10, 10
	s_mov_b64 s[0:1], src_shared_base
	s_load_b128 s[4:7], s[2:3], 0x50
	v_and_b32_e32 v1, 0x3ff, v0
	v_bfe_u32 v0, v0, 20, 10
	s_waitcnt lgkmcnt(0)
	s_bitcmp1_b32 s13, 0
	v_mul_u32_u24_e32 v2, s17, v2
	s_cselect_b32 s0, -1, 0
	v_mov_b32_e32 v23, s11
	s_and_b32 vcc_lo, s0, exec_lo
	s_cselect_b32 s13, s1, s9
	s_lshr_b32 s14, s16, 16
	v_dual_mov_b32 v4, s4 :: v_dual_mov_b32 v5, s5
	s_mul_i32 s14, s14, s17
	v_dual_mov_b32 v7, s13 :: v_dual_mov_b32 v22, s10
	v_mad_u32_u24 v2, s14, v1, v2
	s_xor_b32 s10, s0, -1
	s_delay_alu instid0(VALU_DEP_1) | instskip(SKIP_1) | instid1(VALU_DEP_2)
	v_add_lshl_u32 v0, v2, v0, 3
	v_dual_mov_b32 v2, s8 :: v_dual_mov_b32 v3, s9
	v_add_nc_u32_e32 v6, 0x400, v0
	ds_store_2addr_stride64_b64 v0, v[4:5], v[2:3] offset1:2
	v_cndmask_b32_e64 v6, s8, v6, s0
	flat_load_b64 v[20:21], v[6:7]
	s_cbranch_vccnz .LBB143_2
; %bb.1:
	v_dual_mov_b32 v2, s8 :: v_dual_mov_b32 v3, s9
	flat_load_b64 v[22:23], v[2:3] offset:8
.LBB143_2:
	s_and_b32 s8, s0, exec_lo
	s_cselect_b32 s1, s1, s5
	v_cndmask_b32_e64 v2, s4, v0, s0
	v_mov_b32_e32 v3, s1
	v_dual_mov_b32 v19, s7 :: v_dual_mov_b32 v18, s6
	s_and_not1_b32 vcc_lo, exec_lo, s10
	flat_load_b64 v[16:17], v[2:3]
	s_cbranch_vccnz .LBB143_4
; %bb.3:
	v_dual_mov_b32 v2, s4 :: v_dual_mov_b32 v3, s5
	flat_load_b64 v[18:19], v[2:3] offset:8
.LBB143_4:
	s_waitcnt vmcnt(1) lgkmcnt(1)
	v_cmp_eq_f64_e32 vcc_lo, 0, v[20:21]
	v_cmp_eq_f64_e64 s0, 0, v[22:23]
	s_delay_alu instid0(VALU_DEP_1)
	s_and_b32 s4, vcc_lo, s0
	s_mov_b32 s0, -1
	s_and_saveexec_b32 s1, s4
	s_cbranch_execz .LBB143_6
; %bb.5:
	s_waitcnt vmcnt(0) lgkmcnt(0)
	v_cmp_neq_f64_e32 vcc_lo, 1.0, v[16:17]
	v_cmp_neq_f64_e64 s0, 0, v[18:19]
	s_delay_alu instid0(VALU_DEP_1) | instskip(NEXT) | instid1(SALU_CYCLE_1)
	s_or_b32 s0, vcc_lo, s0
	s_or_not1_b32 s0, s0, exec_lo
.LBB143_6:
	s_or_b32 exec_lo, exec_lo, s1
	s_and_saveexec_b32 s1, s0
	s_cbranch_execz .LBB143_12
; %bb.7:
	s_clause 0x1
	s_load_b64 s[4:5], s[2:3], 0x20
	s_load_b64 s[0:1], s[2:3], 0x0
	v_lshrrev_b32_e32 v0, 5, v1
	s_delay_alu instid0(VALU_DEP_1)
	v_lshl_or_b32 v24, s15, 2, v0
	s_waitcnt lgkmcnt(0)
	s_cmp_lg_u64 s[4:5], 0
	s_cbranch_scc0 .LBB143_13
; %bb.8:
	s_load_b32 s6, s[2:3], 0x18
	s_mov_b32 s7, 0
                                        ; implicit-def: $vgpr0
	s_waitcnt lgkmcnt(0)
	v_cmp_gt_i32_e32 vcc_lo, s6, v24
	s_mov_b32 s6, 0
	s_and_saveexec_b32 s8, vcc_lo
	s_delay_alu instid0(SALU_CYCLE_1)
	s_xor_b32 s8, exec_lo, s8
	s_cbranch_execz .LBB143_10
; %bb.9:
	v_ashrrev_i32_e32 v25, 31, v24
	s_mov_b32 s6, exec_lo
	s_delay_alu instid0(VALU_DEP_1) | instskip(NEXT) | instid1(VALU_DEP_1)
	v_lshlrev_b64 v[2:3], 2, v[24:25]
	v_add_co_u32 v2, vcc_lo, s4, v2
	s_delay_alu instid0(VALU_DEP_2)
	v_add_co_ci_u32_e32 v3, vcc_lo, s5, v3, vcc_lo
	global_load_b32 v0, v[2:3], off
	s_waitcnt vmcnt(0)
	v_subrev_nc_u32_e32 v0, s12, v0
.LBB143_10:
	s_or_b32 exec_lo, exec_lo, s8
	s_delay_alu instid0(SALU_CYCLE_1)
	s_and_b32 vcc_lo, exec_lo, s7
	s_cbranch_vccz .LBB143_14
.LBB143_11:
	v_cmp_gt_i32_e32 vcc_lo, s0, v24
	s_and_not1_b32 s0, s6, exec_lo
	s_and_b32 s4, vcc_lo, exec_lo
	s_delay_alu instid0(SALU_CYCLE_1) | instskip(NEXT) | instid1(SALU_CYCLE_1)
	s_or_b32 s6, s0, s4
	s_and_b32 exec_lo, exec_lo, s6
	s_cbranch_execnz .LBB143_15
.LBB143_12:
	s_nop 0
	s_sendmsg sendmsg(MSG_DEALLOC_VGPRS)
	s_endpgm
.LBB143_13:
	s_mov_b32 s6, 0
                                        ; implicit-def: $vgpr0
	s_cbranch_execnz .LBB143_11
.LBB143_14:
	s_delay_alu instid0(VALU_DEP_1)
	v_mov_b32_e32 v24, v0
	s_and_b32 exec_lo, exec_lo, s6
	s_cbranch_execz .LBB143_12
.LBB143_15:
	s_load_b256 s[4:11], s[2:3], 0x28
	s_delay_alu instid0(VALU_DEP_1) | instskip(SKIP_1) | instid1(VALU_DEP_2)
	v_ashrrev_i32_e32 v25, 31, v24
	v_and_b32_e32 v55, 31, v1
	v_lshlrev_b64 v[2:3], 3, v[24:25]
	s_waitcnt lgkmcnt(0)
	s_delay_alu instid0(VALU_DEP_1) | instskip(NEXT) | instid1(VALU_DEP_2)
	v_add_co_u32 v4, vcc_lo, s4, v2
	v_add_co_ci_u32_e32 v5, vcc_lo, s5, v3, vcc_lo
	v_add_co_u32 v0, vcc_lo, s6, v2
	v_add_co_ci_u32_e32 v2, vcc_lo, s7, v3, vcc_lo
	s_delay_alu instid0(VALU_DEP_4)
	v_add_co_u32 v6, vcc_lo, v4, 8
	global_load_b64 v[47:48], v[4:5], off
	v_add_co_ci_u32_e32 v3, vcc_lo, 0, v5, vcc_lo
	s_cmp_eq_u64 s[6:7], 0
	s_load_b64 s[4:5], s[2:3], 0x48
	s_cselect_b32 vcc_lo, -1, 0
	s_cmp_eq_u32 s1, 1
	v_dual_cndmask_b32 v3, v2, v3 :: v_dual_cndmask_b32 v2, v0, v6
	global_load_b64 v[2:3], v[2:3], off
	s_waitcnt vmcnt(1)
	v_sub_co_u32 v0, vcc_lo, v47, s12
	v_subrev_co_ci_u32_e32 v1, vcc_lo, 0, v48, vcc_lo
	s_delay_alu instid0(VALU_DEP_2) | instskip(NEXT) | instid1(VALU_DEP_2)
	v_add_co_u32 v25, vcc_lo, v0, v55
	v_add_co_ci_u32_e32 v26, vcc_lo, 0, v1, vcc_lo
	s_delay_alu instid0(VALU_DEP_1) | instskip(SKIP_3) | instid1(VALU_DEP_3)
	v_lshlrev_b64 v[0:1], 7, v[25:26]
	s_waitcnt vmcnt(0)
	v_sub_co_u32 v27, vcc_lo, v2, s12
	v_subrev_co_ci_u32_e32 v28, vcc_lo, 0, v3, vcc_lo
	v_add_co_u32 v29, vcc_lo, s10, v0
	s_delay_alu instid0(VALU_DEP_2)
	v_cmp_lt_i64_e64 s0, v[25:26], v[27:28]
	v_add_co_ci_u32_e32 v30, vcc_lo, s11, v1, vcc_lo
	s_cbranch_scc1 .LBB143_27
; %bb.16:
	v_mov_b32_e32 v35, 0
	v_mov_b32_e32 v36, 0
	s_delay_alu instid0(VALU_DEP_2) | instskip(NEXT) | instid1(VALU_DEP_2)
	v_mov_b32_e32 v33, v35
	v_dual_mov_b32 v31, v35 :: v_dual_mov_b32 v32, v36
	v_dual_mov_b32 v42, v36 :: v_dual_mov_b32 v41, v35
	v_dual_mov_b32 v46, v36 :: v_dual_mov_b32 v45, v35
	v_dual_mov_b32 v44, v36 :: v_dual_mov_b32 v43, v35
	v_dual_mov_b32 v38, v36 :: v_dual_mov_b32 v37, v35
	v_dual_mov_b32 v40, v36 :: v_dual_mov_b32 v39, v35
	v_mov_b32_e32 v34, v36
	s_and_saveexec_b32 s6, s0
	s_cbranch_execz .LBB143_26
; %bb.17:
	v_or_b32_e32 v0, 32, v55
	v_not_b32_e32 v3, v47
	v_not_b32_e32 v2, v48
	v_mov_b32_e32 v52, v26
	s_mov_b32 s10, 0
	v_sub_co_u32 v0, s1, v0, s12
	s_delay_alu instid0(VALU_DEP_1) | instskip(SKIP_1) | instid1(VALU_DEP_3)
	v_sub_co_ci_u32_e64 v1, null, 0, 0, s1
	v_sub_co_u32 v4, s1, s12, v55
	v_add_co_u32 v0, vcc_lo, v0, v47
	s_delay_alu instid0(VALU_DEP_3) | instskip(SKIP_2) | instid1(VALU_DEP_2)
	v_add_co_ci_u32_e32 v1, vcc_lo, v1, v48, vcc_lo
	v_sub_co_ci_u32_e64 v5, null, 0, 0, s1
	s_mov_b32 s7, exec_lo
	v_cmp_gt_i64_e32 vcc_lo, v[0:1], v[27:28]
	v_mov_b32_e32 v51, v25
	v_dual_cndmask_b32 v1, v28, v1 :: v_dual_cndmask_b32 v0, v27, v0
	v_add_co_u32 v3, vcc_lo, v4, v3
	v_add_co_ci_u32_e32 v2, vcc_lo, v5, v2, vcc_lo
	s_delay_alu instid0(VALU_DEP_2) | instskip(NEXT) | instid1(VALU_DEP_2)
	v_add_co_u32 v0, vcc_lo, v3, v0
	v_add_co_ci_u32_e32 v1, vcc_lo, v2, v1, vcc_lo
	s_delay_alu instid0(VALU_DEP_2) | instskip(SKIP_3) | instid1(VALU_DEP_4)
	v_lshrrev_b32_e32 v2, 5, v0
	v_mov_b32_e32 v31, 0
	v_mov_b32_e32 v32, 0
	v_dual_mov_b32 v50, v30 :: v_dual_mov_b32 v49, v29
	v_add_nc_u32_e32 v2, 1, v2
	s_delay_alu instid0(VALU_DEP_3)
	v_mov_b32_e32 v34, v32
	v_mov_b32_e32 v40, v32
	;; [unrolled: 1-line block ×6, first 2 shown]
	v_dual_mov_b32 v36, v32 :: v_dual_mov_b32 v33, v31
	v_mov_b32_e32 v39, v31
	v_dual_mov_b32 v37, v31 :: v_dual_and_b32 v2, 3, v2
	v_mov_b32_e32 v45, v31
	v_mov_b32_e32 v43, v31
	;; [unrolled: 1-line block ×4, first 2 shown]
	v_cmpx_ne_u32_e32 0, v2
	s_cbranch_execz .LBB143_21
; %bb.18:
	v_lshlrev_b64 v[4:5], 2, v[25:26]
	v_dual_mov_b32 v35, 0 :: v_dual_lshlrev_b32 v2, 2, v2
	v_dual_mov_b32 v3, 0 :: v_dual_mov_b32 v36, 0
	v_dual_mov_b32 v52, v26 :: v_dual_mov_b32 v51, v25
	s_delay_alu instid0(VALU_DEP_4)
	v_add_co_u32 v4, vcc_lo, s8, v4
	v_add_co_ci_u32_e32 v5, vcc_lo, s9, v5, vcc_lo
	v_dual_mov_b32 v50, v30 :: v_dual_mov_b32 v49, v29
	v_dual_mov_b32 v42, v36 :: v_dual_mov_b32 v41, v35
	;; [unrolled: 1-line block ×8, first 2 shown]
.LBB143_19:                             ; =>This Inner Loop Header: Depth=1
	global_load_b32 v14, v[4:5], off
	s_clause 0x7
	global_load_b128 v[6:9], v[49:50], off offset:48
	global_load_b128 v[10:13], v[49:50], off offset:32
	global_load_b128 v[56:59], v[49:50], off offset:16
	global_load_b128 v[60:63], v[49:50], off
	global_load_b128 v[64:67], v[49:50], off offset:112
	global_load_b128 v[68:71], v[49:50], off offset:96
	;; [unrolled: 1-line block ×4, first 2 shown]
	v_add_co_u32 v4, s1, 0x80, v4
	s_delay_alu instid0(VALU_DEP_1) | instskip(SKIP_2) | instid1(VALU_DEP_1)
	v_add_co_ci_u32_e64 v5, s1, 0, v5, s1
	s_waitcnt vmcnt(8)
	v_subrev_nc_u32_e32 v14, s12, v14
	v_lshlrev_b32_e32 v14, 2, v14
	s_delay_alu instid0(VALU_DEP_1) | instskip(NEXT) | instid1(VALU_DEP_1)
	v_ashrrev_i32_e32 v15, 31, v14
	v_lshlrev_b64 v[14:15], 4, v[14:15]
	s_waitcnt lgkmcnt(0)
	s_delay_alu instid0(VALU_DEP_1) | instskip(NEXT) | instid1(VALU_DEP_2)
	v_add_co_u32 v14, vcc_lo, s4, v14
	v_add_co_ci_u32_e32 v15, vcc_lo, s5, v15, vcc_lo
	v_add_co_u32 v49, vcc_lo, 0x1000, v49
	v_add_co_ci_u32_e32 v50, vcc_lo, 0, v50, vcc_lo
	s_clause 0x3
	global_load_b128 v[80:83], v[14:15], off
	global_load_b128 v[84:87], v[14:15], off offset:16
	global_load_b128 v[88:91], v[14:15], off offset:32
	;; [unrolled: 1-line block ×3, first 2 shown]
	v_add_co_u32 v2, vcc_lo, v2, -4
	v_add_co_ci_u32_e32 v3, vcc_lo, -1, v3, vcc_lo
	v_add_co_u32 v51, vcc_lo, v51, 32
	v_add_co_ci_u32_e32 v52, vcc_lo, 0, v52, vcc_lo
	s_delay_alu instid0(VALU_DEP_3)
	v_cmp_eq_u64_e32 vcc_lo, 0, v[2:3]
	s_or_b32 s10, vcc_lo, s10
	s_waitcnt vmcnt(3)
	v_fma_f64 v[14:15], v[60:61], v[80:81], v[41:42]
	v_fma_f64 v[35:36], v[80:81], 0, v[35:36]
	v_fma_f64 v[41:42], v[10:11], v[80:81], v[43:44]
	v_fma_f64 v[43:44], v[80:81], 0, v[45:46]
	v_fma_f64 v[39:40], v[76:77], v[80:81], v[39:40]
	v_fma_f64 v[37:38], v[80:81], 0, v[37:38]
	v_fma_f64 v[31:32], v[68:69], v[80:81], v[31:32]
	v_fma_f64 v[33:34], v[80:81], 0, v[33:34]
	v_fma_f64 v[14:15], 0x80000000, v[82:83], v[14:15]
	v_fma_f64 v[35:36], v[60:61], v[82:83], v[35:36]
	v_fma_f64 v[41:42], 0x80000000, v[82:83], v[41:42]
	v_fma_f64 v[10:11], v[10:11], v[82:83], v[43:44]
	v_fma_f64 v[39:40], 0x80000000, v[82:83], v[39:40]
	v_fma_f64 v[37:38], v[76:77], v[82:83], v[37:38]
	v_fma_f64 v[31:32], 0x80000000, v[82:83], v[31:32]
	v_fma_f64 v[33:34], v[68:69], v[82:83], v[33:34]
	s_waitcnt vmcnt(2)
	v_fma_f64 v[14:15], v[62:63], v[84:85], v[14:15]
	v_fma_f64 v[35:36], v[84:85], 0, v[35:36]
	v_fma_f64 v[41:42], v[12:13], v[84:85], v[41:42]
	v_fma_f64 v[10:11], v[84:85], 0, v[10:11]
	v_fma_f64 v[39:40], v[78:79], v[84:85], v[39:40]
	v_fma_f64 v[37:38], v[84:85], 0, v[37:38]
	v_fma_f64 v[31:32], v[70:71], v[84:85], v[31:32]
	v_fma_f64 v[33:34], v[84:85], 0, v[33:34]
	v_fma_f64 v[14:15], 0x80000000, v[86:87], v[14:15]
	v_fma_f64 v[35:36], v[62:63], v[86:87], v[35:36]
	v_fma_f64 v[41:42], 0x80000000, v[86:87], v[41:42]
	v_fma_f64 v[10:11], v[12:13], v[86:87], v[10:11]
	v_fma_f64 v[12:13], 0x80000000, v[86:87], v[39:40]
	v_fma_f64 v[37:38], v[78:79], v[86:87], v[37:38]
	v_fma_f64 v[31:32], 0x80000000, v[86:87], v[31:32]
	v_fma_f64 v[33:34], v[70:71], v[86:87], v[33:34]
	;; [unrolled: 17-line block ×4, first 2 shown]
	s_and_not1_b32 exec_lo, exec_lo, s10
	s_cbranch_execnz .LBB143_19
; %bb.20:
	s_or_b32 exec_lo, exec_lo, s10
.LBB143_21:
	s_delay_alu instid0(SALU_CYCLE_1) | instskip(NEXT) | instid1(SALU_CYCLE_1)
	s_or_b32 exec_lo, exec_lo, s7
	s_mov_b32 s7, exec_lo
	v_cmpx_lt_u64_e32 0x5f, v[0:1]
	s_cbranch_execz .LBB143_25
; %bb.22:
	v_lshlrev_b64 v[0:1], 2, v[51:52]
	s_mov_b32 s10, 0
	s_delay_alu instid0(VALU_DEP_1) | instskip(NEXT) | instid1(VALU_DEP_2)
	v_add_co_u32 v0, vcc_lo, v0, s8
	v_add_co_ci_u32_e32 v1, vcc_lo, s9, v1, vcc_lo
	s_delay_alu instid0(VALU_DEP_2) | instskip(NEXT) | instid1(VALU_DEP_2)
	v_add_co_u32 v53, vcc_lo, 0x100, v0
	v_add_co_ci_u32_e32 v54, vcc_lo, 0, v1, vcc_lo
.LBB143_23:                             ; =>This Inner Loop Header: Depth=1
	s_clause 0x1
	global_load_b32 v56, v[53:54], off offset:-256
	global_load_b32 v104, v[53:54], off offset:-128
	s_clause 0x3
	global_load_b128 v[4:7], v[49:50], off offset:32
	global_load_b128 v[12:15], v[49:50], off
	global_load_b128 v[0:3], v[49:50], off offset:96
	global_load_b128 v[8:11], v[49:50], off offset:64
	s_clause 0x1
	global_load_b32 v118, v[53:54], off
	global_load_b32 v119, v[53:54], off offset:128
	s_waitcnt vmcnt(7)
	v_subrev_nc_u32_e32 v56, s12, v56
	s_waitcnt vmcnt(6)
	v_subrev_nc_u32_e32 v104, s12, v104
	s_delay_alu instid0(VALU_DEP_2) | instskip(NEXT) | instid1(VALU_DEP_2)
	v_lshlrev_b32_e32 v56, 2, v56
	v_lshlrev_b32_e32 v104, 2, v104
	s_delay_alu instid0(VALU_DEP_2) | instskip(NEXT) | instid1(VALU_DEP_2)
	v_ashrrev_i32_e32 v57, 31, v56
	v_ashrrev_i32_e32 v105, 31, v104
	s_delay_alu instid0(VALU_DEP_2) | instskip(NEXT) | instid1(VALU_DEP_2)
	v_lshlrev_b64 v[56:57], 4, v[56:57]
	v_lshlrev_b64 v[104:105], 4, v[104:105]
	s_waitcnt lgkmcnt(0)
	s_delay_alu instid0(VALU_DEP_2) | instskip(NEXT) | instid1(VALU_DEP_3)
	v_add_co_u32 v84, vcc_lo, s4, v56
	v_add_co_ci_u32_e32 v85, vcc_lo, s5, v57, vcc_lo
	v_add_co_u32 v108, vcc_lo, v49, 0x2000
	v_add_co_ci_u32_e32 v109, vcc_lo, 0, v50, vcc_lo
	s_clause 0x1
	global_load_b128 v[56:59], v[84:85], off
	global_load_b128 v[60:63], v[84:85], off offset:16
	s_clause 0x3
	global_load_b128 v[64:67], v[49:50], off offset:48
	global_load_b128 v[68:71], v[49:50], off offset:16
	;; [unrolled: 1-line block ×4, first 2 shown]
	s_clause 0x1
	global_load_b128 v[80:83], v[84:85], off offset:32
	global_load_b128 v[84:87], v[84:85], off offset:48
	v_add_co_u32 v110, vcc_lo, 0x1000, v49
	v_add_co_ci_u32_e32 v111, vcc_lo, 0, v50, vcc_lo
	v_add_co_u32 v112, vcc_lo, s4, v104
	v_add_co_ci_u32_e32 v113, vcc_lo, s5, v105, vcc_lo
	s_clause 0x3
	global_load_b128 v[88:91], v[108:109], off offset:-4096
	global_load_b128 v[92:95], v[110:111], off offset:32
	global_load_b128 v[96:99], v[110:111], off offset:96
	;; [unrolled: 1-line block ×3, first 2 shown]
	v_add_co_u32 v116, vcc_lo, 0x2000, v49
	global_load_b128 v[104:107], v[112:113], off
	v_add_co_ci_u32_e32 v117, vcc_lo, 0, v50, vcc_lo
	s_waitcnt vmcnt(12)
	v_fma_f64 v[35:36], v[56:57], 0, v[35:36]
	v_fma_f64 v[45:46], v[56:57], 0, v[45:46]
	;; [unrolled: 1-line block ×16, first 2 shown]
	global_load_b128 v[31:34], v[112:113], off offset:16
	s_waitcnt vmcnt(12)
	v_fma_f64 v[12:13], v[60:61], 0, v[12:13]
	v_fma_f64 v[4:5], v[60:61], 0, v[4:5]
	;; [unrolled: 1-line block ×16, first 2 shown]
	s_clause 0x3
	global_load_b128 v[0:3], v[110:111], off offset:48
	global_load_b128 v[4:7], v[110:111], off offset:16
	;; [unrolled: 1-line block ×5, first 2 shown]
	s_waitcnt vmcnt(12)
	v_fma_f64 v[43:44], v[80:81], 0, v[43:44]
	v_fma_f64 v[45:46], v[80:81], 0, v[45:46]
	;; [unrolled: 1-line block ×16, first 2 shown]
	global_load_b128 v[39:42], v[112:113], off offset:48
	s_waitcnt vmcnt(12)
	v_fma_f64 v[72:73], v[84:85], 0, v[43:44]
	v_fma_f64 v[76:77], v[84:85], 0, v[45:46]
	;; [unrolled: 1-line block ×8, first 2 shown]
	s_clause 0x3
	global_load_b128 v[43:46], v[108:109], off
	global_load_b128 v[56:59], v[116:117], off offset:32
	global_load_b128 v[60:63], v[116:117], off offset:96
	;; [unrolled: 1-line block ×3, first 2 shown]
	v_subrev_nc_u32_e32 v108, s12, v118
	s_delay_alu instid0(VALU_DEP_1) | instskip(NEXT) | instid1(VALU_DEP_1)
	v_lshlrev_b32_e32 v108, 2, v108
	v_ashrrev_i32_e32 v109, 31, v108
	v_fma_f64 v[70:71], v[70:71], v[86:87], v[72:73]
	v_fma_f64 v[72:73], v[66:67], v[86:87], v[76:77]
	;; [unrolled: 1-line block ×8, first 2 shown]
	v_lshlrev_b64 v[64:65], 4, v[108:109]
	s_delay_alu instid0(VALU_DEP_1) | instskip(NEXT) | instid1(VALU_DEP_2)
	v_add_co_u32 v108, vcc_lo, s4, v64
	v_add_co_ci_u32_e32 v109, vcc_lo, s5, v65, vcc_lo
	global_load_b128 v[64:67], v[108:109], off
	s_waitcnt vmcnt(12)
	v_fma_f64 v[70:71], v[104:105], 0, v[70:71]
	v_fma_f64 v[72:73], v[104:105], 0, v[72:73]
	;; [unrolled: 1-line block ×13, first 2 shown]
	global_load_b128 v[68:71], v[108:109], off offset:16
	v_fma_f64 v[78:79], v[100:101], v[106:107], v[78:79]
	v_fma_f64 v[86:87], 0x80000000, v[106:107], v[86:87]
	;; [unrolled: 1-line block ×3, first 2 shown]
	s_waitcnt vmcnt(12)
	v_fma_f64 v[88:89], v[31:32], 0, v[88:89]
	v_fma_f64 v[72:73], v[31:32], 0, v[72:73]
	;; [unrolled: 1-line block ×16, first 2 shown]
	s_clause 0x3
	global_load_b128 v[31:34], v[116:117], off offset:48
	global_load_b128 v[72:75], v[116:117], off offset:16
	;; [unrolled: 1-line block ×5, first 2 shown]
	v_subrev_nc_u32_e32 v116, s12, v119
	s_delay_alu instid0(VALU_DEP_1) | instskip(NEXT) | instid1(VALU_DEP_1)
	v_lshlrev_b32_e32 v116, 2, v116
	v_ashrrev_i32_e32 v117, 31, v116
	s_waitcnt vmcnt(12)
	v_fma_f64 v[96:97], v[35:36], 0, v[96:97]
	v_fma_f64 v[94:95], v[35:36], 0, v[94:95]
	;; [unrolled: 1-line block ×16, first 2 shown]
	global_load_b128 v[35:38], v[108:109], off offset:48
	s_waitcnt vmcnt(12)
	v_fma_f64 v[4:5], v[39:40], 0, v[4:5]
	v_fma_f64 v[0:1], v[39:40], 0, v[0:1]
	;; [unrolled: 1-line block ×8, first 2 shown]
	v_add_co_u32 v39, vcc_lo, 0x3000, v49
	v_add_co_ci_u32_e32 v40, vcc_lo, 0, v50, vcc_lo
	s_clause 0x3
	global_load_b128 v[92:95], v[39:40], off
	global_load_b128 v[96:99], v[39:40], off offset:32
	global_load_b128 v[100:103], v[39:40], off offset:96
	;; [unrolled: 1-line block ×3, first 2 shown]
	v_add_co_u32 v49, s1, 0x4000, v49
	s_delay_alu instid0(VALU_DEP_1)
	v_add_co_ci_u32_e64 v50, s1, 0, v50, s1
	v_fma_f64 v[4:5], v[6:7], v[41:42], v[4:5]
	v_fma_f64 v[6:7], v[2:3], v[41:42], v[0:1]
	;; [unrolled: 1-line block ×5, first 2 shown]
	v_lshlrev_b64 v[0:1], 4, v[116:117]
	v_fma_f64 v[12:13], v[14:15], v[41:42], v[12:13]
	v_fma_f64 v[14:15], 0x80000000, v[41:42], v[114:115]
	;; [unrolled: 1-line block ×3, first 2 shown]
	s_delay_alu instid0(VALU_DEP_4)
	v_add_co_u32 v114, vcc_lo, s4, v0
	v_add_co_ci_u32_e32 v115, vcc_lo, s5, v1, vcc_lo
	v_add_co_u32 v51, vcc_lo, 0x80, v51
	v_add_co_ci_u32_e32 v52, vcc_lo, 0, v52, vcc_lo
	global_load_b128 v[0:3], v[114:115], off
	v_add_co_u32 v53, vcc_lo, 0x200, v53
	v_add_co_ci_u32_e32 v54, vcc_lo, 0, v54, vcc_lo
	v_cmp_ge_i64_e32 vcc_lo, v[51:52], v[27:28]
	s_or_b32 s10, vcc_lo, s10
	s_waitcnt vmcnt(12)
	v_fma_f64 v[4:5], v[64:65], 0, v[4:5]
	v_fma_f64 v[6:7], v[64:65], 0, v[6:7]
	;; [unrolled: 1-line block ×10, first 2 shown]
	global_load_b128 v[4:7], v[114:115], off offset:16
	v_fma_f64 v[10:11], 0x80000000, v[66:67], v[10:11]
	v_fma_f64 v[41:42], 0x80000000, v[66:67], v[41:42]
	;; [unrolled: 1-line block ×6, first 2 shown]
	s_waitcnt vmcnt(12)
	v_fma_f64 v[43:44], v[68:69], 0, v[43:44]
	v_fma_f64 v[56:57], v[68:69], 0, v[56:57]
	;; [unrolled: 1-line block ×16, first 2 shown]
	s_clause 0x3
	global_load_b128 v[8:11], v[39:40], off offset:48
	global_load_b128 v[12:15], v[39:40], off offset:112
	;; [unrolled: 1-line block ×5, first 2 shown]
	s_waitcnt vmcnt(12)
	v_fma_f64 v[45:46], v[88:89], 0, v[45:46]
	v_fma_f64 v[39:40], v[72:73], v[88:89], v[64:65]
	;; [unrolled: 1-line block ×16, first 2 shown]
	global_load_b128 v[64:67], v[114:115], off offset:48
	s_waitcnt vmcnt(12)
	v_fma_f64 v[45:46], v[35:36], 0, v[45:46]
	v_fma_f64 v[39:40], v[74:75], v[35:36], v[39:40]
	v_fma_f64 v[72:73], v[33:34], v[35:36], v[72:73]
	v_fma_f64 v[31:32], v[35:36], 0, v[31:32]
	v_fma_f64 v[68:69], v[86:87], v[35:36], v[68:69]
	v_fma_f64 v[76:77], v[35:36], 0, v[80:81]
	v_fma_f64 v[80:81], v[78:79], v[35:36], v[82:83]
	v_fma_f64 v[35:36], v[35:36], 0, v[70:71]
	v_fma_f64 v[45:46], v[74:75], v[37:38], v[45:46]
	v_fma_f64 v[39:40], 0x80000000, v[37:38], v[39:40]
	v_fma_f64 v[70:71], 0x80000000, v[37:38], v[72:73]
	v_fma_f64 v[31:32], v[33:34], v[37:38], v[31:32]
	v_fma_f64 v[33:34], 0x80000000, v[37:38], v[68:69]
	v_fma_f64 v[68:69], v[86:87], v[37:38], v[76:77]
	v_fma_f64 v[72:73], 0x80000000, v[37:38], v[80:81]
	v_fma_f64 v[35:36], v[78:79], v[37:38], v[35:36]
	s_waitcnt vmcnt(7)
	v_fma_f64 v[37:38], v[92:93], v[0:1], v[39:40]
	v_fma_f64 v[39:40], v[0:1], 0, v[45:46]
	v_fma_f64 v[45:46], v[96:97], v[0:1], v[70:71]
	v_fma_f64 v[31:32], v[0:1], 0, v[31:32]
	v_fma_f64 v[33:34], v[104:105], v[0:1], v[33:34]
	v_fma_f64 v[68:69], v[0:1], 0, v[68:69]
	v_fma_f64 v[70:71], v[100:101], v[0:1], v[72:73]
	v_fma_f64 v[0:1], v[0:1], 0, v[35:36]
	v_fma_f64 v[35:36], 0x80000000, v[2:3], v[37:38]
	v_fma_f64 v[37:38], v[92:93], v[2:3], v[39:40]
	v_fma_f64 v[39:40], 0x80000000, v[2:3], v[45:46]
	v_fma_f64 v[31:32], v[96:97], v[2:3], v[31:32]
	v_fma_f64 v[33:34], 0x80000000, v[2:3], v[33:34]
	v_fma_f64 v[45:46], v[104:105], v[2:3], v[68:69]
	v_fma_f64 v[68:69], 0x80000000, v[2:3], v[70:71]
	v_fma_f64 v[0:1], v[100:101], v[2:3], v[0:1]
	;; [unrolled: 17-line block ×5, first 2 shown]
	s_and_not1_b32 exec_lo, exec_lo, s10
	s_cbranch_execnz .LBB143_23
; %bb.24:
	s_or_b32 exec_lo, exec_lo, s10
.LBB143_25:
	s_delay_alu instid0(SALU_CYCLE_1)
	s_or_b32 exec_lo, exec_lo, s7
.LBB143_26:
	s_delay_alu instid0(SALU_CYCLE_1)
	s_or_b32 exec_lo, exec_lo, s6
	s_cbranch_execz .LBB143_28
	s_branch .LBB143_39
.LBB143_27:
                                        ; implicit-def: $vgpr35_vgpr36
                                        ; implicit-def: $vgpr41_vgpr42
                                        ; implicit-def: $vgpr45_vgpr46
                                        ; implicit-def: $vgpr43_vgpr44
                                        ; implicit-def: $vgpr37_vgpr38
                                        ; implicit-def: $vgpr39_vgpr40
                                        ; implicit-def: $vgpr33_vgpr34
                                        ; implicit-def: $vgpr31_vgpr32
.LBB143_28:
	v_mov_b32_e32 v35, 0
	v_mov_b32_e32 v36, 0
	s_delay_alu instid0(VALU_DEP_2) | instskip(NEXT) | instid1(VALU_DEP_2)
	v_mov_b32_e32 v33, v35
	v_dual_mov_b32 v31, v35 :: v_dual_mov_b32 v32, v36
	v_dual_mov_b32 v42, v36 :: v_dual_mov_b32 v41, v35
	;; [unrolled: 1-line block ×6, first 2 shown]
	v_mov_b32_e32 v34, v36
	s_and_saveexec_b32 s1, s0
	s_cbranch_execz .LBB143_38
; %bb.29:
	v_or_b32_e32 v0, 32, v55
	v_not_b32_e32 v3, v47
	v_not_b32_e32 v2, v48
	s_mov_b32 s7, 0
	s_mov_b32 s6, exec_lo
	v_sub_co_u32 v0, s0, v0, s12
	s_delay_alu instid0(VALU_DEP_1) | instskip(SKIP_1) | instid1(VALU_DEP_3)
	v_sub_co_ci_u32_e64 v1, null, 0, 0, s0
	v_sub_co_u32 v4, s0, s12, v55
	v_add_co_u32 v0, vcc_lo, v0, v47
	s_delay_alu instid0(VALU_DEP_3) | instskip(SKIP_1) | instid1(VALU_DEP_2)
	v_add_co_ci_u32_e32 v1, vcc_lo, v1, v48, vcc_lo
	v_sub_co_ci_u32_e64 v5, null, 0, 0, s0
	v_cmp_gt_i64_e32 vcc_lo, v[0:1], v[27:28]
	v_dual_cndmask_b32 v1, v28, v1 :: v_dual_cndmask_b32 v0, v27, v0
	v_add_co_u32 v3, vcc_lo, v4, v3
	s_delay_alu instid0(VALU_DEP_4) | instskip(NEXT) | instid1(VALU_DEP_2)
	v_add_co_ci_u32_e32 v2, vcc_lo, v5, v2, vcc_lo
	v_add_co_u32 v0, vcc_lo, v3, v0
	s_delay_alu instid0(VALU_DEP_2) | instskip(NEXT) | instid1(VALU_DEP_2)
	v_add_co_ci_u32_e32 v1, vcc_lo, v2, v1, vcc_lo
	v_lshrrev_b32_e32 v2, 5, v0
	v_mov_b32_e32 v31, 0
	v_mov_b32_e32 v32, 0
	s_delay_alu instid0(VALU_DEP_3) | instskip(NEXT) | instid1(VALU_DEP_2)
	v_add_nc_u32_e32 v2, 1, v2
	v_mov_b32_e32 v38, v32
	v_mov_b32_e32 v44, v32
	;; [unrolled: 1-line block ×4, first 2 shown]
	v_dual_mov_b32 v36, v32 :: v_dual_mov_b32 v35, v31
	v_dual_mov_b32 v34, v32 :: v_dual_mov_b32 v33, v31
	;; [unrolled: 1-line block ×3, first 2 shown]
	v_dual_mov_b32 v37, v31 :: v_dual_and_b32 v2, 3, v2
	v_mov_b32_e32 v43, v31
	v_mov_b32_e32 v45, v31
	;; [unrolled: 1-line block ×3, first 2 shown]
	s_delay_alu instid0(VALU_DEP_4)
	v_cmpx_ne_u32_e32 0, v2
	s_cbranch_execz .LBB143_33
; %bb.30:
	v_lshlrev_b64 v[4:5], 2, v[25:26]
	v_dual_mov_b32 v35, 0 :: v_dual_lshlrev_b32 v2, 2, v2
	v_dual_mov_b32 v3, 0 :: v_dual_mov_b32 v36, 0
	s_delay_alu instid0(VALU_DEP_2) | instskip(NEXT) | instid1(VALU_DEP_4)
	v_mov_b32_e32 v33, v35
	v_add_co_u32 v4, vcc_lo, s8, v4
	v_add_co_ci_u32_e32 v5, vcc_lo, s9, v5, vcc_lo
	s_delay_alu instid0(VALU_DEP_4)
	v_mov_b32_e32 v34, v36
	v_dual_mov_b32 v42, v36 :: v_dual_mov_b32 v41, v35
	v_dual_mov_b32 v46, v36 :: v_dual_mov_b32 v45, v35
	;; [unrolled: 1-line block ×6, first 2 shown]
.LBB143_31:                             ; =>This Inner Loop Header: Depth=1
	global_load_b32 v14, v[4:5], off
	s_clause 0x1
	global_load_b128 v[6:9], v[29:30], off offset:16
	global_load_b128 v[10:13], v[29:30], off
	v_add_co_u32 v4, s0, 0x80, v4
	s_delay_alu instid0(VALU_DEP_1) | instskip(SKIP_2) | instid1(VALU_DEP_1)
	v_add_co_ci_u32_e64 v5, s0, 0, v5, s0
	s_waitcnt vmcnt(2)
	v_subrev_nc_u32_e32 v14, s12, v14
	v_lshlrev_b32_e32 v14, 2, v14
	s_delay_alu instid0(VALU_DEP_1) | instskip(NEXT) | instid1(VALU_DEP_1)
	v_ashrrev_i32_e32 v15, 31, v14
	v_lshlrev_b64 v[14:15], 4, v[14:15]
	s_waitcnt lgkmcnt(0)
	s_delay_alu instid0(VALU_DEP_1) | instskip(NEXT) | instid1(VALU_DEP_2)
	v_add_co_u32 v14, vcc_lo, s4, v14
	v_add_co_ci_u32_e32 v15, vcc_lo, s5, v15, vcc_lo
	s_clause 0x1
	global_load_b128 v[47:50], v[14:15], off
	global_load_b128 v[51:54], v[14:15], off offset:16
	s_clause 0x3
	global_load_b128 v[56:59], v[29:30], off offset:32
	global_load_b128 v[60:63], v[29:30], off offset:48
	;; [unrolled: 1-line block ×4, first 2 shown]
	s_clause 0x1
	global_load_b128 v[72:75], v[14:15], off offset:32
	global_load_b128 v[76:79], v[14:15], off offset:48
	s_clause 0x1
	global_load_b128 v[80:83], v[29:30], off offset:96
	global_load_b128 v[84:87], v[29:30], off offset:112
	v_add_co_u32 v29, vcc_lo, 0x1000, v29
	v_add_co_ci_u32_e32 v30, vcc_lo, 0, v30, vcc_lo
	v_add_co_u32 v2, vcc_lo, v2, -4
	v_add_co_ci_u32_e32 v3, vcc_lo, -1, v3, vcc_lo
	v_add_co_u32 v25, vcc_lo, v25, 32
	v_add_co_ci_u32_e32 v26, vcc_lo, 0, v26, vcc_lo
	s_delay_alu instid0(VALU_DEP_3)
	v_cmp_eq_u64_e32 vcc_lo, 0, v[2:3]
	s_or_b32 s7, vcc_lo, s7
	s_waitcnt vmcnt(9)
	v_fma_f64 v[14:15], v[10:11], v[47:48], v[41:42]
	v_fma_f64 v[35:36], v[47:48], 0, v[35:36]
	;; [unrolled: 1-line block ×16, first 2 shown]
	s_waitcnt vmcnt(7)
	v_fma_f64 v[14:15], v[56:57], v[51:52], v[14:15]
	v_fma_f64 v[10:11], v[51:52], 0, v[10:11]
	;; [unrolled: 1-line block ×4, first 2 shown]
	s_waitcnt vmcnt(6)
	v_fma_f64 v[35:36], v[60:61], v[51:52], v[39:40]
	v_fma_f64 v[6:7], v[51:52], 0, v[6:7]
	;; [unrolled: 1-line block ×12, first 2 shown]
	s_waitcnt vmcnt(3)
	v_fma_f64 v[14:15], v[68:69], v[72:73], v[14:15]
	v_fma_f64 v[10:11], v[72:73], 0, v[10:11]
	;; [unrolled: 1-line block ×16, first 2 shown]
	s_waitcnt vmcnt(1)
	v_fma_f64 v[14:15], v[80:81], v[76:77], v[14:15]
	v_fma_f64 v[10:11], v[76:77], 0, v[10:11]
	;; [unrolled: 1-line block ×4, first 2 shown]
	s_waitcnt vmcnt(0)
	v_fma_f64 v[37:38], v[84:85], v[76:77], v[35:36]
	v_fma_f64 v[6:7], v[76:77], 0, v[6:7]
	;; [unrolled: 1-line block ×12, first 2 shown]
	s_and_not1_b32 exec_lo, exec_lo, s7
	s_cbranch_execnz .LBB143_31
; %bb.32:
	s_or_b32 exec_lo, exec_lo, s7
.LBB143_33:
	s_delay_alu instid0(SALU_CYCLE_1) | instskip(NEXT) | instid1(SALU_CYCLE_1)
	s_or_b32 exec_lo, exec_lo, s6
	s_mov_b32 s6, exec_lo
	v_cmpx_lt_u64_e32 0x5f, v[0:1]
	s_cbranch_execz .LBB143_37
; %bb.34:
	v_lshlrev_b64 v[0:1], 2, v[25:26]
	s_mov_b32 s7, 0
	s_delay_alu instid0(VALU_DEP_1) | instskip(NEXT) | instid1(VALU_DEP_2)
	v_add_co_u32 v0, vcc_lo, v0, s8
	v_add_co_ci_u32_e32 v1, vcc_lo, s9, v1, vcc_lo
	s_delay_alu instid0(VALU_DEP_2) | instskip(NEXT) | instid1(VALU_DEP_2)
	v_add_co_u32 v0, vcc_lo, 0x100, v0
	v_add_co_ci_u32_e32 v1, vcc_lo, 0, v1, vcc_lo
.LBB143_35:                             ; =>This Inner Loop Header: Depth=1
	s_clause 0x1
	global_load_b32 v2, v[0:1], off offset:-256
	global_load_b32 v15, v[0:1], off offset:-128
	s_clause 0x1
	global_load_b128 v[3:6], v[29:30], off offset:16
	global_load_b128 v[7:10], v[29:30], off
	s_clause 0x1
	global_load_b32 v108, v[0:1], off
	global_load_b32 v109, v[0:1], off offset:128
	s_waitcnt vmcnt(5)
	v_subrev_nc_u32_e32 v2, s12, v2
	s_delay_alu instid0(VALU_DEP_1) | instskip(SKIP_2) | instid1(VALU_DEP_2)
	v_lshlrev_b32_e32 v11, 2, v2
	s_waitcnt vmcnt(4)
	v_subrev_nc_u32_e32 v2, s12, v15
	v_ashrrev_i32_e32 v12, 31, v11
	s_delay_alu instid0(VALU_DEP_2) | instskip(NEXT) | instid1(VALU_DEP_2)
	v_lshlrev_b32_e32 v96, 2, v2
	v_lshlrev_b64 v[11:12], 4, v[11:12]
	s_delay_alu instid0(VALU_DEP_2) | instskip(NEXT) | instid1(VALU_DEP_1)
	v_ashrrev_i32_e32 v97, 31, v96
	v_lshlrev_b64 v[96:97], 4, v[96:97]
	s_waitcnt lgkmcnt(0)
	s_delay_alu instid0(VALU_DEP_3) | instskip(NEXT) | instid1(VALU_DEP_4)
	v_add_co_u32 v80, vcc_lo, s4, v11
	v_add_co_ci_u32_e32 v81, vcc_lo, s5, v12, vcc_lo
	v_add_co_u32 v100, vcc_lo, v29, 0x2000
	global_load_b128 v[11:14], v[80:81], off
	s_clause 0x1
	global_load_b128 v[47:50], v[29:30], off offset:48
	global_load_b128 v[51:54], v[29:30], off offset:32
	global_load_b128 v[56:59], v[80:81], off offset:16
	s_clause 0x1
	global_load_b128 v[60:63], v[29:30], off offset:80
	global_load_b128 v[64:67], v[29:30], off offset:64
	global_load_b128 v[68:71], v[80:81], off offset:32
	;; [unrolled: 4-line block ×3, first 2 shown]
	v_add_co_ci_u32_e32 v101, vcc_lo, 0, v30, vcc_lo
	v_add_co_u32 v102, vcc_lo, 0x1000, v29
	v_add_co_ci_u32_e32 v103, vcc_lo, 0, v30, vcc_lo
	v_add_co_u32 v104, vcc_lo, s4, v96
	v_add_co_ci_u32_e32 v105, vcc_lo, s5, v97, vcc_lo
	s_clause 0x2
	global_load_b128 v[84:87], v[100:101], off offset:-4096
	global_load_b128 v[88:91], v[102:103], off offset:32
	global_load_b128 v[92:95], v[102:103], off offset:16
	v_add_co_u32 v106, vcc_lo, 0x2000, v29
	global_load_b128 v[96:99], v[104:105], off
	v_add_co_ci_u32_e32 v107, vcc_lo, 0, v30, vcc_lo
	s_waitcnt vmcnt(13)
	v_fma_f64 v[35:36], v[11:12], 0, v[35:36]
	v_fma_f64 v[45:46], v[11:12], 0, v[45:46]
	;; [unrolled: 1-line block ×16, first 2 shown]
	global_load_b128 v[2:5], v[102:103], off offset:48
	global_load_b128 v[6:9], v[104:105], off offset:16
	s_waitcnt vmcnt(12)
	v_fma_f64 v[12:13], v[56:57], 0, v[33:34]
	v_fma_f64 v[14:15], v[56:57], 0, v[35:36]
	v_fma_f64 v[33:34], v[51:52], v[56:57], v[41:42]
	v_fma_f64 v[35:36], v[53:54], v[56:57], v[43:44]
	v_fma_f64 v[39:40], v[47:48], v[56:57], v[39:40]
	v_fma_f64 v[37:38], v[56:57], 0, v[37:38]
	v_fma_f64 v[31:32], v[49:50], v[56:57], v[31:32]
	v_fma_f64 v[10:11], v[56:57], 0, v[10:11]
	v_fma_f64 v[43:44], v[51:52], v[58:59], v[12:13]
	v_fma_f64 v[14:15], v[53:54], v[58:59], v[14:15]
	v_fma_f64 v[45:46], 0x80000000, v[58:59], v[33:34]
	v_fma_f64 v[51:52], 0x80000000, v[58:59], v[35:36]
	v_fma_f64 v[53:54], 0x80000000, v[58:59], v[39:40]
	v_fma_f64 v[47:48], v[47:48], v[58:59], v[37:38]
	v_fma_f64 v[56:57], 0x80000000, v[58:59], v[31:32]
	v_fma_f64 v[49:50], v[49:50], v[58:59], v[10:11]
	s_clause 0x2
	global_load_b128 v[10:13], v[102:103], off offset:96
	global_load_b128 v[31:34], v[102:103], off offset:80
	;; [unrolled: 1-line block ×4, first 2 shown]
	s_waitcnt vmcnt(13)
	v_fma_f64 v[43:44], v[68:69], 0, v[43:44]
	v_fma_f64 v[14:15], v[68:69], 0, v[14:15]
	;; [unrolled: 1-line block ×16, first 2 shown]
	global_load_b128 v[43:46], v[102:103], off offset:112
	global_load_b128 v[47:50], v[104:105], off offset:48
	s_waitcnt vmcnt(12)
	v_fma_f64 v[66:67], v[80:81], 0, v[58:59]
	v_fma_f64 v[14:15], v[80:81], 0, v[14:15]
	;; [unrolled: 1-line block ×8, first 2 shown]
	s_clause 0x2
	global_load_b128 v[51:54], v[100:101], off
	global_load_b128 v[56:59], v[106:107], off offset:32
	global_load_b128 v[60:63], v[106:107], off offset:16
	v_subrev_nc_u32_e32 v100, s12, v108
	s_delay_alu instid0(VALU_DEP_1) | instskip(NEXT) | instid1(VALU_DEP_1)
	v_lshlrev_b32_e32 v100, 2, v100
	v_ashrrev_i32_e32 v101, 31, v100
	v_fma_f64 v[76:77], v[76:77], v[82:83], v[66:67]
	v_fma_f64 v[14:15], v[78:79], v[82:83], v[14:15]
	;; [unrolled: 1-line block ×8, first 2 shown]
	v_lshlrev_b64 v[64:65], 4, v[100:101]
	s_delay_alu instid0(VALU_DEP_1) | instskip(NEXT) | instid1(VALU_DEP_2)
	v_add_co_u32 v100, vcc_lo, s4, v64
	v_add_co_ci_u32_e32 v101, vcc_lo, s5, v65, vcc_lo
	global_load_b128 v[64:67], v[100:101], off
	s_waitcnt vmcnt(12)
	v_fma_f64 v[76:77], v[96:97], 0, v[76:77]
	v_fma_f64 v[14:15], v[96:97], 0, v[14:15]
	;; [unrolled: 1-line block ×8, first 2 shown]
	v_subrev_nc_u32_e32 v102, s12, v109
	s_delay_alu instid0(VALU_DEP_1) | instskip(NEXT) | instid1(VALU_DEP_1)
	v_lshlrev_b32_e32 v102, 2, v102
	v_ashrrev_i32_e32 v103, 31, v102
	v_fma_f64 v[76:77], v[84:85], v[98:99], v[76:77]
	v_fma_f64 v[14:15], v[86:87], v[98:99], v[14:15]
	;; [unrolled: 1-line block ×8, first 2 shown]
	global_load_b128 v[68:71], v[106:107], off offset:48
	global_load_b128 v[72:75], v[100:101], off offset:16
	s_waitcnt vmcnt(12)
	v_fma_f64 v[76:77], v[6:7], 0, v[76:77]
	v_fma_f64 v[14:15], v[6:7], 0, v[14:15]
	;; [unrolled: 1-line block ×16, first 2 shown]
	s_clause 0x2
	global_load_b128 v[2:5], v[106:107], off offset:96
	global_load_b128 v[6:9], v[106:107], off offset:80
	;; [unrolled: 1-line block ×4, first 2 shown]
	s_waitcnt vmcnt(12)
	v_fma_f64 v[88:89], v[39:40], 0, v[88:89]
	v_fma_f64 v[14:15], v[39:40], 0, v[14:15]
	;; [unrolled: 1-line block ×16, first 2 shown]
	global_load_b128 v[31:34], v[106:107], off offset:112
	global_load_b128 v[35:38], v[100:101], off offset:48
	v_add_co_u32 v100, vcc_lo, 0x3000, v29
	v_add_co_ci_u32_e32 v101, vcc_lo, 0, v30, vcc_lo
	v_add_co_u32 v29, s0, 0x4000, v29
	s_delay_alu instid0(VALU_DEP_1)
	v_add_co_ci_u32_e64 v30, s0, 0, v30, s0
	s_waitcnt vmcnt(12)
	v_fma_f64 v[88:89], v[47:48], 0, v[88:89]
	v_fma_f64 v[14:15], v[47:48], 0, v[14:15]
	;; [unrolled: 1-line block ×8, first 2 shown]
	s_clause 0x1
	global_load_b128 v[39:42], v[100:101], off
	global_load_b128 v[84:87], v[100:101], off offset:16
	v_fma_f64 v[88:89], v[10:11], v[49:50], v[88:89]
	v_fma_f64 v[14:15], v[12:13], v[49:50], v[14:15]
	;; [unrolled: 1-line block ×8, first 2 shown]
	v_lshlrev_b64 v[10:11], 4, v[102:103]
	s_delay_alu instid0(VALU_DEP_1) | instskip(NEXT) | instid1(VALU_DEP_2)
	v_add_co_u32 v98, vcc_lo, s4, v10
	v_add_co_ci_u32_e32 v99, vcc_lo, s5, v11, vcc_lo
	v_add_co_u32 v25, vcc_lo, 0x80, v25
	v_add_co_ci_u32_e32 v26, vcc_lo, 0, v26, vcc_lo
	global_load_b128 v[10:13], v[98:99], off
	v_add_co_u32 v0, vcc_lo, 0x200, v0
	v_add_co_ci_u32_e32 v1, vcc_lo, 0, v1, vcc_lo
	v_cmp_ge_i64_e32 vcc_lo, v[25:26], v[27:28]
	s_or_b32 s7, vcc_lo, s7
	s_waitcnt vmcnt(11)
	v_fma_f64 v[49:50], v[64:65], 0, v[88:89]
	v_fma_f64 v[14:15], v[64:65], 0, v[14:15]
	v_fma_f64 v[47:48], v[51:52], v[64:65], v[90:91]
	v_fma_f64 v[88:89], v[53:54], v[64:65], v[92:93]
	v_fma_f64 v[90:91], v[60:61], v[64:65], v[96:97]
	v_fma_f64 v[43:44], v[64:65], 0, v[43:44]
	v_fma_f64 v[92:93], v[62:63], v[64:65], v[94:95]
	v_fma_f64 v[45:46], v[64:65], 0, v[45:46]
	v_fma_f64 v[94:95], v[51:52], v[66:67], v[49:50]
	v_fma_f64 v[14:15], v[53:54], v[66:67], v[14:15]
	v_fma_f64 v[64:65], 0x80000000, v[66:67], v[47:48]
	v_fma_f64 v[88:89], 0x80000000, v[66:67], v[88:89]
	v_fma_f64 v[90:91], 0x80000000, v[66:67], v[90:91]
	v_fma_f64 v[60:61], v[60:61], v[66:67], v[43:44]
	v_fma_f64 v[92:93], 0x80000000, v[66:67], v[92:93]
	v_fma_f64 v[62:63], v[62:63], v[66:67], v[45:46]
	s_clause 0x1
	global_load_b128 v[43:46], v[100:101], off offset:32
	global_load_b128 v[47:50], v[100:101], off offset:48
	global_load_b128 v[51:54], v[98:99], off offset:16
	s_waitcnt vmcnt(12)
	v_fma_f64 v[66:67], v[72:73], 0, v[94:95]
	v_fma_f64 v[14:15], v[72:73], 0, v[14:15]
	v_fma_f64 v[64:65], v[56:57], v[72:73], v[64:65]
	v_fma_f64 v[88:89], v[58:59], v[72:73], v[88:89]
	v_fma_f64 v[90:91], v[68:69], v[72:73], v[90:91]
	v_fma_f64 v[60:61], v[72:73], 0, v[60:61]
	v_fma_f64 v[92:93], v[70:71], v[72:73], v[92:93]
	v_fma_f64 v[62:63], v[72:73], 0, v[62:63]
	v_fma_f64 v[94:95], v[56:57], v[74:75], v[66:67]
	v_fma_f64 v[14:15], v[58:59], v[74:75], v[14:15]
	v_fma_f64 v[72:73], 0x80000000, v[74:75], v[64:65]
	v_fma_f64 v[88:89], 0x80000000, v[74:75], v[88:89]
	v_fma_f64 v[90:91], 0x80000000, v[74:75], v[90:91]
	v_fma_f64 v[68:69], v[68:69], v[74:75], v[60:61]
	v_fma_f64 v[92:93], 0x80000000, v[74:75], v[92:93]
	v_fma_f64 v[70:71], v[70:71], v[74:75], v[62:63]
	s_clause 0x1
	global_load_b128 v[56:59], v[100:101], off offset:80
	global_load_b128 v[60:63], v[100:101], off offset:64
	global_load_b128 v[64:67], v[98:99], off offset:32
	;; [unrolled: 21-line block ×3, first 2 shown]
	s_waitcnt vmcnt(12)
	v_fma_f64 v[76:77], v[35:36], 0, v[76:77]
	v_fma_f64 v[14:15], v[35:36], 0, v[14:15]
	v_fma_f64 v[80:81], v[2:3], v[35:36], v[80:81]
	v_fma_f64 v[88:89], v[4:5], v[35:36], v[88:89]
	v_fma_f64 v[78:79], v[31:32], v[35:36], v[78:79]
	v_fma_f64 v[90:91], v[35:36], 0, v[90:91]
	v_fma_f64 v[92:93], v[33:34], v[35:36], v[92:93]
	v_fma_f64 v[35:36], v[35:36], 0, v[82:83]
	v_fma_f64 v[2:3], v[2:3], v[37:38], v[76:77]
	v_fma_f64 v[4:5], v[4:5], v[37:38], v[14:15]
	v_fma_f64 v[80:81], 0x80000000, v[37:38], v[80:81]
	v_fma_f64 v[76:77], 0x80000000, v[37:38], v[88:89]
	v_fma_f64 v[14:15], 0x80000000, v[37:38], v[78:79]
	v_fma_f64 v[31:32], v[31:32], v[37:38], v[90:91]
	v_fma_f64 v[78:79], 0x80000000, v[37:38], v[92:93]
	v_fma_f64 v[33:34], v[33:34], v[37:38], v[35:36]
	s_waitcnt vmcnt(9)
	v_fma_f64 v[2:3], v[10:11], 0, v[2:3]
	v_fma_f64 v[4:5], v[10:11], 0, v[4:5]
	v_fma_f64 v[35:36], v[39:40], v[10:11], v[80:81]
	v_fma_f64 v[37:38], v[41:42], v[10:11], v[76:77]
	v_fma_f64 v[14:15], v[84:85], v[10:11], v[14:15]
	v_fma_f64 v[31:32], v[10:11], 0, v[31:32]
	v_fma_f64 v[76:77], v[86:87], v[10:11], v[78:79]
	v_fma_f64 v[10:11], v[10:11], 0, v[33:34]
	v_fma_f64 v[2:3], v[39:40], v[12:13], v[2:3]
	v_fma_f64 v[4:5], v[41:42], v[12:13], v[4:5]
	v_fma_f64 v[33:34], 0x80000000, v[12:13], v[35:36]
	v_fma_f64 v[35:36], 0x80000000, v[12:13], v[37:38]
	v_fma_f64 v[14:15], 0x80000000, v[12:13], v[14:15]
	v_fma_f64 v[31:32], v[84:85], v[12:13], v[31:32]
	v_fma_f64 v[37:38], 0x80000000, v[12:13], v[76:77]
	v_fma_f64 v[10:11], v[86:87], v[12:13], v[10:11]
	;; [unrolled: 17-line block ×5, first 2 shown]
	s_and_not1_b32 exec_lo, exec_lo, s7
	s_cbranch_execnz .LBB143_35
; %bb.36:
	s_or_b32 exec_lo, exec_lo, s7
.LBB143_37:
	s_delay_alu instid0(SALU_CYCLE_1)
	s_or_b32 exec_lo, exec_lo, s6
.LBB143_38:
	s_delay_alu instid0(SALU_CYCLE_1)
	s_or_b32 exec_lo, exec_lo, s1
.LBB143_39:
	v_mbcnt_lo_u32_b32 v47, -1, 0
	s_delay_alu instid0(VALU_DEP_1) | instskip(SKIP_1) | instid1(VALU_DEP_2)
	v_xor_b32_e32 v0, 16, v47
	v_xor_b32_e32 v25, 8, v47
	v_cmp_gt_i32_e32 vcc_lo, 32, v0
	v_cndmask_b32_e32 v0, v47, v0, vcc_lo
	s_delay_alu instid0(VALU_DEP_3) | instskip(NEXT) | instid1(VALU_DEP_2)
	v_cmp_gt_i32_e32 vcc_lo, 32, v25
	v_lshlrev_b32_e32 v15, 2, v0
	v_cndmask_b32_e32 v25, v47, v25, vcc_lo
	ds_bpermute_b32 v0, v15, v41
	ds_bpermute_b32 v1, v15, v42
	;; [unrolled: 1-line block ×16, first 2 shown]
	s_waitcnt lgkmcnt(0)
	v_add_f64 v[0:1], v[41:42], v[0:1]
	v_add_f64 v[2:3], v[35:36], v[2:3]
	v_add_f64 v[4:5], v[43:44], v[4:5]
	v_add_f64 v[6:7], v[45:46], v[6:7]
	v_add_f64 v[8:9], v[39:40], v[8:9]
	v_lshlrev_b32_e32 v40, 2, v25
	v_add_f64 v[10:11], v[37:38], v[10:11]
	v_add_f64 v[12:13], v[31:32], v[12:13]
	;; [unrolled: 1-line block ×3, first 2 shown]
	ds_bpermute_b32 v25, v40, v0
	ds_bpermute_b32 v26, v40, v1
	;; [unrolled: 1-line block ×16, first 2 shown]
	s_waitcnt lgkmcnt(14)
	v_add_f64 v[0:1], v[0:1], v[25:26]
	v_xor_b32_e32 v25, 4, v47
	s_waitcnt lgkmcnt(12)
	v_add_f64 v[2:3], v[2:3], v[27:28]
	s_waitcnt lgkmcnt(10)
	v_add_f64 v[4:5], v[4:5], v[29:30]
	;; [unrolled: 2-line block ×3, first 2 shown]
	v_cmp_gt_i32_e32 vcc_lo, 32, v25
	s_waitcnt lgkmcnt(6)
	v_add_f64 v[8:9], v[8:9], v[33:34]
	s_waitcnt lgkmcnt(4)
	v_add_f64 v[10:11], v[10:11], v[35:36]
	;; [unrolled: 2-line block ×3, first 2 shown]
	v_cndmask_b32_e32 v25, v47, v25, vcc_lo
	s_waitcnt lgkmcnt(0)
	v_add_f64 v[14:15], v[14:15], v[39:40]
	s_delay_alu instid0(VALU_DEP_2)
	v_lshlrev_b32_e32 v40, 2, v25
	ds_bpermute_b32 v25, v40, v0
	ds_bpermute_b32 v26, v40, v1
	;; [unrolled: 1-line block ×16, first 2 shown]
	s_waitcnt lgkmcnt(14)
	v_add_f64 v[0:1], v[0:1], v[25:26]
	s_waitcnt lgkmcnt(12)
	v_add_f64 v[2:3], v[2:3], v[27:28]
	;; [unrolled: 2-line block ×8, first 2 shown]
	v_xor_b32_e32 v14, 2, v47
	s_delay_alu instid0(VALU_DEP_1) | instskip(SKIP_1) | instid1(VALU_DEP_1)
	v_cmp_gt_i32_e32 vcc_lo, 32, v14
	v_cndmask_b32_e32 v14, v47, v14, vcc_lo
	v_lshlrev_b32_e32 v40, 2, v14
	ds_bpermute_b32 v14, v40, v0
	ds_bpermute_b32 v15, v40, v1
	;; [unrolled: 1-line block ×16, first 2 shown]
	s_waitcnt lgkmcnt(14)
	v_add_f64 v[0:1], v[0:1], v[14:15]
	s_waitcnt lgkmcnt(12)
	v_add_f64 v[27:28], v[2:3], v[27:28]
	;; [unrolled: 2-line block ×7, first 2 shown]
	v_xor_b32_e32 v12, 1, v47
	s_waitcnt lgkmcnt(0)
	v_add_f64 v[8:9], v[25:26], v[39:40]
	s_delay_alu instid0(VALU_DEP_2) | instskip(SKIP_2) | instid1(VALU_DEP_2)
	v_cmp_gt_i32_e32 vcc_lo, 32, v12
	v_cndmask_b32_e32 v12, v47, v12, vcc_lo
	v_cmp_eq_u32_e32 vcc_lo, 31, v55
	v_lshlrev_b32_e32 v34, 2, v12
	ds_bpermute_b32 v12, v34, v0
	ds_bpermute_b32 v13, v34, v1
	;; [unrolled: 1-line block ×16, first 2 shown]
	s_and_b32 exec_lo, exec_lo, vcc_lo
	s_cbranch_execz .LBB143_12
; %bb.40:
	s_waitcnt lgkmcnt(12)
	v_add_f64 v[27:28], v[27:28], v[39:40]
	s_waitcnt lgkmcnt(8)
	v_add_f64 v[14:15], v[14:15], v[37:38]
	;; [unrolled: 2-line block ×4, first 2 shown]
	v_add_f64 v[0:1], v[0:1], v[12:13]
	v_add_f64 v[2:3], v[2:3], v[25:26]
	;; [unrolled: 1-line block ×4, first 2 shown]
	v_cmp_eq_f64_e32 vcc_lo, 0, v[16:17]
	v_cmp_eq_f64_e64 s0, 0, v[18:19]
	s_load_b64 s[2:3], s[2:3], 0x60
	v_mul_f64 v[4:5], v[27:28], -v[22:23]
	v_mul_f64 v[6:7], v[20:21], v[27:28]
	v_mul_f64 v[27:28], v[14:15], -v[22:23]
	v_mul_f64 v[31:32], v[20:21], v[14:15]
	;; [unrolled: 2-line block ×4, first 2 shown]
	s_and_b32 s0, vcc_lo, s0
	v_fma_f64 v[12:13], v[20:21], v[0:1], v[4:5]
	v_fma_f64 v[14:15], v[22:23], v[0:1], v[6:7]
	;; [unrolled: 1-line block ×8, first 2 shown]
	v_lshlrev_b32_e32 v20, 2, v24
	s_and_saveexec_b32 s1, s0
	s_delay_alu instid0(SALU_CYCLE_1)
	s_xor_b32 s0, exec_lo, s1
	s_cbranch_execz .LBB143_42
; %bb.41:
	s_delay_alu instid0(VALU_DEP_1) | instskip(NEXT) | instid1(VALU_DEP_1)
	v_ashrrev_i32_e32 v21, 31, v20
                                        ; implicit-def: $vgpr18_vgpr19
	v_lshlrev_b64 v[16:17], 4, v[20:21]
                                        ; implicit-def: $vgpr20
	s_waitcnt lgkmcnt(0)
	s_delay_alu instid0(VALU_DEP_1) | instskip(NEXT) | instid1(VALU_DEP_2)
	v_add_co_u32 v16, vcc_lo, s2, v16
	v_add_co_ci_u32_e32 v17, vcc_lo, s3, v17, vcc_lo
	s_clause 0x3
	global_store_b128 v[16:17], v[12:15], off
	global_store_b128 v[16:17], v[8:11], off offset:16
	global_store_b128 v[16:17], v[4:7], off offset:32
	;; [unrolled: 1-line block ×3, first 2 shown]
                                        ; implicit-def: $vgpr16_vgpr17
                                        ; implicit-def: $vgpr12_vgpr13
                                        ; implicit-def: $vgpr8_vgpr9
                                        ; implicit-def: $vgpr4_vgpr5
                                        ; implicit-def: $vgpr0_vgpr1
.LBB143_42:
	s_and_not1_saveexec_b32 s0, s0
	s_cbranch_execz .LBB143_12
; %bb.43:
	v_ashrrev_i32_e32 v21, 31, v20
	s_delay_alu instid0(VALU_DEP_1) | instskip(SKIP_1) | instid1(VALU_DEP_1)
	v_lshlrev_b64 v[20:21], 4, v[20:21]
	s_waitcnt lgkmcnt(0)
	v_add_co_u32 v36, vcc_lo, s2, v20
	s_delay_alu instid0(VALU_DEP_2)
	v_add_co_ci_u32_e32 v37, vcc_lo, s3, v21, vcc_lo
	s_clause 0x3
	global_load_b128 v[20:23], v[36:37], off
	global_load_b128 v[24:27], v[36:37], off offset:16
	global_load_b128 v[28:31], v[36:37], off offset:32
	;; [unrolled: 1-line block ×3, first 2 shown]
	s_waitcnt vmcnt(3)
	v_fma_f64 v[12:13], v[16:17], v[20:21], v[12:13]
	v_fma_f64 v[14:15], v[18:19], v[20:21], v[14:15]
	s_waitcnt vmcnt(2)
	v_fma_f64 v[8:9], v[16:17], v[24:25], v[8:9]
	v_fma_f64 v[10:11], v[18:19], v[24:25], v[10:11]
	;; [unrolled: 3-line block ×4, first 2 shown]
	v_fma_f64 v[0:1], -v[18:19], v[22:23], v[12:13]
	v_fma_f64 v[2:3], v[16:17], v[22:23], v[14:15]
	v_fma_f64 v[4:5], -v[18:19], v[26:27], v[8:9]
	v_fma_f64 v[6:7], v[16:17], v[26:27], v[10:11]
	;; [unrolled: 2-line block ×4, first 2 shown]
	s_clause 0x3
	global_store_b128 v[36:37], v[0:3], off
	global_store_b128 v[36:37], v[4:7], off offset:16
	global_store_b128 v[36:37], v[8:11], off offset:32
	;; [unrolled: 1-line block ×3, first 2 shown]
	s_nop 0
	s_sendmsg sendmsg(MSG_DEALLOC_VGPRS)
	s_endpgm
	.section	.rodata,"a",@progbits
	.p2align	6, 0x0
	.amdhsa_kernel _ZN9rocsparseL18bsrxmvn_4x4_kernelILj128ELj32E21rocsparse_complex_numIdElidS2_S2_EEvT3_20rocsparse_direction_NS_24const_host_device_scalarIT1_EES3_PKS3_PKT2_SC_S9_PKT4_PKT5_S7_PT6_21rocsparse_index_base_b
		.amdhsa_group_segment_fixed_size 2048
		.amdhsa_private_segment_fixed_size 0
		.amdhsa_kernarg_size 112
		.amdhsa_user_sgpr_count 15
		.amdhsa_user_sgpr_dispatch_ptr 1
		.amdhsa_user_sgpr_queue_ptr 0
		.amdhsa_user_sgpr_kernarg_segment_ptr 1
		.amdhsa_user_sgpr_dispatch_id 0
		.amdhsa_user_sgpr_private_segment_size 0
		.amdhsa_wavefront_size32 1
		.amdhsa_uses_dynamic_stack 0
		.amdhsa_enable_private_segment 0
		.amdhsa_system_sgpr_workgroup_id_x 1
		.amdhsa_system_sgpr_workgroup_id_y 0
		.amdhsa_system_sgpr_workgroup_id_z 0
		.amdhsa_system_sgpr_workgroup_info 0
		.amdhsa_system_vgpr_workitem_id 2
		.amdhsa_next_free_vgpr 120
		.amdhsa_next_free_sgpr 18
		.amdhsa_reserve_vcc 1
		.amdhsa_float_round_mode_32 0
		.amdhsa_float_round_mode_16_64 0
		.amdhsa_float_denorm_mode_32 3
		.amdhsa_float_denorm_mode_16_64 3
		.amdhsa_dx10_clamp 1
		.amdhsa_ieee_mode 1
		.amdhsa_fp16_overflow 0
		.amdhsa_workgroup_processor_mode 1
		.amdhsa_memory_ordered 1
		.amdhsa_forward_progress 0
		.amdhsa_shared_vgpr_count 0
		.amdhsa_exception_fp_ieee_invalid_op 0
		.amdhsa_exception_fp_denorm_src 0
		.amdhsa_exception_fp_ieee_div_zero 0
		.amdhsa_exception_fp_ieee_overflow 0
		.amdhsa_exception_fp_ieee_underflow 0
		.amdhsa_exception_fp_ieee_inexact 0
		.amdhsa_exception_int_div_zero 0
	.end_amdhsa_kernel
	.section	.text._ZN9rocsparseL18bsrxmvn_4x4_kernelILj128ELj32E21rocsparse_complex_numIdElidS2_S2_EEvT3_20rocsparse_direction_NS_24const_host_device_scalarIT1_EES3_PKS3_PKT2_SC_S9_PKT4_PKT5_S7_PT6_21rocsparse_index_base_b,"axG",@progbits,_ZN9rocsparseL18bsrxmvn_4x4_kernelILj128ELj32E21rocsparse_complex_numIdElidS2_S2_EEvT3_20rocsparse_direction_NS_24const_host_device_scalarIT1_EES3_PKS3_PKT2_SC_S9_PKT4_PKT5_S7_PT6_21rocsparse_index_base_b,comdat
.Lfunc_end143:
	.size	_ZN9rocsparseL18bsrxmvn_4x4_kernelILj128ELj32E21rocsparse_complex_numIdElidS2_S2_EEvT3_20rocsparse_direction_NS_24const_host_device_scalarIT1_EES3_PKS3_PKT2_SC_S9_PKT4_PKT5_S7_PT6_21rocsparse_index_base_b, .Lfunc_end143-_ZN9rocsparseL18bsrxmvn_4x4_kernelILj128ELj32E21rocsparse_complex_numIdElidS2_S2_EEvT3_20rocsparse_direction_NS_24const_host_device_scalarIT1_EES3_PKS3_PKT2_SC_S9_PKT4_PKT5_S7_PT6_21rocsparse_index_base_b
                                        ; -- End function
	.section	.AMDGPU.csdata,"",@progbits
; Kernel info:
; codeLenInByte = 11444
; NumSgprs: 20
; NumVgprs: 120
; ScratchSize: 0
; MemoryBound: 0
; FloatMode: 240
; IeeeMode: 1
; LDSByteSize: 2048 bytes/workgroup (compile time only)
; SGPRBlocks: 2
; VGPRBlocks: 14
; NumSGPRsForWavesPerEU: 20
; NumVGPRsForWavesPerEU: 120
; Occupancy: 12
; WaveLimiterHint : 1
; COMPUTE_PGM_RSRC2:SCRATCH_EN: 0
; COMPUTE_PGM_RSRC2:USER_SGPR: 15
; COMPUTE_PGM_RSRC2:TRAP_HANDLER: 0
; COMPUTE_PGM_RSRC2:TGID_X_EN: 1
; COMPUTE_PGM_RSRC2:TGID_Y_EN: 0
; COMPUTE_PGM_RSRC2:TGID_Z_EN: 0
; COMPUTE_PGM_RSRC2:TIDIG_COMP_CNT: 2
	.section	.text._ZN9rocsparseL18bsrxmvn_4x4_kernelILj128ELj64E21rocsparse_complex_numIdElidS2_S2_EEvT3_20rocsparse_direction_NS_24const_host_device_scalarIT1_EES3_PKS3_PKT2_SC_S9_PKT4_PKT5_S7_PT6_21rocsparse_index_base_b,"axG",@progbits,_ZN9rocsparseL18bsrxmvn_4x4_kernelILj128ELj64E21rocsparse_complex_numIdElidS2_S2_EEvT3_20rocsparse_direction_NS_24const_host_device_scalarIT1_EES3_PKS3_PKT2_SC_S9_PKT4_PKT5_S7_PT6_21rocsparse_index_base_b,comdat
	.globl	_ZN9rocsparseL18bsrxmvn_4x4_kernelILj128ELj64E21rocsparse_complex_numIdElidS2_S2_EEvT3_20rocsparse_direction_NS_24const_host_device_scalarIT1_EES3_PKS3_PKT2_SC_S9_PKT4_PKT5_S7_PT6_21rocsparse_index_base_b ; -- Begin function _ZN9rocsparseL18bsrxmvn_4x4_kernelILj128ELj64E21rocsparse_complex_numIdElidS2_S2_EEvT3_20rocsparse_direction_NS_24const_host_device_scalarIT1_EES3_PKS3_PKT2_SC_S9_PKT4_PKT5_S7_PT6_21rocsparse_index_base_b
	.p2align	8
	.type	_ZN9rocsparseL18bsrxmvn_4x4_kernelILj128ELj64E21rocsparse_complex_numIdElidS2_S2_EEvT3_20rocsparse_direction_NS_24const_host_device_scalarIT1_EES3_PKS3_PKT2_SC_S9_PKT4_PKT5_S7_PT6_21rocsparse_index_base_b,@function
_ZN9rocsparseL18bsrxmvn_4x4_kernelILj128ELj64E21rocsparse_complex_numIdElidS2_S2_EEvT3_20rocsparse_direction_NS_24const_host_device_scalarIT1_EES3_PKS3_PKT2_SC_S9_PKT4_PKT5_S7_PT6_21rocsparse_index_base_b: ; @_ZN9rocsparseL18bsrxmvn_4x4_kernelILj128ELj64E21rocsparse_complex_numIdElidS2_S2_EEvT3_20rocsparse_direction_NS_24const_host_device_scalarIT1_EES3_PKS3_PKT2_SC_S9_PKT4_PKT5_S7_PT6_21rocsparse_index_base_b
; %bb.0:
	s_load_b64 s[12:13], s[2:3], 0x68
	s_load_b64 s[16:17], s[0:1], 0x4
	s_load_b128 s[8:11], s[2:3], 0x8
	v_bfe_u32 v2, v0, 10, 10
	s_mov_b64 s[0:1], src_shared_base
	s_load_b128 s[4:7], s[2:3], 0x50
	v_and_b32_e32 v1, 0x3ff, v0
	v_bfe_u32 v0, v0, 20, 10
	s_waitcnt lgkmcnt(0)
	s_bitcmp1_b32 s13, 0
	v_mul_u32_u24_e32 v2, s17, v2
	s_cselect_b32 s0, -1, 0
	v_mov_b32_e32 v23, s11
	s_and_b32 vcc_lo, s0, exec_lo
	s_cselect_b32 s13, s1, s9
	s_lshr_b32 s14, s16, 16
	v_dual_mov_b32 v4, s4 :: v_dual_mov_b32 v5, s5
	s_mul_i32 s14, s14, s17
	v_dual_mov_b32 v7, s13 :: v_dual_mov_b32 v22, s10
	v_mad_u32_u24 v2, s14, v1, v2
	s_xor_b32 s10, s0, -1
	s_delay_alu instid0(VALU_DEP_1) | instskip(SKIP_1) | instid1(VALU_DEP_2)
	v_add_lshl_u32 v0, v2, v0, 3
	v_dual_mov_b32 v2, s8 :: v_dual_mov_b32 v3, s9
	v_add_nc_u32_e32 v6, 0x400, v0
	ds_store_2addr_stride64_b64 v0, v[4:5], v[2:3] offset1:2
	v_cndmask_b32_e64 v6, s8, v6, s0
	flat_load_b64 v[20:21], v[6:7]
	s_cbranch_vccnz .LBB144_2
; %bb.1:
	v_dual_mov_b32 v2, s8 :: v_dual_mov_b32 v3, s9
	flat_load_b64 v[22:23], v[2:3] offset:8
.LBB144_2:
	s_and_b32 s8, s0, exec_lo
	s_cselect_b32 s1, s1, s5
	v_cndmask_b32_e64 v2, s4, v0, s0
	v_mov_b32_e32 v3, s1
	v_dual_mov_b32 v19, s7 :: v_dual_mov_b32 v18, s6
	s_and_not1_b32 vcc_lo, exec_lo, s10
	flat_load_b64 v[16:17], v[2:3]
	s_cbranch_vccnz .LBB144_4
; %bb.3:
	v_dual_mov_b32 v2, s4 :: v_dual_mov_b32 v3, s5
	flat_load_b64 v[18:19], v[2:3] offset:8
.LBB144_4:
	s_waitcnt vmcnt(1) lgkmcnt(1)
	v_cmp_eq_f64_e32 vcc_lo, 0, v[20:21]
	v_cmp_eq_f64_e64 s0, 0, v[22:23]
	s_delay_alu instid0(VALU_DEP_1)
	s_and_b32 s4, vcc_lo, s0
	s_mov_b32 s0, -1
	s_and_saveexec_b32 s1, s4
	s_cbranch_execz .LBB144_6
; %bb.5:
	s_waitcnt vmcnt(0) lgkmcnt(0)
	v_cmp_neq_f64_e32 vcc_lo, 1.0, v[16:17]
	v_cmp_neq_f64_e64 s0, 0, v[18:19]
	s_delay_alu instid0(VALU_DEP_1) | instskip(NEXT) | instid1(SALU_CYCLE_1)
	s_or_b32 s0, vcc_lo, s0
	s_or_not1_b32 s0, s0, exec_lo
.LBB144_6:
	s_or_b32 exec_lo, exec_lo, s1
	s_and_saveexec_b32 s1, s0
	s_cbranch_execz .LBB144_12
; %bb.7:
	s_clause 0x1
	s_load_b64 s[4:5], s[2:3], 0x20
	s_load_b64 s[0:1], s[2:3], 0x0
	v_lshrrev_b32_e32 v0, 6, v1
	s_delay_alu instid0(VALU_DEP_1)
	v_lshl_or_b32 v24, s15, 1, v0
	s_waitcnt lgkmcnt(0)
	s_cmp_lg_u64 s[4:5], 0
	s_cbranch_scc0 .LBB144_13
; %bb.8:
	s_load_b32 s6, s[2:3], 0x18
	s_mov_b32 s7, 0
                                        ; implicit-def: $vgpr0
	s_waitcnt lgkmcnt(0)
	v_cmp_gt_i32_e32 vcc_lo, s6, v24
	s_mov_b32 s6, 0
	s_and_saveexec_b32 s8, vcc_lo
	s_delay_alu instid0(SALU_CYCLE_1)
	s_xor_b32 s8, exec_lo, s8
	s_cbranch_execz .LBB144_10
; %bb.9:
	v_ashrrev_i32_e32 v25, 31, v24
	s_mov_b32 s6, exec_lo
	s_delay_alu instid0(VALU_DEP_1) | instskip(NEXT) | instid1(VALU_DEP_1)
	v_lshlrev_b64 v[2:3], 2, v[24:25]
	v_add_co_u32 v2, vcc_lo, s4, v2
	s_delay_alu instid0(VALU_DEP_2)
	v_add_co_ci_u32_e32 v3, vcc_lo, s5, v3, vcc_lo
	global_load_b32 v0, v[2:3], off
	s_waitcnt vmcnt(0)
	v_subrev_nc_u32_e32 v0, s12, v0
.LBB144_10:
	s_or_b32 exec_lo, exec_lo, s8
	s_delay_alu instid0(SALU_CYCLE_1)
	s_and_b32 vcc_lo, exec_lo, s7
	s_cbranch_vccz .LBB144_14
.LBB144_11:
	v_cmp_gt_i32_e32 vcc_lo, s0, v24
	s_and_not1_b32 s0, s6, exec_lo
	s_and_b32 s4, vcc_lo, exec_lo
	s_delay_alu instid0(SALU_CYCLE_1) | instskip(NEXT) | instid1(SALU_CYCLE_1)
	s_or_b32 s6, s0, s4
	s_and_b32 exec_lo, exec_lo, s6
	s_cbranch_execnz .LBB144_15
.LBB144_12:
	s_nop 0
	s_sendmsg sendmsg(MSG_DEALLOC_VGPRS)
	s_endpgm
.LBB144_13:
	s_mov_b32 s6, 0
                                        ; implicit-def: $vgpr0
	s_cbranch_execnz .LBB144_11
.LBB144_14:
	s_delay_alu instid0(VALU_DEP_1)
	v_mov_b32_e32 v24, v0
	s_and_b32 exec_lo, exec_lo, s6
	s_cbranch_execz .LBB144_12
.LBB144_15:
	s_load_b256 s[4:11], s[2:3], 0x28
	s_delay_alu instid0(VALU_DEP_1) | instskip(SKIP_1) | instid1(VALU_DEP_2)
	v_ashrrev_i32_e32 v25, 31, v24
	v_and_b32_e32 v55, 63, v1
	v_lshlrev_b64 v[2:3], 3, v[24:25]
	s_waitcnt lgkmcnt(0)
	s_delay_alu instid0(VALU_DEP_1) | instskip(NEXT) | instid1(VALU_DEP_2)
	v_add_co_u32 v4, vcc_lo, s4, v2
	v_add_co_ci_u32_e32 v5, vcc_lo, s5, v3, vcc_lo
	v_add_co_u32 v0, vcc_lo, s6, v2
	v_add_co_ci_u32_e32 v2, vcc_lo, s7, v3, vcc_lo
	s_delay_alu instid0(VALU_DEP_4)
	v_add_co_u32 v6, vcc_lo, v4, 8
	global_load_b64 v[47:48], v[4:5], off
	v_add_co_ci_u32_e32 v3, vcc_lo, 0, v5, vcc_lo
	s_cmp_eq_u64 s[6:7], 0
	s_load_b64 s[4:5], s[2:3], 0x48
	s_cselect_b32 vcc_lo, -1, 0
	s_cmp_eq_u32 s1, 1
	v_dual_cndmask_b32 v3, v2, v3 :: v_dual_cndmask_b32 v2, v0, v6
	global_load_b64 v[2:3], v[2:3], off
	s_waitcnt vmcnt(1)
	v_sub_co_u32 v0, vcc_lo, v47, s12
	v_subrev_co_ci_u32_e32 v1, vcc_lo, 0, v48, vcc_lo
	s_delay_alu instid0(VALU_DEP_2) | instskip(NEXT) | instid1(VALU_DEP_2)
	v_add_co_u32 v25, vcc_lo, v0, v55
	v_add_co_ci_u32_e32 v26, vcc_lo, 0, v1, vcc_lo
	s_delay_alu instid0(VALU_DEP_1) | instskip(SKIP_3) | instid1(VALU_DEP_3)
	v_lshlrev_b64 v[0:1], 7, v[25:26]
	s_waitcnt vmcnt(0)
	v_sub_co_u32 v27, vcc_lo, v2, s12
	v_subrev_co_ci_u32_e32 v28, vcc_lo, 0, v3, vcc_lo
	v_add_co_u32 v29, vcc_lo, s10, v0
	s_delay_alu instid0(VALU_DEP_2)
	v_cmp_lt_i64_e64 s0, v[25:26], v[27:28]
	v_add_co_ci_u32_e32 v30, vcc_lo, s11, v1, vcc_lo
	s_cbranch_scc1 .LBB144_27
; %bb.16:
	v_mov_b32_e32 v35, 0
	v_mov_b32_e32 v36, 0
	s_delay_alu instid0(VALU_DEP_2) | instskip(NEXT) | instid1(VALU_DEP_2)
	v_mov_b32_e32 v33, v35
	v_dual_mov_b32 v31, v35 :: v_dual_mov_b32 v32, v36
	v_dual_mov_b32 v42, v36 :: v_dual_mov_b32 v41, v35
	;; [unrolled: 1-line block ×6, first 2 shown]
	v_mov_b32_e32 v34, v36
	s_and_saveexec_b32 s6, s0
	s_cbranch_execz .LBB144_26
; %bb.17:
	v_or_b32_e32 v0, 64, v55
	v_not_b32_e32 v3, v47
	v_not_b32_e32 v2, v48
	v_mov_b32_e32 v52, v26
	s_mov_b32 s10, 0
	v_sub_co_u32 v0, s1, v0, s12
	s_delay_alu instid0(VALU_DEP_1) | instskip(SKIP_1) | instid1(VALU_DEP_3)
	v_sub_co_ci_u32_e64 v1, null, 0, 0, s1
	v_sub_co_u32 v4, s1, s12, v55
	v_add_co_u32 v0, vcc_lo, v0, v47
	s_delay_alu instid0(VALU_DEP_3) | instskip(SKIP_2) | instid1(VALU_DEP_2)
	v_add_co_ci_u32_e32 v1, vcc_lo, v1, v48, vcc_lo
	v_sub_co_ci_u32_e64 v5, null, 0, 0, s1
	s_mov_b32 s7, exec_lo
	v_cmp_gt_i64_e32 vcc_lo, v[0:1], v[27:28]
	v_mov_b32_e32 v51, v25
	v_dual_cndmask_b32 v1, v28, v1 :: v_dual_cndmask_b32 v0, v27, v0
	v_add_co_u32 v3, vcc_lo, v4, v3
	v_add_co_ci_u32_e32 v2, vcc_lo, v5, v2, vcc_lo
	s_delay_alu instid0(VALU_DEP_2) | instskip(NEXT) | instid1(VALU_DEP_2)
	v_add_co_u32 v0, vcc_lo, v3, v0
	v_add_co_ci_u32_e32 v1, vcc_lo, v2, v1, vcc_lo
	s_delay_alu instid0(VALU_DEP_2) | instskip(SKIP_3) | instid1(VALU_DEP_4)
	v_lshrrev_b32_e32 v2, 6, v0
	v_mov_b32_e32 v31, 0
	v_mov_b32_e32 v32, 0
	v_dual_mov_b32 v50, v30 :: v_dual_mov_b32 v49, v29
	v_add_nc_u32_e32 v2, 1, v2
	s_delay_alu instid0(VALU_DEP_3)
	v_mov_b32_e32 v34, v32
	v_mov_b32_e32 v40, v32
	;; [unrolled: 1-line block ×6, first 2 shown]
	v_dual_mov_b32 v36, v32 :: v_dual_mov_b32 v33, v31
	v_mov_b32_e32 v39, v31
	v_dual_mov_b32 v37, v31 :: v_dual_and_b32 v2, 3, v2
	v_mov_b32_e32 v45, v31
	v_mov_b32_e32 v43, v31
	;; [unrolled: 1-line block ×4, first 2 shown]
	v_cmpx_ne_u32_e32 0, v2
	s_cbranch_execz .LBB144_21
; %bb.18:
	v_lshlrev_b64 v[4:5], 2, v[25:26]
	v_dual_mov_b32 v35, 0 :: v_dual_lshlrev_b32 v2, 2, v2
	v_dual_mov_b32 v3, 0 :: v_dual_mov_b32 v36, 0
	v_dual_mov_b32 v52, v26 :: v_dual_mov_b32 v51, v25
	s_delay_alu instid0(VALU_DEP_4)
	v_add_co_u32 v4, vcc_lo, s8, v4
	v_add_co_ci_u32_e32 v5, vcc_lo, s9, v5, vcc_lo
	v_dual_mov_b32 v50, v30 :: v_dual_mov_b32 v49, v29
	v_dual_mov_b32 v42, v36 :: v_dual_mov_b32 v41, v35
	;; [unrolled: 1-line block ×8, first 2 shown]
.LBB144_19:                             ; =>This Inner Loop Header: Depth=1
	global_load_b32 v14, v[4:5], off
	s_clause 0x7
	global_load_b128 v[6:9], v[49:50], off offset:48
	global_load_b128 v[10:13], v[49:50], off offset:32
	;; [unrolled: 1-line block ×3, first 2 shown]
	global_load_b128 v[60:63], v[49:50], off
	global_load_b128 v[64:67], v[49:50], off offset:112
	global_load_b128 v[68:71], v[49:50], off offset:96
	;; [unrolled: 1-line block ×4, first 2 shown]
	v_add_co_u32 v4, s1, 0x100, v4
	s_delay_alu instid0(VALU_DEP_1) | instskip(SKIP_2) | instid1(VALU_DEP_1)
	v_add_co_ci_u32_e64 v5, s1, 0, v5, s1
	s_waitcnt vmcnt(8)
	v_subrev_nc_u32_e32 v14, s12, v14
	v_lshlrev_b32_e32 v14, 2, v14
	s_delay_alu instid0(VALU_DEP_1) | instskip(NEXT) | instid1(VALU_DEP_1)
	v_ashrrev_i32_e32 v15, 31, v14
	v_lshlrev_b64 v[14:15], 4, v[14:15]
	s_waitcnt lgkmcnt(0)
	s_delay_alu instid0(VALU_DEP_1) | instskip(NEXT) | instid1(VALU_DEP_2)
	v_add_co_u32 v14, vcc_lo, s4, v14
	v_add_co_ci_u32_e32 v15, vcc_lo, s5, v15, vcc_lo
	v_add_co_u32 v49, vcc_lo, 0x2000, v49
	v_add_co_ci_u32_e32 v50, vcc_lo, 0, v50, vcc_lo
	s_clause 0x3
	global_load_b128 v[80:83], v[14:15], off
	global_load_b128 v[84:87], v[14:15], off offset:16
	global_load_b128 v[88:91], v[14:15], off offset:32
	;; [unrolled: 1-line block ×3, first 2 shown]
	v_add_co_u32 v2, vcc_lo, v2, -4
	v_add_co_ci_u32_e32 v3, vcc_lo, -1, v3, vcc_lo
	v_add_co_u32 v51, vcc_lo, v51, 64
	v_add_co_ci_u32_e32 v52, vcc_lo, 0, v52, vcc_lo
	s_delay_alu instid0(VALU_DEP_3)
	v_cmp_eq_u64_e32 vcc_lo, 0, v[2:3]
	s_or_b32 s10, vcc_lo, s10
	s_waitcnt vmcnt(3)
	v_fma_f64 v[14:15], v[60:61], v[80:81], v[41:42]
	v_fma_f64 v[35:36], v[80:81], 0, v[35:36]
	v_fma_f64 v[41:42], v[10:11], v[80:81], v[43:44]
	v_fma_f64 v[43:44], v[80:81], 0, v[45:46]
	v_fma_f64 v[39:40], v[76:77], v[80:81], v[39:40]
	v_fma_f64 v[37:38], v[80:81], 0, v[37:38]
	v_fma_f64 v[31:32], v[68:69], v[80:81], v[31:32]
	v_fma_f64 v[33:34], v[80:81], 0, v[33:34]
	v_fma_f64 v[14:15], 0x80000000, v[82:83], v[14:15]
	v_fma_f64 v[35:36], v[60:61], v[82:83], v[35:36]
	v_fma_f64 v[41:42], 0x80000000, v[82:83], v[41:42]
	v_fma_f64 v[10:11], v[10:11], v[82:83], v[43:44]
	v_fma_f64 v[39:40], 0x80000000, v[82:83], v[39:40]
	v_fma_f64 v[37:38], v[76:77], v[82:83], v[37:38]
	v_fma_f64 v[31:32], 0x80000000, v[82:83], v[31:32]
	v_fma_f64 v[33:34], v[68:69], v[82:83], v[33:34]
	s_waitcnt vmcnt(2)
	v_fma_f64 v[14:15], v[62:63], v[84:85], v[14:15]
	v_fma_f64 v[35:36], v[84:85], 0, v[35:36]
	v_fma_f64 v[41:42], v[12:13], v[84:85], v[41:42]
	v_fma_f64 v[10:11], v[84:85], 0, v[10:11]
	v_fma_f64 v[39:40], v[78:79], v[84:85], v[39:40]
	v_fma_f64 v[37:38], v[84:85], 0, v[37:38]
	v_fma_f64 v[31:32], v[70:71], v[84:85], v[31:32]
	v_fma_f64 v[33:34], v[84:85], 0, v[33:34]
	v_fma_f64 v[14:15], 0x80000000, v[86:87], v[14:15]
	v_fma_f64 v[35:36], v[62:63], v[86:87], v[35:36]
	v_fma_f64 v[41:42], 0x80000000, v[86:87], v[41:42]
	v_fma_f64 v[10:11], v[12:13], v[86:87], v[10:11]
	v_fma_f64 v[12:13], 0x80000000, v[86:87], v[39:40]
	v_fma_f64 v[37:38], v[78:79], v[86:87], v[37:38]
	v_fma_f64 v[31:32], 0x80000000, v[86:87], v[31:32]
	v_fma_f64 v[33:34], v[70:71], v[86:87], v[33:34]
	;; [unrolled: 17-line block ×4, first 2 shown]
	s_and_not1_b32 exec_lo, exec_lo, s10
	s_cbranch_execnz .LBB144_19
; %bb.20:
	s_or_b32 exec_lo, exec_lo, s10
.LBB144_21:
	s_delay_alu instid0(SALU_CYCLE_1) | instskip(NEXT) | instid1(SALU_CYCLE_1)
	s_or_b32 exec_lo, exec_lo, s7
	s_mov_b32 s7, exec_lo
	v_cmpx_lt_u64_e32 0xbf, v[0:1]
	s_cbranch_execz .LBB144_25
; %bb.22:
	v_lshlrev_b64 v[0:1], 2, v[51:52]
	s_mov_b32 s10, 0
	s_delay_alu instid0(VALU_DEP_1) | instskip(NEXT) | instid1(VALU_DEP_2)
	v_add_co_u32 v0, vcc_lo, v0, s8
	v_add_co_ci_u32_e32 v1, vcc_lo, s9, v1, vcc_lo
	s_delay_alu instid0(VALU_DEP_2) | instskip(NEXT) | instid1(VALU_DEP_2)
	v_add_co_u32 v53, vcc_lo, 0x200, v0
	v_add_co_ci_u32_e32 v54, vcc_lo, 0, v1, vcc_lo
.LBB144_23:                             ; =>This Inner Loop Header: Depth=1
	s_clause 0x1
	global_load_b32 v56, v[53:54], off offset:-512
	global_load_b32 v104, v[53:54], off offset:-256
	s_clause 0x3
	global_load_b128 v[4:7], v[49:50], off offset:32
	global_load_b128 v[12:15], v[49:50], off
	global_load_b128 v[0:3], v[49:50], off offset:96
	global_load_b128 v[8:11], v[49:50], off offset:64
	s_clause 0x1
	global_load_b32 v116, v[53:54], off
	global_load_b32 v118, v[53:54], off offset:256
	s_waitcnt vmcnt(7)
	v_subrev_nc_u32_e32 v56, s12, v56
	s_waitcnt vmcnt(6)
	v_subrev_nc_u32_e32 v104, s12, v104
	s_delay_alu instid0(VALU_DEP_2) | instskip(NEXT) | instid1(VALU_DEP_2)
	v_lshlrev_b32_e32 v56, 2, v56
	v_lshlrev_b32_e32 v104, 2, v104
	s_waitcnt vmcnt(1)
	v_subrev_nc_u32_e32 v116, s12, v116
	s_delay_alu instid0(VALU_DEP_3) | instskip(NEXT) | instid1(VALU_DEP_3)
	v_ashrrev_i32_e32 v57, 31, v56
	v_ashrrev_i32_e32 v105, 31, v104
	s_delay_alu instid0(VALU_DEP_3) | instskip(NEXT) | instid1(VALU_DEP_3)
	v_lshlrev_b32_e32 v116, 2, v116
	v_lshlrev_b64 v[56:57], 4, v[56:57]
	s_delay_alu instid0(VALU_DEP_3) | instskip(NEXT) | instid1(VALU_DEP_3)
	v_lshlrev_b64 v[104:105], 4, v[104:105]
	v_ashrrev_i32_e32 v117, 31, v116
	s_waitcnt lgkmcnt(0)
	s_delay_alu instid0(VALU_DEP_3) | instskip(NEXT) | instid1(VALU_DEP_4)
	v_add_co_u32 v84, vcc_lo, s4, v56
	v_add_co_ci_u32_e32 v85, vcc_lo, s5, v57, vcc_lo
	v_add_co_u32 v108, vcc_lo, 0x2000, v49
	v_add_co_ci_u32_e32 v109, vcc_lo, 0, v50, vcc_lo
	s_clause 0x1
	global_load_b128 v[56:59], v[84:85], off
	global_load_b128 v[60:63], v[84:85], off offset:16
	s_clause 0x3
	global_load_b128 v[64:67], v[49:50], off offset:48
	global_load_b128 v[68:71], v[49:50], off offset:16
	;; [unrolled: 1-line block ×4, first 2 shown]
	s_clause 0x1
	global_load_b128 v[80:83], v[84:85], off offset:32
	global_load_b128 v[84:87], v[84:85], off offset:48
	v_add_co_u32 v110, vcc_lo, s4, v104
	v_add_co_ci_u32_e32 v111, vcc_lo, s5, v105, vcc_lo
	s_clause 0x3
	global_load_b128 v[88:91], v[108:109], off
	global_load_b128 v[92:95], v[108:109], off offset:32
	global_load_b128 v[96:99], v[108:109], off offset:96
	;; [unrolled: 1-line block ×3, first 2 shown]
	v_add_co_u32 v114, vcc_lo, 0x4000, v49
	global_load_b128 v[104:107], v[110:111], off
	v_add_co_ci_u32_e32 v115, vcc_lo, 0, v50, vcc_lo
	s_waitcnt vmcnt(12)
	v_fma_f64 v[35:36], v[56:57], 0, v[35:36]
	v_fma_f64 v[45:46], v[56:57], 0, v[45:46]
	v_fma_f64 v[41:42], v[12:13], v[56:57], v[41:42]
	v_fma_f64 v[43:44], v[4:5], v[56:57], v[43:44]
	v_fma_f64 v[39:40], v[8:9], v[56:57], v[39:40]
	v_fma_f64 v[37:38], v[56:57], 0, v[37:38]
	v_fma_f64 v[31:32], v[0:1], v[56:57], v[31:32]
	v_fma_f64 v[33:34], v[56:57], 0, v[33:34]
	v_fma_f64 v[12:13], v[12:13], v[58:59], v[35:36]
	v_fma_f64 v[4:5], v[4:5], v[58:59], v[45:46]
	v_fma_f64 v[35:36], 0x80000000, v[58:59], v[41:42]
	v_fma_f64 v[41:42], 0x80000000, v[58:59], v[43:44]
	v_fma_f64 v[39:40], 0x80000000, v[58:59], v[39:40]
	v_fma_f64 v[8:9], v[8:9], v[58:59], v[37:38]
	v_fma_f64 v[37:38], 0x80000000, v[58:59], v[31:32]
	v_fma_f64 v[0:1], v[0:1], v[58:59], v[33:34]
	global_load_b128 v[31:34], v[110:111], off offset:16
	s_waitcnt vmcnt(12)
	v_fma_f64 v[12:13], v[60:61], 0, v[12:13]
	v_fma_f64 v[4:5], v[60:61], 0, v[4:5]
	;; [unrolled: 1-line block ×16, first 2 shown]
	s_clause 0x3
	global_load_b128 v[0:3], v[108:109], off offset:48
	global_load_b128 v[4:7], v[108:109], off offset:112
	;; [unrolled: 1-line block ×5, first 2 shown]
	s_waitcnt vmcnt(12)
	v_fma_f64 v[43:44], v[80:81], 0, v[43:44]
	v_fma_f64 v[45:46], v[80:81], 0, v[45:46]
	;; [unrolled: 1-line block ×16, first 2 shown]
	global_load_b128 v[39:42], v[110:111], off offset:48
	s_waitcnt vmcnt(12)
	v_fma_f64 v[72:73], v[84:85], 0, v[43:44]
	v_fma_f64 v[76:77], v[84:85], 0, v[45:46]
	;; [unrolled: 1-line block ×8, first 2 shown]
	s_clause 0x3
	global_load_b128 v[43:46], v[114:115], off
	global_load_b128 v[56:59], v[114:115], off offset:32
	global_load_b128 v[60:63], v[114:115], off offset:96
	;; [unrolled: 1-line block ×3, first 2 shown]
	v_fma_f64 v[70:71], v[70:71], v[86:87], v[72:73]
	v_fma_f64 v[72:73], v[66:67], v[86:87], v[76:77]
	;; [unrolled: 1-line block ×8, first 2 shown]
	v_lshlrev_b64 v[64:65], 4, v[116:117]
	v_subrev_nc_u32_e32 v116, s12, v118
	s_delay_alu instid0(VALU_DEP_2) | instskip(NEXT) | instid1(VALU_DEP_3)
	v_add_co_u32 v112, vcc_lo, s4, v64
	v_add_co_ci_u32_e32 v113, vcc_lo, s5, v65, vcc_lo
	s_delay_alu instid0(VALU_DEP_3)
	v_lshlrev_b32_e32 v116, 2, v116
	global_load_b128 v[64:67], v[112:113], off
	v_ashrrev_i32_e32 v117, 31, v116
	s_waitcnt vmcnt(12)
	v_fma_f64 v[70:71], v[104:105], 0, v[70:71]
	v_fma_f64 v[72:73], v[104:105], 0, v[72:73]
	;; [unrolled: 1-line block ×13, first 2 shown]
	global_load_b128 v[68:71], v[112:113], off offset:16
	v_fma_f64 v[78:79], v[100:101], v[106:107], v[78:79]
	v_fma_f64 v[86:87], 0x80000000, v[106:107], v[86:87]
	;; [unrolled: 1-line block ×3, first 2 shown]
	s_waitcnt vmcnt(12)
	v_fma_f64 v[88:89], v[31:32], 0, v[88:89]
	v_fma_f64 v[72:73], v[31:32], 0, v[72:73]
	;; [unrolled: 1-line block ×16, first 2 shown]
	s_clause 0x3
	global_load_b128 v[31:34], v[114:115], off offset:48
	global_load_b128 v[72:75], v[114:115], off offset:112
	;; [unrolled: 1-line block ×5, first 2 shown]
	s_waitcnt vmcnt(12)
	v_fma_f64 v[96:97], v[35:36], 0, v[96:97]
	v_fma_f64 v[94:95], v[35:36], 0, v[94:95]
	;; [unrolled: 1-line block ×16, first 2 shown]
	global_load_b128 v[35:38], v[112:113], off offset:48
	s_waitcnt vmcnt(12)
	v_fma_f64 v[12:13], v[39:40], 0, v[12:13]
	v_fma_f64 v[0:1], v[39:40], 0, v[0:1]
	;; [unrolled: 1-line block ×8, first 2 shown]
	v_add_co_u32 v39, vcc_lo, 0x6000, v49
	v_add_co_ci_u32_e32 v40, vcc_lo, 0, v50, vcc_lo
	s_clause 0x3
	global_load_b128 v[92:95], v[39:40], off
	global_load_b128 v[96:99], v[39:40], off offset:32
	global_load_b128 v[100:103], v[39:40], off offset:96
	;; [unrolled: 1-line block ×3, first 2 shown]
	v_add_co_u32 v49, s1, 0x8000, v49
	s_delay_alu instid0(VALU_DEP_1)
	v_add_co_ci_u32_e64 v50, s1, 0, v50, s1
	v_fma_f64 v[12:13], v[14:15], v[41:42], v[12:13]
	v_fma_f64 v[14:15], v[2:3], v[41:42], v[0:1]
	;; [unrolled: 1-line block ×5, first 2 shown]
	v_lshlrev_b64 v[0:1], 4, v[116:117]
	v_fma_f64 v[8:9], v[10:11], v[41:42], v[8:9]
	v_fma_f64 v[10:11], 0x80000000, v[41:42], v[114:115]
	;; [unrolled: 1-line block ×3, first 2 shown]
	s_delay_alu instid0(VALU_DEP_4)
	v_add_co_u32 v114, vcc_lo, s4, v0
	v_add_co_ci_u32_e32 v115, vcc_lo, s5, v1, vcc_lo
	v_add_co_u32 v51, vcc_lo, 0x100, v51
	v_add_co_ci_u32_e32 v52, vcc_lo, 0, v52, vcc_lo
	global_load_b128 v[0:3], v[114:115], off
	v_add_co_u32 v53, vcc_lo, 0x400, v53
	v_add_co_ci_u32_e32 v54, vcc_lo, 0, v54, vcc_lo
	v_cmp_ge_i64_e32 vcc_lo, v[51:52], v[27:28]
	s_or_b32 s10, vcc_lo, s10
	s_waitcnt vmcnt(12)
	v_fma_f64 v[12:13], v[64:65], 0, v[12:13]
	v_fma_f64 v[14:15], v[64:65], 0, v[14:15]
	;; [unrolled: 1-line block ×16, first 2 shown]
	global_load_b128 v[4:7], v[114:115], off offset:16
	s_waitcnt vmcnt(12)
	v_fma_f64 v[12:13], v[68:69], 0, v[12:13]
	v_fma_f64 v[14:15], v[68:69], 0, v[14:15]
	;; [unrolled: 1-line block ×16, first 2 shown]
	s_clause 0x3
	global_load_b128 v[8:11], v[39:40], off offset:48
	global_load_b128 v[12:15], v[39:40], off offset:112
	global_load_b128 v[56:59], v[39:40], off offset:80
	global_load_b128 v[41:44], v[39:40], off offset:16
	global_load_b128 v[60:63], v[114:115], off offset:32
	s_waitcnt vmcnt(12)
	v_fma_f64 v[45:46], v[88:89], 0, v[45:46]
	v_fma_f64 v[39:40], v[84:85], v[88:89], v[64:65]
	;; [unrolled: 1-line block ×16, first 2 shown]
	global_load_b128 v[64:67], v[114:115], off offset:48
	s_waitcnt vmcnt(12)
	v_fma_f64 v[45:46], v[35:36], 0, v[45:46]
	v_fma_f64 v[39:40], v[86:87], v[35:36], v[39:40]
	v_fma_f64 v[72:73], v[33:34], v[35:36], v[84:85]
	v_fma_f64 v[31:32], v[35:36], 0, v[31:32]
	v_fma_f64 v[68:69], v[78:79], v[35:36], v[68:69]
	v_fma_f64 v[76:77], v[35:36], 0, v[76:77]
	v_fma_f64 v[80:81], v[74:75], v[35:36], v[80:81]
	v_fma_f64 v[35:36], v[35:36], 0, v[70:71]
	v_fma_f64 v[45:46], v[86:87], v[37:38], v[45:46]
	v_fma_f64 v[39:40], 0x80000000, v[37:38], v[39:40]
	v_fma_f64 v[70:71], 0x80000000, v[37:38], v[72:73]
	v_fma_f64 v[31:32], v[33:34], v[37:38], v[31:32]
	v_fma_f64 v[33:34], 0x80000000, v[37:38], v[68:69]
	v_fma_f64 v[68:69], v[78:79], v[37:38], v[76:77]
	v_fma_f64 v[72:73], 0x80000000, v[37:38], v[80:81]
	v_fma_f64 v[35:36], v[74:75], v[37:38], v[35:36]
	s_waitcnt vmcnt(7)
	v_fma_f64 v[37:38], v[92:93], v[0:1], v[39:40]
	v_fma_f64 v[39:40], v[0:1], 0, v[45:46]
	v_fma_f64 v[45:46], v[96:97], v[0:1], v[70:71]
	v_fma_f64 v[31:32], v[0:1], 0, v[31:32]
	v_fma_f64 v[33:34], v[104:105], v[0:1], v[33:34]
	v_fma_f64 v[68:69], v[0:1], 0, v[68:69]
	v_fma_f64 v[70:71], v[100:101], v[0:1], v[72:73]
	v_fma_f64 v[0:1], v[0:1], 0, v[35:36]
	v_fma_f64 v[35:36], 0x80000000, v[2:3], v[37:38]
	v_fma_f64 v[37:38], v[92:93], v[2:3], v[39:40]
	v_fma_f64 v[39:40], 0x80000000, v[2:3], v[45:46]
	v_fma_f64 v[31:32], v[96:97], v[2:3], v[31:32]
	v_fma_f64 v[33:34], 0x80000000, v[2:3], v[33:34]
	v_fma_f64 v[45:46], v[104:105], v[2:3], v[68:69]
	v_fma_f64 v[68:69], 0x80000000, v[2:3], v[70:71]
	v_fma_f64 v[0:1], v[100:101], v[2:3], v[0:1]
	;; [unrolled: 17-line block ×5, first 2 shown]
	s_and_not1_b32 exec_lo, exec_lo, s10
	s_cbranch_execnz .LBB144_23
; %bb.24:
	s_or_b32 exec_lo, exec_lo, s10
.LBB144_25:
	s_delay_alu instid0(SALU_CYCLE_1)
	s_or_b32 exec_lo, exec_lo, s7
.LBB144_26:
	s_delay_alu instid0(SALU_CYCLE_1)
	s_or_b32 exec_lo, exec_lo, s6
	s_cbranch_execz .LBB144_28
	s_branch .LBB144_39
.LBB144_27:
                                        ; implicit-def: $vgpr35_vgpr36
                                        ; implicit-def: $vgpr41_vgpr42
                                        ; implicit-def: $vgpr45_vgpr46
                                        ; implicit-def: $vgpr43_vgpr44
                                        ; implicit-def: $vgpr37_vgpr38
                                        ; implicit-def: $vgpr39_vgpr40
                                        ; implicit-def: $vgpr33_vgpr34
                                        ; implicit-def: $vgpr31_vgpr32
.LBB144_28:
	v_mov_b32_e32 v35, 0
	v_mov_b32_e32 v36, 0
	s_delay_alu instid0(VALU_DEP_2) | instskip(NEXT) | instid1(VALU_DEP_2)
	v_mov_b32_e32 v33, v35
	v_dual_mov_b32 v31, v35 :: v_dual_mov_b32 v32, v36
	v_dual_mov_b32 v42, v36 :: v_dual_mov_b32 v41, v35
	;; [unrolled: 1-line block ×6, first 2 shown]
	v_mov_b32_e32 v34, v36
	s_and_saveexec_b32 s1, s0
	s_cbranch_execz .LBB144_38
; %bb.29:
	v_or_b32_e32 v0, 64, v55
	v_not_b32_e32 v3, v47
	v_not_b32_e32 v2, v48
	s_mov_b32 s7, 0
	s_mov_b32 s6, exec_lo
	v_sub_co_u32 v0, s0, v0, s12
	s_delay_alu instid0(VALU_DEP_1) | instskip(SKIP_1) | instid1(VALU_DEP_3)
	v_sub_co_ci_u32_e64 v1, null, 0, 0, s0
	v_sub_co_u32 v4, s0, s12, v55
	v_add_co_u32 v0, vcc_lo, v0, v47
	s_delay_alu instid0(VALU_DEP_3) | instskip(SKIP_1) | instid1(VALU_DEP_2)
	v_add_co_ci_u32_e32 v1, vcc_lo, v1, v48, vcc_lo
	v_sub_co_ci_u32_e64 v5, null, 0, 0, s0
	v_cmp_gt_i64_e32 vcc_lo, v[0:1], v[27:28]
	v_dual_cndmask_b32 v1, v28, v1 :: v_dual_cndmask_b32 v0, v27, v0
	v_add_co_u32 v3, vcc_lo, v4, v3
	s_delay_alu instid0(VALU_DEP_4) | instskip(NEXT) | instid1(VALU_DEP_2)
	v_add_co_ci_u32_e32 v2, vcc_lo, v5, v2, vcc_lo
	v_add_co_u32 v0, vcc_lo, v3, v0
	s_delay_alu instid0(VALU_DEP_2) | instskip(NEXT) | instid1(VALU_DEP_2)
	v_add_co_ci_u32_e32 v1, vcc_lo, v2, v1, vcc_lo
	v_lshrrev_b32_e32 v2, 6, v0
	v_mov_b32_e32 v31, 0
	v_mov_b32_e32 v32, 0
	s_delay_alu instid0(VALU_DEP_3) | instskip(NEXT) | instid1(VALU_DEP_2)
	v_add_nc_u32_e32 v2, 1, v2
	v_mov_b32_e32 v38, v32
	v_mov_b32_e32 v44, v32
	;; [unrolled: 1-line block ×4, first 2 shown]
	v_dual_mov_b32 v36, v32 :: v_dual_mov_b32 v35, v31
	v_dual_mov_b32 v34, v32 :: v_dual_mov_b32 v33, v31
	;; [unrolled: 1-line block ×3, first 2 shown]
	v_dual_mov_b32 v37, v31 :: v_dual_and_b32 v2, 3, v2
	v_mov_b32_e32 v43, v31
	v_mov_b32_e32 v45, v31
	;; [unrolled: 1-line block ×3, first 2 shown]
	s_delay_alu instid0(VALU_DEP_4)
	v_cmpx_ne_u32_e32 0, v2
	s_cbranch_execz .LBB144_33
; %bb.30:
	v_lshlrev_b64 v[4:5], 2, v[25:26]
	v_dual_mov_b32 v35, 0 :: v_dual_lshlrev_b32 v2, 2, v2
	v_dual_mov_b32 v3, 0 :: v_dual_mov_b32 v36, 0
	s_delay_alu instid0(VALU_DEP_2) | instskip(NEXT) | instid1(VALU_DEP_4)
	v_mov_b32_e32 v33, v35
	v_add_co_u32 v4, vcc_lo, s8, v4
	v_add_co_ci_u32_e32 v5, vcc_lo, s9, v5, vcc_lo
	s_delay_alu instid0(VALU_DEP_4)
	v_mov_b32_e32 v34, v36
	v_dual_mov_b32 v42, v36 :: v_dual_mov_b32 v41, v35
	v_dual_mov_b32 v46, v36 :: v_dual_mov_b32 v45, v35
	;; [unrolled: 1-line block ×6, first 2 shown]
.LBB144_31:                             ; =>This Inner Loop Header: Depth=1
	global_load_b32 v14, v[4:5], off
	s_clause 0x1
	global_load_b128 v[6:9], v[29:30], off offset:16
	global_load_b128 v[10:13], v[29:30], off
	v_add_co_u32 v4, s0, 0x100, v4
	s_delay_alu instid0(VALU_DEP_1) | instskip(SKIP_2) | instid1(VALU_DEP_1)
	v_add_co_ci_u32_e64 v5, s0, 0, v5, s0
	s_waitcnt vmcnt(2)
	v_subrev_nc_u32_e32 v14, s12, v14
	v_lshlrev_b32_e32 v14, 2, v14
	s_delay_alu instid0(VALU_DEP_1) | instskip(NEXT) | instid1(VALU_DEP_1)
	v_ashrrev_i32_e32 v15, 31, v14
	v_lshlrev_b64 v[14:15], 4, v[14:15]
	s_waitcnt lgkmcnt(0)
	s_delay_alu instid0(VALU_DEP_1) | instskip(NEXT) | instid1(VALU_DEP_2)
	v_add_co_u32 v14, vcc_lo, s4, v14
	v_add_co_ci_u32_e32 v15, vcc_lo, s5, v15, vcc_lo
	s_clause 0x1
	global_load_b128 v[47:50], v[14:15], off
	global_load_b128 v[51:54], v[14:15], off offset:16
	s_clause 0x3
	global_load_b128 v[56:59], v[29:30], off offset:32
	global_load_b128 v[60:63], v[29:30], off offset:48
	;; [unrolled: 1-line block ×4, first 2 shown]
	s_clause 0x1
	global_load_b128 v[72:75], v[14:15], off offset:32
	global_load_b128 v[76:79], v[14:15], off offset:48
	s_clause 0x1
	global_load_b128 v[80:83], v[29:30], off offset:96
	global_load_b128 v[84:87], v[29:30], off offset:112
	v_add_co_u32 v29, vcc_lo, 0x2000, v29
	v_add_co_ci_u32_e32 v30, vcc_lo, 0, v30, vcc_lo
	v_add_co_u32 v2, vcc_lo, v2, -4
	v_add_co_ci_u32_e32 v3, vcc_lo, -1, v3, vcc_lo
	v_add_co_u32 v25, vcc_lo, v25, 64
	v_add_co_ci_u32_e32 v26, vcc_lo, 0, v26, vcc_lo
	s_delay_alu instid0(VALU_DEP_3)
	v_cmp_eq_u64_e32 vcc_lo, 0, v[2:3]
	s_or_b32 s7, vcc_lo, s7
	s_waitcnt vmcnt(9)
	v_fma_f64 v[14:15], v[10:11], v[47:48], v[41:42]
	v_fma_f64 v[35:36], v[47:48], 0, v[35:36]
	;; [unrolled: 1-line block ×16, first 2 shown]
	s_waitcnt vmcnt(7)
	v_fma_f64 v[14:15], v[56:57], v[51:52], v[14:15]
	v_fma_f64 v[10:11], v[51:52], 0, v[10:11]
	;; [unrolled: 1-line block ×4, first 2 shown]
	s_waitcnt vmcnt(6)
	v_fma_f64 v[35:36], v[60:61], v[51:52], v[39:40]
	v_fma_f64 v[6:7], v[51:52], 0, v[6:7]
	;; [unrolled: 1-line block ×12, first 2 shown]
	s_waitcnt vmcnt(3)
	v_fma_f64 v[14:15], v[68:69], v[72:73], v[14:15]
	v_fma_f64 v[10:11], v[72:73], 0, v[10:11]
	;; [unrolled: 1-line block ×16, first 2 shown]
	s_waitcnt vmcnt(1)
	v_fma_f64 v[14:15], v[80:81], v[76:77], v[14:15]
	v_fma_f64 v[10:11], v[76:77], 0, v[10:11]
	;; [unrolled: 1-line block ×4, first 2 shown]
	s_waitcnt vmcnt(0)
	v_fma_f64 v[37:38], v[84:85], v[76:77], v[35:36]
	v_fma_f64 v[6:7], v[76:77], 0, v[6:7]
	;; [unrolled: 1-line block ×12, first 2 shown]
	s_and_not1_b32 exec_lo, exec_lo, s7
	s_cbranch_execnz .LBB144_31
; %bb.32:
	s_or_b32 exec_lo, exec_lo, s7
.LBB144_33:
	s_delay_alu instid0(SALU_CYCLE_1) | instskip(NEXT) | instid1(SALU_CYCLE_1)
	s_or_b32 exec_lo, exec_lo, s6
	s_mov_b32 s6, exec_lo
	v_cmpx_lt_u64_e32 0xbf, v[0:1]
	s_cbranch_execz .LBB144_37
; %bb.34:
	v_lshlrev_b64 v[0:1], 2, v[25:26]
	s_mov_b32 s7, 0
	s_delay_alu instid0(VALU_DEP_1) | instskip(NEXT) | instid1(VALU_DEP_2)
	v_add_co_u32 v0, vcc_lo, v0, s8
	v_add_co_ci_u32_e32 v1, vcc_lo, s9, v1, vcc_lo
	s_delay_alu instid0(VALU_DEP_2) | instskip(NEXT) | instid1(VALU_DEP_2)
	v_add_co_u32 v0, vcc_lo, 0x200, v0
	v_add_co_ci_u32_e32 v1, vcc_lo, 0, v1, vcc_lo
.LBB144_35:                             ; =>This Inner Loop Header: Depth=1
	s_clause 0x1
	global_load_b32 v2, v[0:1], off offset:-512
	global_load_b32 v15, v[0:1], off offset:-256
	s_clause 0x1
	global_load_b128 v[3:6], v[29:30], off offset:16
	global_load_b128 v[7:10], v[29:30], off
	s_clause 0x1
	global_load_b32 v106, v[0:1], off
	global_load_b32 v107, v[0:1], off offset:256
	s_waitcnt vmcnt(5)
	v_subrev_nc_u32_e32 v2, s12, v2
	s_delay_alu instid0(VALU_DEP_1) | instskip(SKIP_2) | instid1(VALU_DEP_2)
	v_lshlrev_b32_e32 v11, 2, v2
	s_waitcnt vmcnt(4)
	v_subrev_nc_u32_e32 v2, s12, v15
	v_ashrrev_i32_e32 v12, 31, v11
	s_delay_alu instid0(VALU_DEP_2) | instskip(NEXT) | instid1(VALU_DEP_2)
	v_lshlrev_b32_e32 v92, 2, v2
	v_lshlrev_b64 v[11:12], 4, v[11:12]
	s_delay_alu instid0(VALU_DEP_2) | instskip(NEXT) | instid1(VALU_DEP_1)
	v_ashrrev_i32_e32 v93, 31, v92
	v_lshlrev_b64 v[92:93], 4, v[92:93]
	s_waitcnt lgkmcnt(0)
	s_delay_alu instid0(VALU_DEP_3) | instskip(NEXT) | instid1(VALU_DEP_4)
	v_add_co_u32 v80, vcc_lo, s4, v11
	v_add_co_ci_u32_e32 v81, vcc_lo, s5, v12, vcc_lo
	v_add_co_u32 v96, vcc_lo, 0x2000, v29
	global_load_b128 v[11:14], v[80:81], off
	s_clause 0x1
	global_load_b128 v[47:50], v[29:30], off offset:32
	global_load_b128 v[51:54], v[29:30], off offset:48
	global_load_b128 v[56:59], v[80:81], off offset:16
	s_clause 0x1
	global_load_b128 v[60:63], v[29:30], off offset:80
	global_load_b128 v[64:67], v[29:30], off offset:64
	global_load_b128 v[68:71], v[80:81], off offset:32
	;; [unrolled: 4-line block ×3, first 2 shown]
	v_add_co_ci_u32_e32 v97, vcc_lo, 0, v30, vcc_lo
	v_add_co_u32 v98, vcc_lo, s4, v92
	v_add_co_ci_u32_e32 v99, vcc_lo, s5, v93, vcc_lo
	s_clause 0x1
	global_load_b128 v[84:87], v[96:97], off
	global_load_b128 v[88:91], v[96:97], off offset:16
	global_load_b128 v[92:95], v[98:99], off
	s_waitcnt vmcnt(12)
	v_fma_f64 v[35:36], v[11:12], 0, v[35:36]
	v_fma_f64 v[45:46], v[11:12], 0, v[45:46]
	;; [unrolled: 1-line block ×16, first 2 shown]
	s_clause 0x1
	global_load_b128 v[2:5], v[96:97], off offset:48
	global_load_b128 v[6:9], v[96:97], off offset:32
	;; [unrolled: 1-line block ×3, first 2 shown]
	s_waitcnt vmcnt(12)
	v_fma_f64 v[33:34], v[56:57], 0, v[33:34]
	v_fma_f64 v[35:36], v[56:57], 0, v[35:36]
	;; [unrolled: 1-line block ×16, first 2 shown]
	s_clause 0x1
	global_load_b128 v[31:34], v[96:97], off offset:80
	global_load_b128 v[35:38], v[96:97], off offset:64
	s_clause 0x1
	global_load_b128 v[39:42], v[98:99], off offset:32
	global_load_b128 v[43:46], v[98:99], off offset:48
	s_waitcnt vmcnt(13)
	v_fma_f64 v[47:48], v[68:69], 0, v[47:48]
	v_fma_f64 v[49:50], v[68:69], 0, v[49:50]
	;; [unrolled: 1-line block ×8, first 2 shown]
	v_subrev_nc_u32_e32 v102, s12, v106
	s_delay_alu instid0(VALU_DEP_1) | instskip(NEXT) | instid1(VALU_DEP_1)
	v_lshlrev_b32_e32 v102, 2, v102
	v_ashrrev_i32_e32 v103, 31, v102
	v_fma_f64 v[64:65], v[64:65], v[70:71], v[47:48]
	v_fma_f64 v[66:67], v[66:67], v[70:71], v[49:50]
	;; [unrolled: 1-line block ×8, first 2 shown]
	s_clause 0x1
	global_load_b128 v[47:50], v[96:97], off offset:96
	global_load_b128 v[51:54], v[96:97], off offset:112
	s_waitcnt vmcnt(12)
	v_fma_f64 v[64:65], v[80:81], 0, v[64:65]
	v_fma_f64 v[66:67], v[80:81], 0, v[66:67]
	;; [unrolled: 1-line block ×8, first 2 shown]
	v_add_co_u32 v80, vcc_lo, 0x4000, v29
	v_add_co_ci_u32_e32 v81, vcc_lo, 0, v30, vcc_lo
	s_clause 0x1
	global_load_b128 v[56:59], v[80:81], off
	global_load_b128 v[60:63], v[80:81], off offset:16
	v_fma_f64 v[76:77], v[76:77], v[82:83], v[64:65]
	v_fma_f64 v[78:79], v[78:79], v[82:83], v[66:67]
	;; [unrolled: 1-line block ×8, first 2 shown]
	v_lshlrev_b64 v[64:65], 4, v[102:103]
	v_subrev_nc_u32_e32 v102, s12, v107
	s_delay_alu instid0(VALU_DEP_2) | instskip(NEXT) | instid1(VALU_DEP_3)
	v_add_co_u32 v82, vcc_lo, s4, v64
	v_add_co_ci_u32_e32 v83, vcc_lo, s5, v65, vcc_lo
	s_delay_alu instid0(VALU_DEP_3)
	v_lshlrev_b32_e32 v102, 2, v102
	global_load_b128 v[64:67], v[82:83], off
	v_ashrrev_i32_e32 v103, 31, v102
	s_waitcnt vmcnt(12)
	v_fma_f64 v[74:75], v[92:93], 0, v[76:77]
	v_fma_f64 v[76:77], v[92:93], 0, v[78:79]
	v_fma_f64 v[68:69], v[84:85], v[92:93], v[68:69]
	v_fma_f64 v[70:71], v[86:87], v[92:93], v[70:71]
	v_fma_f64 v[78:79], v[88:89], v[92:93], v[96:97]
	v_fma_f64 v[72:73], v[92:93], 0, v[72:73]
	v_fma_f64 v[96:97], v[90:91], v[92:93], v[98:99]
	v_fma_f64 v[14:15], v[92:93], 0, v[14:15]
	v_fma_f64 v[84:85], v[84:85], v[94:95], v[74:75]
	v_fma_f64 v[86:87], v[86:87], v[94:95], v[76:77]
	v_fma_f64 v[92:93], 0x80000000, v[94:95], v[68:69]
	v_fma_f64 v[98:99], 0x80000000, v[94:95], v[70:71]
	v_fma_f64 v[100:101], 0x80000000, v[94:95], v[78:79]
	v_fma_f64 v[88:89], v[88:89], v[94:95], v[72:73]
	v_fma_f64 v[96:97], 0x80000000, v[94:95], v[96:97]
	v_fma_f64 v[14:15], v[90:91], v[94:95], v[14:15]
	s_clause 0x1
	global_load_b128 v[68:71], v[80:81], off offset:32
	global_load_b128 v[72:75], v[80:81], off offset:48
	global_load_b128 v[76:79], v[82:83], off offset:16
	s_waitcnt vmcnt(12)
	v_fma_f64 v[84:85], v[10:11], 0, v[84:85]
	v_fma_f64 v[86:87], v[10:11], 0, v[86:87]
	v_fma_f64 v[90:91], v[6:7], v[10:11], v[92:93]
	v_fma_f64 v[92:93], v[8:9], v[10:11], v[98:99]
	v_fma_f64 v[94:95], v[2:3], v[10:11], v[100:101]
	v_fma_f64 v[88:89], v[10:11], 0, v[88:89]
	v_fma_f64 v[96:97], v[4:5], v[10:11], v[96:97]
	v_fma_f64 v[10:11], v[10:11], 0, v[14:15]
	v_fma_f64 v[14:15], v[6:7], v[12:13], v[84:85]
	v_fma_f64 v[84:85], v[8:9], v[12:13], v[86:87]
	v_fma_f64 v[86:87], 0x80000000, v[12:13], v[90:91]
	v_fma_f64 v[90:91], 0x80000000, v[12:13], v[92:93]
	v_fma_f64 v[92:93], 0x80000000, v[12:13], v[94:95]
	v_fma_f64 v[88:89], v[2:3], v[12:13], v[88:89]
	v_fma_f64 v[94:95], 0x80000000, v[12:13], v[96:97]
	v_fma_f64 v[96:97], v[4:5], v[12:13], v[10:11]
	s_clause 0x1
	global_load_b128 v[2:5], v[80:81], off offset:80
	global_load_b128 v[6:9], v[80:81], off offset:64
	global_load_b128 v[10:13], v[82:83], off offset:32
	;; [unrolled: 21-line block ×3, first 2 shown]
	s_waitcnt vmcnt(14)
	v_fma_f64 v[14:15], v[43:44], 0, v[14:15]
	v_fma_f64 v[98:99], v[43:44], 0, v[84:85]
	s_waitcnt vmcnt(13)
	v_fma_f64 v[100:101], v[47:48], v[43:44], v[86:87]
	v_fma_f64 v[90:91], v[49:50], v[43:44], v[90:91]
	;; [unrolled: 3-line block ×3, first 2 shown]
	v_fma_f64 v[94:95], v[53:54], v[43:44], v[94:95]
	v_fma_f64 v[43:44], v[43:44], 0, v[96:97]
	v_add_co_u32 v96, vcc_lo, 0x6000, v29
	v_add_co_ci_u32_e32 v97, vcc_lo, 0, v30, vcc_lo
	s_clause 0x1
	global_load_b128 v[80:83], v[96:97], off
	global_load_b128 v[84:87], v[96:97], off offset:16
	v_add_co_u32 v29, s0, 0x8000, v29
	s_delay_alu instid0(VALU_DEP_1)
	v_add_co_ci_u32_e64 v30, s0, 0, v30, s0
	v_fma_f64 v[14:15], v[47:48], v[45:46], v[14:15]
	v_fma_f64 v[47:48], v[49:50], v[45:46], v[98:99]
	v_fma_f64 v[49:50], 0x80000000, v[45:46], v[100:101]
	v_fma_f64 v[90:91], 0x80000000, v[45:46], v[90:91]
	v_fma_f64 v[92:93], 0x80000000, v[45:46], v[92:93]
	v_fma_f64 v[51:52], v[51:52], v[45:46], v[88:89]
	v_fma_f64 v[88:89], 0x80000000, v[45:46], v[94:95]
	v_fma_f64 v[53:54], v[53:54], v[45:46], v[43:44]
	v_lshlrev_b64 v[43:44], 4, v[102:103]
	s_delay_alu instid0(VALU_DEP_1) | instskip(NEXT) | instid1(VALU_DEP_2)
	v_add_co_u32 v94, vcc_lo, s4, v43
	v_add_co_ci_u32_e32 v95, vcc_lo, s5, v44, vcc_lo
	v_add_co_u32 v25, vcc_lo, 0x100, v25
	v_add_co_ci_u32_e32 v26, vcc_lo, 0, v26, vcc_lo
	global_load_b128 v[43:46], v[94:95], off
	v_add_co_u32 v0, vcc_lo, 0x400, v0
	v_add_co_ci_u32_e32 v1, vcc_lo, 0, v1, vcc_lo
	v_cmp_ge_i64_e32 vcc_lo, v[25:26], v[27:28]
	s_or_b32 s7, vcc_lo, s7
	s_waitcnt vmcnt(12)
	v_fma_f64 v[14:15], v[64:65], 0, v[14:15]
	v_fma_f64 v[47:48], v[64:65], 0, v[47:48]
	v_fma_f64 v[49:50], v[56:57], v[64:65], v[49:50]
	v_fma_f64 v[90:91], v[58:59], v[64:65], v[90:91]
	v_fma_f64 v[92:93], v[60:61], v[64:65], v[92:93]
	v_fma_f64 v[51:52], v[64:65], 0, v[51:52]
	v_fma_f64 v[88:89], v[62:63], v[64:65], v[88:89]
	v_fma_f64 v[53:54], v[64:65], 0, v[53:54]
	v_fma_f64 v[14:15], v[56:57], v[66:67], v[14:15]
	v_fma_f64 v[98:99], v[58:59], v[66:67], v[47:48]
	v_fma_f64 v[64:65], 0x80000000, v[66:67], v[49:50]
	v_fma_f64 v[90:91], 0x80000000, v[66:67], v[90:91]
	v_fma_f64 v[92:93], 0x80000000, v[66:67], v[92:93]
	v_fma_f64 v[60:61], v[60:61], v[66:67], v[51:52]
	v_fma_f64 v[88:89], 0x80000000, v[66:67], v[88:89]
	v_fma_f64 v[62:63], v[62:63], v[66:67], v[53:54]
	s_clause 0x1
	global_load_b128 v[47:50], v[96:97], off offset:32
	global_load_b128 v[51:54], v[96:97], off offset:48
	global_load_b128 v[56:59], v[94:95], off offset:16
	s_waitcnt vmcnt(12)
	v_fma_f64 v[14:15], v[76:77], 0, v[14:15]
	v_fma_f64 v[64:65], v[68:69], v[76:77], v[64:65]
	v_fma_f64 v[66:67], v[70:71], v[76:77], v[90:91]
	v_fma_f64 v[90:91], v[76:77], 0, v[98:99]
	v_fma_f64 v[92:93], v[72:73], v[76:77], v[92:93]
	v_fma_f64 v[60:61], v[76:77], 0, v[60:61]
	v_fma_f64 v[88:89], v[74:75], v[76:77], v[88:89]
	v_fma_f64 v[62:63], v[76:77], 0, v[62:63]
	v_fma_f64 v[14:15], v[68:69], v[78:79], v[14:15]
	v_fma_f64 v[76:77], 0x80000000, v[78:79], v[64:65]
	v_fma_f64 v[98:99], 0x80000000, v[78:79], v[66:67]
	v_fma_f64 v[90:91], v[70:71], v[78:79], v[90:91]
	v_fma_f64 v[92:93], 0x80000000, v[78:79], v[92:93]
	v_fma_f64 v[72:73], v[72:73], v[78:79], v[60:61]
	v_fma_f64 v[88:89], 0x80000000, v[78:79], v[88:89]
	v_fma_f64 v[74:75], v[74:75], v[78:79], v[62:63]
	s_clause 0x1
	global_load_b128 v[60:63], v[96:97], off offset:80
	global_load_b128 v[64:67], v[96:97], off offset:64
	global_load_b128 v[68:71], v[94:95], off offset:32
	s_waitcnt vmcnt(12)
	v_fma_f64 v[14:15], v[10:11], 0, v[14:15]
	v_fma_f64 v[76:77], v[6:7], v[10:11], v[76:77]
	v_fma_f64 v[78:79], v[8:9], v[10:11], v[98:99]
	v_fma_f64 v[90:91], v[10:11], 0, v[90:91]
	v_fma_f64 v[92:93], v[2:3], v[10:11], v[92:93]
	v_fma_f64 v[72:73], v[10:11], 0, v[72:73]
	v_fma_f64 v[88:89], v[4:5], v[10:11], v[88:89]
	v_fma_f64 v[10:11], v[10:11], 0, v[74:75]
	v_fma_f64 v[14:15], v[6:7], v[12:13], v[14:15]
	v_fma_f64 v[74:75], 0x80000000, v[12:13], v[76:77]
	v_fma_f64 v[76:77], 0x80000000, v[12:13], v[78:79]
	v_fma_f64 v[78:79], v[8:9], v[12:13], v[90:91]
	v_fma_f64 v[90:91], 0x80000000, v[12:13], v[92:93]
	v_fma_f64 v[72:73], v[2:3], v[12:13], v[72:73]
	v_fma_f64 v[88:89], 0x80000000, v[12:13], v[88:89]
	v_fma_f64 v[92:93], v[4:5], v[12:13], v[10:11]
	s_clause 0x1
	global_load_b128 v[2:5], v[96:97], off offset:96
	global_load_b128 v[6:9], v[96:97], off offset:112
	global_load_b128 v[10:13], v[94:95], off offset:48
	s_waitcnt vmcnt(12)
	v_fma_f64 v[14:15], v[39:40], 0, v[14:15]
	v_fma_f64 v[74:75], v[31:32], v[39:40], v[74:75]
	v_fma_f64 v[76:77], v[33:34], v[39:40], v[76:77]
	v_fma_f64 v[78:79], v[39:40], 0, v[78:79]
	v_fma_f64 v[90:91], v[35:36], v[39:40], v[90:91]
	v_fma_f64 v[72:73], v[39:40], 0, v[72:73]
	v_fma_f64 v[88:89], v[37:38], v[39:40], v[88:89]
	v_fma_f64 v[39:40], v[39:40], 0, v[92:93]
	v_fma_f64 v[14:15], v[31:32], v[41:42], v[14:15]
	v_fma_f64 v[74:75], 0x80000000, v[41:42], v[74:75]
	v_fma_f64 v[31:32], 0x80000000, v[41:42], v[76:77]
	v_fma_f64 v[33:34], v[33:34], v[41:42], v[78:79]
	v_fma_f64 v[76:77], 0x80000000, v[41:42], v[90:91]
	v_fma_f64 v[35:36], v[35:36], v[41:42], v[72:73]
	v_fma_f64 v[72:73], 0x80000000, v[41:42], v[88:89]
	v_fma_f64 v[37:38], v[37:38], v[41:42], v[39:40]
	s_waitcnt vmcnt(9)
	v_fma_f64 v[14:15], v[43:44], 0, v[14:15]
	v_fma_f64 v[39:40], v[80:81], v[43:44], v[74:75]
	v_fma_f64 v[31:32], v[82:83], v[43:44], v[31:32]
	v_fma_f64 v[33:34], v[43:44], 0, v[33:34]
	v_fma_f64 v[41:42], v[84:85], v[43:44], v[76:77]
	v_fma_f64 v[35:36], v[43:44], 0, v[35:36]
	v_fma_f64 v[72:73], v[86:87], v[43:44], v[72:73]
	v_fma_f64 v[37:38], v[43:44], 0, v[37:38]
	v_fma_f64 v[14:15], v[80:81], v[45:46], v[14:15]
	v_fma_f64 v[39:40], 0x80000000, v[45:46], v[39:40]
	v_fma_f64 v[31:32], 0x80000000, v[45:46], v[31:32]
	v_fma_f64 v[33:34], v[82:83], v[45:46], v[33:34]
	v_fma_f64 v[41:42], 0x80000000, v[45:46], v[41:42]
	v_fma_f64 v[35:36], v[84:85], v[45:46], v[35:36]
	v_fma_f64 v[43:44], 0x80000000, v[45:46], v[72:73]
	v_fma_f64 v[37:38], v[86:87], v[45:46], v[37:38]
	s_waitcnt vmcnt(6)
	v_fma_f64 v[14:15], v[56:57], 0, v[14:15]
	v_fma_f64 v[39:40], v[47:48], v[56:57], v[39:40]
	v_fma_f64 v[31:32], v[49:50], v[56:57], v[31:32]
	v_fma_f64 v[33:34], v[56:57], 0, v[33:34]
	v_fma_f64 v[41:42], v[51:52], v[56:57], v[41:42]
	v_fma_f64 v[35:36], v[56:57], 0, v[35:36]
	v_fma_f64 v[43:44], v[53:54], v[56:57], v[43:44]
	v_fma_f64 v[37:38], v[56:57], 0, v[37:38]
	v_fma_f64 v[14:15], v[47:48], v[58:59], v[14:15]
	v_fma_f64 v[39:40], 0x80000000, v[58:59], v[39:40]
	v_fma_f64 v[31:32], 0x80000000, v[58:59], v[31:32]
	v_fma_f64 v[33:34], v[49:50], v[58:59], v[33:34]
	v_fma_f64 v[41:42], 0x80000000, v[58:59], v[41:42]
	v_fma_f64 v[35:36], v[51:52], v[58:59], v[35:36]
	v_fma_f64 v[43:44], 0x80000000, v[58:59], v[43:44]
	v_fma_f64 v[37:38], v[53:54], v[58:59], v[37:38]
	s_waitcnt vmcnt(3)
	v_fma_f64 v[14:15], v[68:69], 0, v[14:15]
	v_fma_f64 v[39:40], v[64:65], v[68:69], v[39:40]
	v_fma_f64 v[31:32], v[66:67], v[68:69], v[31:32]
	v_fma_f64 v[33:34], v[68:69], 0, v[33:34]
	v_fma_f64 v[41:42], v[60:61], v[68:69], v[41:42]
	v_fma_f64 v[35:36], v[68:69], 0, v[35:36]
	v_fma_f64 v[43:44], v[62:63], v[68:69], v[43:44]
	v_fma_f64 v[37:38], v[68:69], 0, v[37:38]
	v_fma_f64 v[14:15], v[64:65], v[70:71], v[14:15]
	v_fma_f64 v[39:40], 0x80000000, v[70:71], v[39:40]
	v_fma_f64 v[31:32], 0x80000000, v[70:71], v[31:32]
	v_fma_f64 v[33:34], v[66:67], v[70:71], v[33:34]
	v_fma_f64 v[41:42], 0x80000000, v[70:71], v[41:42]
	v_fma_f64 v[35:36], v[60:61], v[70:71], v[35:36]
	v_fma_f64 v[43:44], 0x80000000, v[70:71], v[43:44]
	v_fma_f64 v[37:38], v[62:63], v[70:71], v[37:38]
	s_waitcnt vmcnt(0)
	v_fma_f64 v[14:15], v[10:11], 0, v[14:15]
	v_fma_f64 v[39:40], v[2:3], v[10:11], v[39:40]
	v_fma_f64 v[31:32], v[4:5], v[10:11], v[31:32]
	v_fma_f64 v[33:34], v[10:11], 0, v[33:34]
	v_fma_f64 v[47:48], v[6:7], v[10:11], v[41:42]
	v_fma_f64 v[49:50], v[10:11], 0, v[35:36]
	v_fma_f64 v[51:52], v[8:9], v[10:11], v[43:44]
	v_fma_f64 v[10:11], v[10:11], 0, v[37:38]
	v_fma_f64 v[35:36], v[2:3], v[12:13], v[14:15]
	v_fma_f64 v[41:42], 0x80000000, v[12:13], v[39:40]
	v_fma_f64 v[43:44], 0x80000000, v[12:13], v[31:32]
	v_fma_f64 v[45:46], v[4:5], v[12:13], v[33:34]
	v_fma_f64 v[39:40], 0x80000000, v[12:13], v[47:48]
	v_fma_f64 v[37:38], v[6:7], v[12:13], v[49:50]
	v_fma_f64 v[31:32], 0x80000000, v[12:13], v[51:52]
	v_fma_f64 v[33:34], v[8:9], v[12:13], v[10:11]
	s_and_not1_b32 exec_lo, exec_lo, s7
	s_cbranch_execnz .LBB144_35
; %bb.36:
	s_or_b32 exec_lo, exec_lo, s7
.LBB144_37:
	s_delay_alu instid0(SALU_CYCLE_1)
	s_or_b32 exec_lo, exec_lo, s6
.LBB144_38:
	s_delay_alu instid0(SALU_CYCLE_1)
	s_or_b32 exec_lo, exec_lo, s1
.LBB144_39:
	v_mbcnt_lo_u32_b32 v47, -1, 0
	s_delay_alu instid0(VALU_DEP_1) | instskip(SKIP_1) | instid1(VALU_DEP_2)
	v_or_b32_e32 v0, 32, v47
	v_xor_b32_e32 v25, 16, v47
	v_cmp_gt_i32_e32 vcc_lo, 32, v0
	v_cndmask_b32_e32 v0, v47, v0, vcc_lo
	s_delay_alu instid0(VALU_DEP_3) | instskip(NEXT) | instid1(VALU_DEP_2)
	v_cmp_gt_i32_e32 vcc_lo, 32, v25
	v_lshlrev_b32_e32 v15, 2, v0
	v_cndmask_b32_e32 v25, v47, v25, vcc_lo
	ds_bpermute_b32 v0, v15, v41
	ds_bpermute_b32 v1, v15, v42
	;; [unrolled: 1-line block ×16, first 2 shown]
	s_waitcnt lgkmcnt(0)
	v_add_f64 v[0:1], v[41:42], v[0:1]
	v_add_f64 v[2:3], v[35:36], v[2:3]
	;; [unrolled: 1-line block ×5, first 2 shown]
	v_lshlrev_b32_e32 v40, 2, v25
	v_add_f64 v[10:11], v[37:38], v[10:11]
	v_add_f64 v[12:13], v[31:32], v[12:13]
	;; [unrolled: 1-line block ×3, first 2 shown]
	ds_bpermute_b32 v25, v40, v0
	ds_bpermute_b32 v26, v40, v1
	;; [unrolled: 1-line block ×16, first 2 shown]
	s_waitcnt lgkmcnt(14)
	v_add_f64 v[0:1], v[0:1], v[25:26]
	v_xor_b32_e32 v25, 8, v47
	s_waitcnt lgkmcnt(12)
	v_add_f64 v[2:3], v[2:3], v[27:28]
	s_waitcnt lgkmcnt(10)
	v_add_f64 v[4:5], v[4:5], v[29:30]
	s_waitcnt lgkmcnt(8)
	v_add_f64 v[6:7], v[6:7], v[31:32]
	v_cmp_gt_i32_e32 vcc_lo, 32, v25
	s_waitcnt lgkmcnt(6)
	v_add_f64 v[8:9], v[8:9], v[33:34]
	s_waitcnt lgkmcnt(4)
	v_add_f64 v[10:11], v[10:11], v[35:36]
	;; [unrolled: 2-line block ×3, first 2 shown]
	v_cndmask_b32_e32 v25, v47, v25, vcc_lo
	s_waitcnt lgkmcnt(0)
	v_add_f64 v[14:15], v[14:15], v[39:40]
	s_delay_alu instid0(VALU_DEP_2)
	v_lshlrev_b32_e32 v40, 2, v25
	ds_bpermute_b32 v25, v40, v0
	ds_bpermute_b32 v26, v40, v1
	ds_bpermute_b32 v27, v40, v2
	ds_bpermute_b32 v28, v40, v3
	ds_bpermute_b32 v29, v40, v4
	ds_bpermute_b32 v30, v40, v5
	ds_bpermute_b32 v31, v40, v6
	ds_bpermute_b32 v32, v40, v7
	ds_bpermute_b32 v33, v40, v8
	ds_bpermute_b32 v34, v40, v9
	ds_bpermute_b32 v35, v40, v10
	ds_bpermute_b32 v36, v40, v11
	ds_bpermute_b32 v37, v40, v12
	ds_bpermute_b32 v38, v40, v13
	ds_bpermute_b32 v39, v40, v14
	ds_bpermute_b32 v40, v40, v15
	s_waitcnt lgkmcnt(14)
	v_add_f64 v[0:1], v[0:1], v[25:26]
	v_xor_b32_e32 v25, 4, v47
	s_waitcnt lgkmcnt(12)
	v_add_f64 v[2:3], v[2:3], v[27:28]
	s_waitcnt lgkmcnt(10)
	v_add_f64 v[4:5], v[4:5], v[29:30]
	;; [unrolled: 2-line block ×3, first 2 shown]
	v_cmp_gt_i32_e32 vcc_lo, 32, v25
	s_waitcnt lgkmcnt(6)
	v_add_f64 v[8:9], v[8:9], v[33:34]
	s_waitcnt lgkmcnt(4)
	v_add_f64 v[10:11], v[10:11], v[35:36]
	;; [unrolled: 2-line block ×3, first 2 shown]
	v_cndmask_b32_e32 v25, v47, v25, vcc_lo
	s_waitcnt lgkmcnt(0)
	v_add_f64 v[14:15], v[14:15], v[39:40]
	s_delay_alu instid0(VALU_DEP_2)
	v_lshlrev_b32_e32 v40, 2, v25
	ds_bpermute_b32 v25, v40, v0
	ds_bpermute_b32 v26, v40, v1
	;; [unrolled: 1-line block ×16, first 2 shown]
	s_waitcnt lgkmcnt(14)
	v_add_f64 v[0:1], v[0:1], v[25:26]
	s_waitcnt lgkmcnt(12)
	v_add_f64 v[2:3], v[2:3], v[27:28]
	;; [unrolled: 2-line block ×8, first 2 shown]
	v_xor_b32_e32 v14, 2, v47
	s_delay_alu instid0(VALU_DEP_1) | instskip(SKIP_1) | instid1(VALU_DEP_1)
	v_cmp_gt_i32_e32 vcc_lo, 32, v14
	v_cndmask_b32_e32 v14, v47, v14, vcc_lo
	v_lshlrev_b32_e32 v40, 2, v14
	ds_bpermute_b32 v14, v40, v0
	ds_bpermute_b32 v15, v40, v1
	;; [unrolled: 1-line block ×16, first 2 shown]
	s_waitcnt lgkmcnt(14)
	v_add_f64 v[0:1], v[0:1], v[14:15]
	s_waitcnt lgkmcnt(12)
	v_add_f64 v[27:28], v[2:3], v[27:28]
	;; [unrolled: 2-line block ×7, first 2 shown]
	v_xor_b32_e32 v12, 1, v47
	s_waitcnt lgkmcnt(0)
	v_add_f64 v[8:9], v[25:26], v[39:40]
	s_delay_alu instid0(VALU_DEP_2) | instskip(SKIP_2) | instid1(VALU_DEP_2)
	v_cmp_gt_i32_e32 vcc_lo, 32, v12
	v_cndmask_b32_e32 v12, v47, v12, vcc_lo
	v_cmp_eq_u32_e32 vcc_lo, 63, v55
	v_lshlrev_b32_e32 v34, 2, v12
	ds_bpermute_b32 v12, v34, v0
	ds_bpermute_b32 v13, v34, v1
	;; [unrolled: 1-line block ×16, first 2 shown]
	s_and_b32 exec_lo, exec_lo, vcc_lo
	s_cbranch_execz .LBB144_12
; %bb.40:
	s_waitcnt lgkmcnt(12)
	v_add_f64 v[27:28], v[27:28], v[39:40]
	s_waitcnt lgkmcnt(8)
	v_add_f64 v[14:15], v[14:15], v[37:38]
	;; [unrolled: 2-line block ×4, first 2 shown]
	v_add_f64 v[0:1], v[0:1], v[12:13]
	v_add_f64 v[2:3], v[2:3], v[25:26]
	;; [unrolled: 1-line block ×4, first 2 shown]
	v_cmp_eq_f64_e32 vcc_lo, 0, v[16:17]
	v_cmp_eq_f64_e64 s0, 0, v[18:19]
	s_load_b64 s[2:3], s[2:3], 0x60
	v_mul_f64 v[4:5], v[27:28], -v[22:23]
	v_mul_f64 v[6:7], v[20:21], v[27:28]
	v_mul_f64 v[27:28], v[14:15], -v[22:23]
	v_mul_f64 v[31:32], v[20:21], v[14:15]
	;; [unrolled: 2-line block ×4, first 2 shown]
	s_and_b32 s0, vcc_lo, s0
	v_fma_f64 v[12:13], v[20:21], v[0:1], v[4:5]
	v_fma_f64 v[14:15], v[22:23], v[0:1], v[6:7]
	;; [unrolled: 1-line block ×8, first 2 shown]
	v_lshlrev_b32_e32 v20, 2, v24
	s_and_saveexec_b32 s1, s0
	s_delay_alu instid0(SALU_CYCLE_1)
	s_xor_b32 s0, exec_lo, s1
	s_cbranch_execz .LBB144_42
; %bb.41:
	s_delay_alu instid0(VALU_DEP_1) | instskip(NEXT) | instid1(VALU_DEP_1)
	v_ashrrev_i32_e32 v21, 31, v20
                                        ; implicit-def: $vgpr18_vgpr19
	v_lshlrev_b64 v[16:17], 4, v[20:21]
                                        ; implicit-def: $vgpr20
	s_waitcnt lgkmcnt(0)
	s_delay_alu instid0(VALU_DEP_1) | instskip(NEXT) | instid1(VALU_DEP_2)
	v_add_co_u32 v16, vcc_lo, s2, v16
	v_add_co_ci_u32_e32 v17, vcc_lo, s3, v17, vcc_lo
	s_clause 0x3
	global_store_b128 v[16:17], v[12:15], off
	global_store_b128 v[16:17], v[8:11], off offset:16
	global_store_b128 v[16:17], v[4:7], off offset:32
	;; [unrolled: 1-line block ×3, first 2 shown]
                                        ; implicit-def: $vgpr16_vgpr17
                                        ; implicit-def: $vgpr12_vgpr13
                                        ; implicit-def: $vgpr8_vgpr9
                                        ; implicit-def: $vgpr4_vgpr5
                                        ; implicit-def: $vgpr0_vgpr1
.LBB144_42:
	s_and_not1_saveexec_b32 s0, s0
	s_cbranch_execz .LBB144_12
; %bb.43:
	v_ashrrev_i32_e32 v21, 31, v20
	s_delay_alu instid0(VALU_DEP_1) | instskip(SKIP_1) | instid1(VALU_DEP_1)
	v_lshlrev_b64 v[20:21], 4, v[20:21]
	s_waitcnt lgkmcnt(0)
	v_add_co_u32 v36, vcc_lo, s2, v20
	s_delay_alu instid0(VALU_DEP_2)
	v_add_co_ci_u32_e32 v37, vcc_lo, s3, v21, vcc_lo
	s_clause 0x3
	global_load_b128 v[20:23], v[36:37], off
	global_load_b128 v[24:27], v[36:37], off offset:16
	global_load_b128 v[28:31], v[36:37], off offset:32
	;; [unrolled: 1-line block ×3, first 2 shown]
	s_waitcnt vmcnt(3)
	v_fma_f64 v[12:13], v[16:17], v[20:21], v[12:13]
	v_fma_f64 v[14:15], v[18:19], v[20:21], v[14:15]
	s_waitcnt vmcnt(2)
	v_fma_f64 v[8:9], v[16:17], v[24:25], v[8:9]
	v_fma_f64 v[10:11], v[18:19], v[24:25], v[10:11]
	;; [unrolled: 3-line block ×4, first 2 shown]
	v_fma_f64 v[0:1], -v[18:19], v[22:23], v[12:13]
	v_fma_f64 v[2:3], v[16:17], v[22:23], v[14:15]
	v_fma_f64 v[4:5], -v[18:19], v[26:27], v[8:9]
	v_fma_f64 v[6:7], v[16:17], v[26:27], v[10:11]
	;; [unrolled: 2-line block ×4, first 2 shown]
	s_clause 0x3
	global_store_b128 v[36:37], v[0:3], off
	global_store_b128 v[36:37], v[4:7], off offset:16
	global_store_b128 v[36:37], v[8:11], off offset:32
	global_store_b128 v[36:37], v[12:15], off offset:48
	s_nop 0
	s_sendmsg sendmsg(MSG_DEALLOC_VGPRS)
	s_endpgm
	.section	.rodata,"a",@progbits
	.p2align	6, 0x0
	.amdhsa_kernel _ZN9rocsparseL18bsrxmvn_4x4_kernelILj128ELj64E21rocsparse_complex_numIdElidS2_S2_EEvT3_20rocsparse_direction_NS_24const_host_device_scalarIT1_EES3_PKS3_PKT2_SC_S9_PKT4_PKT5_S7_PT6_21rocsparse_index_base_b
		.amdhsa_group_segment_fixed_size 2048
		.amdhsa_private_segment_fixed_size 0
		.amdhsa_kernarg_size 112
		.amdhsa_user_sgpr_count 15
		.amdhsa_user_sgpr_dispatch_ptr 1
		.amdhsa_user_sgpr_queue_ptr 0
		.amdhsa_user_sgpr_kernarg_segment_ptr 1
		.amdhsa_user_sgpr_dispatch_id 0
		.amdhsa_user_sgpr_private_segment_size 0
		.amdhsa_wavefront_size32 1
		.amdhsa_uses_dynamic_stack 0
		.amdhsa_enable_private_segment 0
		.amdhsa_system_sgpr_workgroup_id_x 1
		.amdhsa_system_sgpr_workgroup_id_y 0
		.amdhsa_system_sgpr_workgroup_id_z 0
		.amdhsa_system_sgpr_workgroup_info 0
		.amdhsa_system_vgpr_workitem_id 2
		.amdhsa_next_free_vgpr 119
		.amdhsa_next_free_sgpr 18
		.amdhsa_reserve_vcc 1
		.amdhsa_float_round_mode_32 0
		.amdhsa_float_round_mode_16_64 0
		.amdhsa_float_denorm_mode_32 3
		.amdhsa_float_denorm_mode_16_64 3
		.amdhsa_dx10_clamp 1
		.amdhsa_ieee_mode 1
		.amdhsa_fp16_overflow 0
		.amdhsa_workgroup_processor_mode 1
		.amdhsa_memory_ordered 1
		.amdhsa_forward_progress 0
		.amdhsa_shared_vgpr_count 0
		.amdhsa_exception_fp_ieee_invalid_op 0
		.amdhsa_exception_fp_denorm_src 0
		.amdhsa_exception_fp_ieee_div_zero 0
		.amdhsa_exception_fp_ieee_overflow 0
		.amdhsa_exception_fp_ieee_underflow 0
		.amdhsa_exception_fp_ieee_inexact 0
		.amdhsa_exception_int_div_zero 0
	.end_amdhsa_kernel
	.section	.text._ZN9rocsparseL18bsrxmvn_4x4_kernelILj128ELj64E21rocsparse_complex_numIdElidS2_S2_EEvT3_20rocsparse_direction_NS_24const_host_device_scalarIT1_EES3_PKS3_PKT2_SC_S9_PKT4_PKT5_S7_PT6_21rocsparse_index_base_b,"axG",@progbits,_ZN9rocsparseL18bsrxmvn_4x4_kernelILj128ELj64E21rocsparse_complex_numIdElidS2_S2_EEvT3_20rocsparse_direction_NS_24const_host_device_scalarIT1_EES3_PKS3_PKT2_SC_S9_PKT4_PKT5_S7_PT6_21rocsparse_index_base_b,comdat
.Lfunc_end144:
	.size	_ZN9rocsparseL18bsrxmvn_4x4_kernelILj128ELj64E21rocsparse_complex_numIdElidS2_S2_EEvT3_20rocsparse_direction_NS_24const_host_device_scalarIT1_EES3_PKS3_PKT2_SC_S9_PKT4_PKT5_S7_PT6_21rocsparse_index_base_b, .Lfunc_end144-_ZN9rocsparseL18bsrxmvn_4x4_kernelILj128ELj64E21rocsparse_complex_numIdElidS2_S2_EEvT3_20rocsparse_direction_NS_24const_host_device_scalarIT1_EES3_PKS3_PKT2_SC_S9_PKT4_PKT5_S7_PT6_21rocsparse_index_base_b
                                        ; -- End function
	.section	.AMDGPU.csdata,"",@progbits
; Kernel info:
; codeLenInByte = 11688
; NumSgprs: 20
; NumVgprs: 119
; ScratchSize: 0
; MemoryBound: 0
; FloatMode: 240
; IeeeMode: 1
; LDSByteSize: 2048 bytes/workgroup (compile time only)
; SGPRBlocks: 2
; VGPRBlocks: 14
; NumSGPRsForWavesPerEU: 20
; NumVGPRsForWavesPerEU: 119
; Occupancy: 12
; WaveLimiterHint : 1
; COMPUTE_PGM_RSRC2:SCRATCH_EN: 0
; COMPUTE_PGM_RSRC2:USER_SGPR: 15
; COMPUTE_PGM_RSRC2:TRAP_HANDLER: 0
; COMPUTE_PGM_RSRC2:TGID_X_EN: 1
; COMPUTE_PGM_RSRC2:TGID_Y_EN: 0
; COMPUTE_PGM_RSRC2:TGID_Z_EN: 0
; COMPUTE_PGM_RSRC2:TIDIG_COMP_CNT: 2
	.section	.text._ZN9rocsparseL18bsrxmvn_4x4_kernelILj128ELj4E21rocsparse_complex_numIdElldS2_S2_EEvT3_20rocsparse_direction_NS_24const_host_device_scalarIT1_EES3_PKS3_PKT2_SC_S9_PKT4_PKT5_S7_PT6_21rocsparse_index_base_b,"axG",@progbits,_ZN9rocsparseL18bsrxmvn_4x4_kernelILj128ELj4E21rocsparse_complex_numIdElldS2_S2_EEvT3_20rocsparse_direction_NS_24const_host_device_scalarIT1_EES3_PKS3_PKT2_SC_S9_PKT4_PKT5_S7_PT6_21rocsparse_index_base_b,comdat
	.globl	_ZN9rocsparseL18bsrxmvn_4x4_kernelILj128ELj4E21rocsparse_complex_numIdElldS2_S2_EEvT3_20rocsparse_direction_NS_24const_host_device_scalarIT1_EES3_PKS3_PKT2_SC_S9_PKT4_PKT5_S7_PT6_21rocsparse_index_base_b ; -- Begin function _ZN9rocsparseL18bsrxmvn_4x4_kernelILj128ELj4E21rocsparse_complex_numIdElldS2_S2_EEvT3_20rocsparse_direction_NS_24const_host_device_scalarIT1_EES3_PKS3_PKT2_SC_S9_PKT4_PKT5_S7_PT6_21rocsparse_index_base_b
	.p2align	8
	.type	_ZN9rocsparseL18bsrxmvn_4x4_kernelILj128ELj4E21rocsparse_complex_numIdElldS2_S2_EEvT3_20rocsparse_direction_NS_24const_host_device_scalarIT1_EES3_PKS3_PKT2_SC_S9_PKT4_PKT5_S7_PT6_21rocsparse_index_base_b,@function
_ZN9rocsparseL18bsrxmvn_4x4_kernelILj128ELj4E21rocsparse_complex_numIdElldS2_S2_EEvT3_20rocsparse_direction_NS_24const_host_device_scalarIT1_EES3_PKS3_PKT2_SC_S9_PKT4_PKT5_S7_PT6_21rocsparse_index_base_b: ; @_ZN9rocsparseL18bsrxmvn_4x4_kernelILj128ELj4E21rocsparse_complex_numIdElldS2_S2_EEvT3_20rocsparse_direction_NS_24const_host_device_scalarIT1_EES3_PKS3_PKT2_SC_S9_PKT4_PKT5_S7_PT6_21rocsparse_index_base_b
; %bb.0:
	s_load_b64 s[12:13], s[2:3], 0x70
	s_load_b64 s[16:17], s[0:1], 0x4
	s_load_b128 s[8:11], s[2:3], 0x10
	v_bfe_u32 v1, v0, 10, 10
	s_mov_b64 s[0:1], src_shared_base
	s_load_b128 s[4:7], s[2:3], 0x58
	v_and_b32_e32 v2, 0x3ff, v0
	v_bfe_u32 v0, v0, 20, 10
	s_waitcnt lgkmcnt(0)
	s_bitcmp1_b32 s13, 0
	v_mul_u32_u24_e32 v1, s17, v1
	v_mov_b32_e32 v3, s8
	s_cselect_b32 s0, -1, 0
	v_mov_b32_e32 v23, s11
	s_and_b32 vcc_lo, s0, exec_lo
	s_cselect_b32 s13, s1, s9
	s_lshr_b32 s14, s16, 16
	v_dual_mov_b32 v6, s5 :: v_dual_mov_b32 v5, s4
	s_mul_i32 s14, s14, s17
	v_mov_b32_e32 v8, s13
	v_mad_u32_u24 v1, s14, v2, v1
	v_mov_b32_e32 v22, s10
	s_xor_b32 s10, s0, -1
	v_mov_b32_e32 v4, s9
	s_delay_alu instid0(VALU_DEP_3) | instskip(NEXT) | instid1(VALU_DEP_1)
	v_add_lshl_u32 v0, v1, v0, 3
	v_add_nc_u32_e32 v1, 0x400, v0
	ds_store_2addr_stride64_b64 v0, v[5:6], v[3:4] offset1:2
	v_cndmask_b32_e64 v7, s8, v1, s0
	flat_load_b64 v[20:21], v[7:8]
	s_cbranch_vccnz .LBB145_2
; %bb.1:
	v_dual_mov_b32 v3, s8 :: v_dual_mov_b32 v4, s9
	flat_load_b64 v[22:23], v[3:4] offset:8
.LBB145_2:
	s_and_b32 s8, s0, exec_lo
	s_cselect_b32 s1, s1, s5
	v_cndmask_b32_e64 v0, s4, v0, s0
	v_mov_b32_e32 v1, s1
	v_dual_mov_b32 v19, s7 :: v_dual_mov_b32 v18, s6
	s_and_not1_b32 vcc_lo, exec_lo, s10
	flat_load_b64 v[16:17], v[0:1]
	s_cbranch_vccnz .LBB145_4
; %bb.3:
	v_dual_mov_b32 v0, s4 :: v_dual_mov_b32 v1, s5
	flat_load_b64 v[18:19], v[0:1] offset:8
.LBB145_4:
	s_waitcnt vmcnt(1) lgkmcnt(1)
	v_cmp_eq_f64_e32 vcc_lo, 0, v[20:21]
	v_cmp_eq_f64_e64 s0, 0, v[22:23]
	s_delay_alu instid0(VALU_DEP_1)
	s_and_b32 s4, vcc_lo, s0
	s_mov_b32 s0, -1
	s_and_saveexec_b32 s1, s4
	s_cbranch_execz .LBB145_6
; %bb.5:
	s_waitcnt vmcnt(0) lgkmcnt(0)
	v_cmp_neq_f64_e32 vcc_lo, 1.0, v[16:17]
	v_cmp_neq_f64_e64 s0, 0, v[18:19]
	s_delay_alu instid0(VALU_DEP_1) | instskip(NEXT) | instid1(SALU_CYCLE_1)
	s_or_b32 s0, vcc_lo, s0
	s_or_not1_b32 s0, s0, exec_lo
.LBB145_6:
	s_or_b32 exec_lo, exec_lo, s1
	s_and_saveexec_b32 s1, s0
	s_cbranch_execz .LBB145_12
; %bb.7:
	s_load_b64 s[0:1], s[2:3], 0x28
	v_lshrrev_b32_e32 v0, 2, v2
	v_mov_b32_e32 v1, 0
	s_mov_b32 s4, 0
	s_delay_alu instid0(VALU_DEP_2)
	v_lshl_or_b32 v0, s15, 5, v0
	s_waitcnt lgkmcnt(0)
	s_cmp_lg_u64 s[0:1], 0
	s_cbranch_scc0 .LBB145_13
; %bb.8:
	s_load_b64 s[4:5], s[2:3], 0x20
                                        ; implicit-def: $vgpr24_vgpr25
	s_waitcnt lgkmcnt(0)
	v_cmp_gt_i64_e32 vcc_lo, s[4:5], v[0:1]
	s_mov_b32 s5, 0
	s_mov_b32 s4, 0
	s_and_saveexec_b32 s6, vcc_lo
	s_delay_alu instid0(SALU_CYCLE_1)
	s_xor_b32 s6, exec_lo, s6
                                        ; implicit-def: $sgpr14_sgpr15
	s_cbranch_execz .LBB145_10
; %bb.9:
	v_lshlrev_b64 v[3:4], 3, v[0:1]
	s_mov_b32 s4, exec_lo
	s_mov_b32 s15, 0
	s_delay_alu instid0(VALU_DEP_1) | instskip(NEXT) | instid1(VALU_DEP_2)
	v_add_co_u32 v3, vcc_lo, s0, v3
	v_add_co_ci_u32_e32 v4, vcc_lo, s1, v4, vcc_lo
	global_load_b64 v[3:4], v[3:4], off
	s_waitcnt vmcnt(0)
	v_sub_co_u32 v24, vcc_lo, v3, s12
	v_subrev_co_ci_u32_e32 v25, vcc_lo, 0, v4, vcc_lo
.LBB145_10:
	s_or_b32 exec_lo, exec_lo, s6
	s_delay_alu instid0(SALU_CYCLE_1)
	s_and_b32 vcc_lo, exec_lo, s5
	s_cbranch_vccnz .LBB145_14
.LBB145_11:
	s_and_b32 exec_lo, exec_lo, s4
	s_cbranch_execnz .LBB145_17
.LBB145_12:
	s_nop 0
	s_sendmsg sendmsg(MSG_DEALLOC_VGPRS)
	s_endpgm
.LBB145_13:
                                        ; implicit-def: $vgpr24_vgpr25
                                        ; implicit-def: $sgpr14_sgpr15
	s_cbranch_execz .LBB145_11
.LBB145_14:
	s_load_b64 s[0:1], s[2:3], 0x0
                                        ; implicit-def: $vgpr24_vgpr25
	s_waitcnt lgkmcnt(0)
	v_cmp_gt_i64_e32 vcc_lo, s[0:1], v[0:1]
	s_and_saveexec_b32 s0, vcc_lo
                                        ; implicit-def: $sgpr14_sgpr15
; %bb.15:
	v_dual_mov_b32 v25, v1 :: v_dual_mov_b32 v24, v0
	s_mov_b32 s15, 0
	s_or_b32 s4, s4, exec_lo
; %bb.16:
	s_or_b32 exec_lo, exec_lo, s0
	s_delay_alu instid0(SALU_CYCLE_1)
	s_and_b32 exec_lo, exec_lo, s4
	s_cbranch_execz .LBB145_12
.LBB145_17:
	s_load_b256 s[4:11], s[2:3], 0x30
	v_lshlrev_b64 v[0:1], 3, v[24:25]
	v_and_b32_e32 v58, 3, v2
	s_load_b32 s1, s[2:3], 0x8
	s_waitcnt lgkmcnt(0)
	s_delay_alu instid0(VALU_DEP_2) | instskip(NEXT) | instid1(VALU_DEP_3)
	v_add_co_u32 v3, vcc_lo, s4, v0
	v_add_co_ci_u32_e32 v4, vcc_lo, s5, v1, vcc_lo
	v_add_co_u32 v0, vcc_lo, s6, v0
	v_add_co_ci_u32_e32 v1, vcc_lo, s7, v1, vcc_lo
	s_delay_alu instid0(VALU_DEP_4) | instskip(NEXT) | instid1(VALU_DEP_4)
	v_add_co_u32 v5, vcc_lo, v3, 8
	v_add_co_ci_u32_e32 v6, vcc_lo, 0, v4, vcc_lo
	global_load_b64 v[48:49], v[3:4], off
	s_cmp_eq_u64 s[6:7], 0
	s_load_b64 s[4:5], s[2:3], 0x50
	s_cselect_b32 vcc_lo, -1, 0
	s_cmp_eq_u32 s1, 1
	v_dual_cndmask_b32 v1, v1, v6 :: v_dual_cndmask_b32 v0, v0, v5
	global_load_b64 v[0:1], v[0:1], off
	s_waitcnt vmcnt(1)
	v_sub_co_u32 v2, vcc_lo, v48, s12
	v_subrev_co_ci_u32_e32 v3, vcc_lo, s15, v49, vcc_lo
	s_delay_alu instid0(VALU_DEP_2) | instskip(NEXT) | instid1(VALU_DEP_2)
	v_add_co_u32 v26, vcc_lo, v2, v58
	v_add_co_ci_u32_e32 v27, vcc_lo, 0, v3, vcc_lo
	s_waitcnt vmcnt(0)
	v_sub_co_u32 v28, vcc_lo, v0, s12
	v_subrev_co_ci_u32_e32 v29, vcc_lo, s15, v1, vcc_lo
	s_delay_alu instid0(VALU_DEP_3) | instskip(NEXT) | instid1(VALU_DEP_2)
	v_lshlrev_b64 v[0:1], 7, v[26:27]
	v_cmp_lt_i64_e64 s0, v[26:27], v[28:29]
	s_delay_alu instid0(VALU_DEP_2) | instskip(NEXT) | instid1(VALU_DEP_3)
	v_add_co_u32 v30, vcc_lo, s10, v0
	v_add_co_ci_u32_e32 v31, vcc_lo, s11, v1, vcc_lo
	s_cbranch_scc1 .LBB145_29
; %bb.18:
	v_mov_b32_e32 v36, 0
	v_mov_b32_e32 v37, 0
	s_delay_alu instid0(VALU_DEP_2) | instskip(NEXT) | instid1(VALU_DEP_2)
	v_mov_b32_e32 v34, v36
	v_dual_mov_b32 v32, v36 :: v_dual_mov_b32 v33, v37
	v_dual_mov_b32 v43, v37 :: v_dual_mov_b32 v42, v36
	;; [unrolled: 1-line block ×6, first 2 shown]
	v_mov_b32_e32 v35, v37
	s_and_saveexec_b32 s6, s0
	s_cbranch_execz .LBB145_28
; %bb.19:
	v_or_b32_e32 v0, 4, v58
	v_not_b32_e32 v3, v48
	v_not_b32_e32 v2, v49
	v_dual_mov_b32 v32, 0 :: v_dual_mov_b32 v51, v31
	s_delay_alu instid0(VALU_DEP_4) | instskip(NEXT) | instid1(VALU_DEP_1)
	v_sub_co_u32 v0, s1, v0, s12
	v_sub_co_ci_u32_e64 v1, null, 0, s15, s1
	v_sub_co_u32 v4, s1, s12, v58
	s_delay_alu instid0(VALU_DEP_3) | instskip(NEXT) | instid1(VALU_DEP_3)
	v_add_co_u32 v0, vcc_lo, v0, v48
	v_add_co_ci_u32_e32 v1, vcc_lo, v1, v49, vcc_lo
	v_sub_co_ci_u32_e64 v5, null, s15, 0, s1
	s_mov_b32 s10, 0
	s_delay_alu instid0(VALU_DEP_2)
	v_cmp_gt_i64_e32 vcc_lo, v[0:1], v[28:29]
	s_mov_b32 s7, exec_lo
	v_dual_mov_b32 v53, v27 :: v_dual_mov_b32 v52, v26
	v_dual_cndmask_b32 v1, v29, v1 :: v_dual_cndmask_b32 v0, v28, v0
	v_add_co_u32 v3, vcc_lo, v4, v3
	v_add_co_ci_u32_e32 v2, vcc_lo, v5, v2, vcc_lo
	s_delay_alu instid0(VALU_DEP_2) | instskip(NEXT) | instid1(VALU_DEP_2)
	v_add_co_u32 v0, vcc_lo, v3, v0
	v_add_co_ci_u32_e32 v1, vcc_lo, v2, v1, vcc_lo
	s_delay_alu instid0(VALU_DEP_2) | instskip(NEXT) | instid1(VALU_DEP_1)
	v_lshrrev_b32_e32 v2, 2, v0
	v_dual_mov_b32 v33, 0 :: v_dual_add_nc_u32 v2, 1, v2
	s_delay_alu instid0(VALU_DEP_1)
	v_dual_mov_b32 v50, v30 :: v_dual_mov_b32 v35, v33
	v_dual_mov_b32 v34, v32 :: v_dual_mov_b32 v41, v33
	;; [unrolled: 1-line block ×4, first 2 shown]
	v_dual_mov_b32 v47, v33 :: v_dual_and_b32 v2, 3, v2
	v_dual_mov_b32 v44, v32 :: v_dual_mov_b32 v43, v33
	v_dual_mov_b32 v46, v32 :: v_dual_mov_b32 v37, v33
	v_mov_b32_e32 v42, v32
	v_mov_b32_e32 v36, v32
	v_cmpx_ne_u32_e32 0, v2
	s_cbranch_execz .LBB145_23
; %bb.20:
	v_lshlrev_b64 v[4:5], 3, v[26:27]
	v_dual_mov_b32 v3, 0 :: v_dual_mov_b32 v36, 0
	v_dual_mov_b32 v37, 0 :: v_dual_lshlrev_b32 v2, 3, v2
	v_dual_mov_b32 v53, v27 :: v_dual_mov_b32 v52, v26
	s_delay_alu instid0(VALU_DEP_4)
	v_add_co_u32 v4, vcc_lo, s8, v4
	v_add_co_ci_u32_e32 v5, vcc_lo, s9, v5, vcc_lo
	v_dual_mov_b32 v51, v31 :: v_dual_mov_b32 v50, v30
	v_dual_mov_b32 v43, v37 :: v_dual_mov_b32 v42, v36
	;; [unrolled: 1-line block ×8, first 2 shown]
.LBB145_21:                             ; =>This Inner Loop Header: Depth=1
	global_load_b64 v[14:15], v[4:5], off
	s_clause 0x7
	global_load_b128 v[6:9], v[50:51], off offset:48
	global_load_b128 v[10:13], v[50:51], off offset:32
	global_load_b128 v[54:57], v[50:51], off offset:16
	global_load_b128 v[59:62], v[50:51], off
	global_load_b128 v[63:66], v[50:51], off offset:112
	global_load_b128 v[67:70], v[50:51], off offset:96
	;; [unrolled: 1-line block ×4, first 2 shown]
	v_add_co_u32 v4, s1, v4, 32
	s_delay_alu instid0(VALU_DEP_1) | instskip(SKIP_3) | instid1(VALU_DEP_1)
	v_add_co_ci_u32_e64 v5, s1, 0, v5, s1
	s_waitcnt vmcnt(8)
	v_sub_co_u32 v14, vcc_lo, v14, s12
	v_subrev_co_ci_u32_e32 v15, vcc_lo, s15, v15, vcc_lo
	v_lshlrev_b64 v[14:15], 6, v[14:15]
	s_waitcnt lgkmcnt(0)
	s_delay_alu instid0(VALU_DEP_1) | instskip(NEXT) | instid1(VALU_DEP_2)
	v_add_co_u32 v14, vcc_lo, s4, v14
	v_add_co_ci_u32_e32 v15, vcc_lo, s5, v15, vcc_lo
	v_add_co_u32 v50, vcc_lo, 0x200, v50
	v_add_co_ci_u32_e32 v51, vcc_lo, 0, v51, vcc_lo
	s_clause 0x3
	global_load_b128 v[79:82], v[14:15], off
	global_load_b128 v[83:86], v[14:15], off offset:16
	global_load_b128 v[87:90], v[14:15], off offset:32
	;; [unrolled: 1-line block ×3, first 2 shown]
	v_add_co_u32 v2, vcc_lo, v2, -8
	v_add_co_ci_u32_e32 v3, vcc_lo, -1, v3, vcc_lo
	v_add_co_u32 v52, vcc_lo, v52, 4
	v_add_co_ci_u32_e32 v53, vcc_lo, 0, v53, vcc_lo
	s_delay_alu instid0(VALU_DEP_3)
	v_cmp_eq_u64_e32 vcc_lo, 0, v[2:3]
	s_or_b32 s10, vcc_lo, s10
	s_waitcnt vmcnt(3)
	v_fma_f64 v[14:15], v[59:60], v[79:80], v[42:43]
	v_fma_f64 v[36:37], v[79:80], 0, v[36:37]
	v_fma_f64 v[42:43], v[10:11], v[79:80], v[44:45]
	v_fma_f64 v[44:45], v[79:80], 0, v[46:47]
	v_fma_f64 v[40:41], v[75:76], v[79:80], v[40:41]
	v_fma_f64 v[38:39], v[79:80], 0, v[38:39]
	v_fma_f64 v[32:33], v[67:68], v[79:80], v[32:33]
	v_fma_f64 v[34:35], v[79:80], 0, v[34:35]
	v_fma_f64 v[14:15], 0x80000000, v[81:82], v[14:15]
	v_fma_f64 v[36:37], v[59:60], v[81:82], v[36:37]
	v_fma_f64 v[42:43], 0x80000000, v[81:82], v[42:43]
	v_fma_f64 v[10:11], v[10:11], v[81:82], v[44:45]
	v_fma_f64 v[40:41], 0x80000000, v[81:82], v[40:41]
	v_fma_f64 v[38:39], v[75:76], v[81:82], v[38:39]
	v_fma_f64 v[32:33], 0x80000000, v[81:82], v[32:33]
	v_fma_f64 v[34:35], v[67:68], v[81:82], v[34:35]
	s_waitcnt vmcnt(2)
	v_fma_f64 v[14:15], v[61:62], v[83:84], v[14:15]
	v_fma_f64 v[36:37], v[83:84], 0, v[36:37]
	v_fma_f64 v[42:43], v[12:13], v[83:84], v[42:43]
	v_fma_f64 v[10:11], v[83:84], 0, v[10:11]
	v_fma_f64 v[40:41], v[77:78], v[83:84], v[40:41]
	v_fma_f64 v[38:39], v[83:84], 0, v[38:39]
	v_fma_f64 v[32:33], v[69:70], v[83:84], v[32:33]
	v_fma_f64 v[34:35], v[83:84], 0, v[34:35]
	v_fma_f64 v[14:15], 0x80000000, v[85:86], v[14:15]
	v_fma_f64 v[36:37], v[61:62], v[85:86], v[36:37]
	v_fma_f64 v[42:43], 0x80000000, v[85:86], v[42:43]
	v_fma_f64 v[10:11], v[12:13], v[85:86], v[10:11]
	v_fma_f64 v[12:13], 0x80000000, v[85:86], v[40:41]
	v_fma_f64 v[38:39], v[77:78], v[85:86], v[38:39]
	v_fma_f64 v[32:33], 0x80000000, v[85:86], v[32:33]
	v_fma_f64 v[34:35], v[69:70], v[85:86], v[34:35]
	s_waitcnt vmcnt(1)
	v_fma_f64 v[14:15], v[54:55], v[87:88], v[14:15]
	v_fma_f64 v[36:37], v[87:88], 0, v[36:37]
	v_fma_f64 v[40:41], v[6:7], v[87:88], v[42:43]
	v_fma_f64 v[10:11], v[87:88], 0, v[10:11]
	v_fma_f64 v[12:13], v[71:72], v[87:88], v[12:13]
	v_fma_f64 v[38:39], v[87:88], 0, v[38:39]
	v_fma_f64 v[32:33], v[63:64], v[87:88], v[32:33]
	v_fma_f64 v[34:35], v[87:88], 0, v[34:35]
	v_fma_f64 v[14:15], 0x80000000, v[89:90], v[14:15]
	v_fma_f64 v[36:37], v[54:55], v[89:90], v[36:37]
	v_fma_f64 v[40:41], 0x80000000, v[89:90], v[40:41]
	v_fma_f64 v[6:7], v[6:7], v[89:90], v[10:11]
	v_fma_f64 v[10:11], 0x80000000, v[89:90], v[12:13]
	v_fma_f64 v[12:13], v[71:72], v[89:90], v[38:39]
	v_fma_f64 v[32:33], 0x80000000, v[89:90], v[32:33]
	v_fma_f64 v[34:35], v[63:64], v[89:90], v[34:35]
	s_waitcnt vmcnt(0)
	v_fma_f64 v[14:15], v[56:57], v[91:92], v[14:15]
	v_fma_f64 v[36:37], v[91:92], 0, v[36:37]
	v_fma_f64 v[38:39], v[8:9], v[91:92], v[40:41]
	v_fma_f64 v[6:7], v[91:92], 0, v[6:7]
	v_fma_f64 v[10:11], v[73:74], v[91:92], v[10:11]
	v_fma_f64 v[12:13], v[91:92], 0, v[12:13]
	v_fma_f64 v[32:33], v[65:66], v[91:92], v[32:33]
	v_fma_f64 v[34:35], v[91:92], 0, v[34:35]
	v_fma_f64 v[42:43], 0x80000000, v[93:94], v[14:15]
	v_fma_f64 v[36:37], v[56:57], v[93:94], v[36:37]
	v_fma_f64 v[44:45], 0x80000000, v[93:94], v[38:39]
	v_fma_f64 v[46:47], v[8:9], v[93:94], v[6:7]
	v_fma_f64 v[40:41], 0x80000000, v[93:94], v[10:11]
	v_fma_f64 v[38:39], v[73:74], v[93:94], v[12:13]
	v_fma_f64 v[32:33], 0x80000000, v[93:94], v[32:33]
	v_fma_f64 v[34:35], v[65:66], v[93:94], v[34:35]
	s_and_not1_b32 exec_lo, exec_lo, s10
	s_cbranch_execnz .LBB145_21
; %bb.22:
	s_or_b32 exec_lo, exec_lo, s10
.LBB145_23:
	s_delay_alu instid0(SALU_CYCLE_1) | instskip(NEXT) | instid1(SALU_CYCLE_1)
	s_or_b32 exec_lo, exec_lo, s7
	s_mov_b32 s7, exec_lo
	v_cmpx_lt_u64_e32 11, v[0:1]
	s_cbranch_execz .LBB145_27
; %bb.24:
	v_lshlrev_b64 v[0:1], 3, v[52:53]
	s_mov_b32 s10, 0
	s_delay_alu instid0(VALU_DEP_1) | instskip(NEXT) | instid1(VALU_DEP_2)
	v_add_co_u32 v0, vcc_lo, v0, s8
	v_add_co_ci_u32_e32 v1, vcc_lo, s9, v1, vcc_lo
	s_delay_alu instid0(VALU_DEP_2) | instskip(NEXT) | instid1(VALU_DEP_2)
	v_add_co_u32 v54, vcc_lo, v0, 64
	v_add_co_ci_u32_e32 v55, vcc_lo, 0, v1, vcc_lo
.LBB145_25:                             ; =>This Inner Loop Header: Depth=1
	s_clause 0x1
	global_load_b64 v[56:57], v[54:55], off offset:-64
	global_load_b64 v[107:108], v[54:55], off offset:-32
	s_clause 0x3
	global_load_b128 v[4:7], v[50:51], off offset:32
	global_load_b128 v[8:11], v[50:51], off
	global_load_b128 v[0:3], v[50:51], off offset:96
	global_load_b128 v[12:15], v[50:51], off offset:64
	s_clause 0x1
	global_load_b64 v[111:112], v[54:55], off
	global_load_b64 v[113:114], v[54:55], off offset:32
	v_add_co_u32 v54, s1, 0x80, v54
	s_delay_alu instid0(VALU_DEP_1) | instskip(SKIP_3) | instid1(VALU_DEP_1)
	v_add_co_ci_u32_e64 v55, s1, 0, v55, s1
	s_waitcnt vmcnt(7)
	v_sub_co_u32 v56, vcc_lo, v56, s12
	v_subrev_co_ci_u32_e32 v57, vcc_lo, s15, v57, vcc_lo
	v_lshlrev_b64 v[56:57], 6, v[56:57]
	s_waitcnt lgkmcnt(0)
	s_delay_alu instid0(VALU_DEP_1) | instskip(NEXT) | instid1(VALU_DEP_2)
	v_add_co_u32 v56, vcc_lo, s4, v56
	v_add_co_ci_u32_e32 v57, vcc_lo, s5, v57, vcc_lo
	s_clause 0x1
	global_load_b128 v[59:62], v[56:57], off
	global_load_b128 v[63:66], v[56:57], off offset:16
	s_clause 0x3
	global_load_b128 v[67:70], v[50:51], off offset:48
	global_load_b128 v[71:74], v[50:51], off offset:16
	;; [unrolled: 1-line block ×4, first 2 shown]
	s_clause 0x1
	global_load_b128 v[83:86], v[56:57], off offset:32
	global_load_b128 v[87:90], v[56:57], off offset:48
	s_clause 0x3
	global_load_b128 v[91:94], v[50:51], off offset:544
	global_load_b128 v[95:98], v[50:51], off offset:512
	global_load_b128 v[99:102], v[50:51], off offset:608
	global_load_b128 v[103:106], v[50:51], off offset:576
	s_waitcnt vmcnt(18)
	v_sub_co_u32 v56, vcc_lo, v107, s12
	v_subrev_co_ci_u32_e32 v57, vcc_lo, s15, v108, vcc_lo
	s_delay_alu instid0(VALU_DEP_1) | instskip(NEXT) | instid1(VALU_DEP_1)
	v_lshlrev_b64 v[56:57], 6, v[56:57]
	v_add_co_u32 v56, vcc_lo, s4, v56
	s_delay_alu instid0(VALU_DEP_2)
	v_add_co_ci_u32_e32 v57, vcc_lo, s5, v57, vcc_lo
	s_waitcnt vmcnt(13)
	v_sub_co_u32 v111, vcc_lo, v111, s12
	v_subrev_co_ci_u32_e32 v112, vcc_lo, s15, v112, vcc_lo
	global_load_b128 v[107:110], v[56:57], off
	s_waitcnt vmcnt(12)
	v_fma_f64 v[36:37], v[59:60], 0, v[36:37]
	v_fma_f64 v[46:47], v[59:60], 0, v[46:47]
	;; [unrolled: 1-line block ×16, first 2 shown]
	global_load_b128 v[32:35], v[56:57], off offset:16
	s_waitcnt vmcnt(12)
	v_fma_f64 v[8:9], v[63:64], 0, v[8:9]
	v_fma_f64 v[4:5], v[63:64], 0, v[4:5]
	;; [unrolled: 1-line block ×16, first 2 shown]
	s_clause 0x3
	global_load_b128 v[0:3], v[50:51], off offset:560
	global_load_b128 v[4:7], v[50:51], off offset:528
	global_load_b128 v[8:11], v[50:51], off offset:624
	global_load_b128 v[12:15], v[50:51], off offset:592
	global_load_b128 v[36:39], v[56:57], off offset:32
	s_waitcnt vmcnt(12)
	v_fma_f64 v[44:45], v[83:84], 0, v[44:45]
	v_fma_f64 v[46:47], v[83:84], 0, v[46:47]
	;; [unrolled: 1-line block ×16, first 2 shown]
	global_load_b128 v[40:43], v[56:57], off offset:48
	s_waitcnt vmcnt(12)
	v_fma_f64 v[56:57], v[87:88], 0, v[44:45]
	v_fma_f64 v[75:76], v[87:88], 0, v[46:47]
	;; [unrolled: 1-line block ×8, first 2 shown]
	s_clause 0x3
	global_load_b128 v[44:47], v[50:51], off offset:1056
	global_load_b128 v[59:62], v[50:51], off offset:1024
	;; [unrolled: 1-line block ×4, first 2 shown]
	v_fma_f64 v[56:57], v[73:74], v[89:90], v[56:57]
	v_fma_f64 v[73:74], v[69:70], v[89:90], v[75:76]
	;; [unrolled: 1-line block ×8, first 2 shown]
	v_lshlrev_b64 v[67:68], 6, v[111:112]
	s_delay_alu instid0(VALU_DEP_1) | instskip(NEXT) | instid1(VALU_DEP_2)
	v_add_co_u32 v111, vcc_lo, s4, v67
	v_add_co_ci_u32_e32 v112, vcc_lo, s5, v68, vcc_lo
	global_load_b128 v[67:70], v[111:112], off
	s_waitcnt vmcnt(12)
	v_fma_f64 v[56:57], v[107:108], 0, v[56:57]
	v_fma_f64 v[73:74], v[107:108], 0, v[73:74]
	;; [unrolled: 1-line block ×15, first 2 shown]
	global_load_b128 v[71:74], v[111:112], off offset:16
	v_fma_f64 v[77:78], v[99:100], v[109:110], v[77:78]
	s_waitcnt vmcnt(12)
	v_fma_f64 v[56:57], v[32:33], 0, v[56:57]
	v_fma_f64 v[89:90], v[32:33], 0, v[89:90]
	;; [unrolled: 1-line block ×16, first 2 shown]
	s_clause 0x3
	global_load_b128 v[32:35], v[50:51], off offset:1072
	global_load_b128 v[75:78], v[50:51], off offset:1040
	;; [unrolled: 1-line block ×5, first 2 shown]
	s_waitcnt vmcnt(12)
	v_fma_f64 v[56:57], v[36:37], 0, v[56:57]
	v_fma_f64 v[95:96], v[36:37], 0, v[95:96]
	;; [unrolled: 1-line block ×16, first 2 shown]
	global_load_b128 v[36:39], v[111:112], off offset:48
	s_waitcnt vmcnt(12)
	v_fma_f64 v[4:5], v[40:41], 0, v[4:5]
	v_fma_f64 v[0:1], v[40:41], 0, v[0:1]
	;; [unrolled: 1-line block ×7, first 2 shown]
	s_clause 0x3
	global_load_b128 v[95:98], v[50:51], off offset:1568
	global_load_b128 v[99:102], v[50:51], off offset:1536
	;; [unrolled: 1-line block ×4, first 2 shown]
	v_fma_f64 v[8:9], v[40:41], 0, v[8:9]
	v_sub_co_u32 v40, vcc_lo, v113, s12
	v_subrev_co_ci_u32_e32 v41, vcc_lo, s15, v114, vcc_lo
	v_fma_f64 v[4:5], v[6:7], v[42:43], v[4:5]
	v_fma_f64 v[6:7], v[2:3], v[42:43], v[0:1]
	;; [unrolled: 1-line block ×7, first 2 shown]
	v_lshlrev_b64 v[0:1], 6, v[40:41]
	v_fma_f64 v[8:9], v[10:11], v[42:43], v[8:9]
	s_delay_alu instid0(VALU_DEP_2) | instskip(NEXT) | instid1(VALU_DEP_3)
	v_add_co_u32 v113, vcc_lo, s4, v0
	v_add_co_ci_u32_e32 v114, vcc_lo, s5, v1, vcc_lo
	v_add_co_u32 v52, vcc_lo, v52, 16
	v_add_co_ci_u32_e32 v53, vcc_lo, 0, v53, vcc_lo
	global_load_b128 v[0:3], v[113:114], off
	s_waitcnt vmcnt(12)
	v_fma_f64 v[4:5], v[67:68], 0, v[4:5]
	v_fma_f64 v[6:7], v[67:68], 0, v[6:7]
	;; [unrolled: 1-line block ×10, first 2 shown]
	global_load_b128 v[4:7], v[113:114], off offset:16
	v_fma_f64 v[10:11], 0x80000000, v[69:70], v[10:11]
	v_fma_f64 v[14:15], 0x80000000, v[69:70], v[14:15]
	;; [unrolled: 1-line block ×6, first 2 shown]
	s_waitcnt vmcnt(12)
	v_fma_f64 v[56:57], v[71:72], 0, v[56:57]
	v_fma_f64 v[44:45], v[71:72], 0, v[44:45]
	;; [unrolled: 1-line block ×16, first 2 shown]
	s_clause 0x3
	global_load_b128 v[8:11], v[50:51], off offset:1584
	global_load_b128 v[12:15], v[50:51], off offset:1552
	;; [unrolled: 1-line block ×5, first 2 shown]
	v_add_co_u32 v50, vcc_lo, 0x800, v50
	v_add_co_ci_u32_e32 v51, vcc_lo, 0, v51, vcc_lo
	v_cmp_ge_i64_e32 vcc_lo, v[52:53], v[28:29]
	s_or_b32 s10, vcc_lo, s10
	s_waitcnt vmcnt(12)
	v_fma_f64 v[56:57], v[91:92], 0, v[56:57]
	v_fma_f64 v[44:45], v[91:92], 0, v[44:45]
	;; [unrolled: 1-line block ×16, first 2 shown]
	global_load_b128 v[67:70], v[113:114], off offset:48
	s_waitcnt vmcnt(12)
	v_fma_f64 v[56:57], v[36:37], 0, v[56:57]
	v_fma_f64 v[32:33], v[36:37], 0, v[32:33]
	v_fma_f64 v[79:80], v[77:78], v[36:37], v[85:86]
	v_fma_f64 v[75:76], v[34:35], v[36:37], v[75:76]
	v_fma_f64 v[44:45], v[89:90], v[36:37], v[44:45]
	v_fma_f64 v[46:47], v[36:37], 0, v[46:47]
	v_fma_f64 v[71:72], v[81:82], v[36:37], v[71:72]
	v_fma_f64 v[36:37], v[36:37], 0, v[73:74]
	v_fma_f64 v[56:57], v[77:78], v[38:39], v[56:57]
	v_fma_f64 v[32:33], v[34:35], v[38:39], v[32:33]
	v_fma_f64 v[73:74], 0x80000000, v[38:39], v[79:80]
	v_fma_f64 v[75:76], 0x80000000, v[38:39], v[75:76]
	v_fma_f64 v[34:35], 0x80000000, v[38:39], v[44:45]
	v_fma_f64 v[44:45], v[89:90], v[38:39], v[46:47]
	v_fma_f64 v[46:47], 0x80000000, v[38:39], v[71:72]
	v_fma_f64 v[36:37], v[81:82], v[38:39], v[36:37]
	s_waitcnt vmcnt(7)
	v_fma_f64 v[56:57], v[0:1], 0, v[56:57]
	v_fma_f64 v[32:33], v[0:1], 0, v[32:33]
	v_fma_f64 v[38:39], v[99:100], v[0:1], v[73:74]
	v_fma_f64 v[71:72], v[95:96], v[0:1], v[75:76]
	v_fma_f64 v[34:35], v[107:108], v[0:1], v[34:35]
	v_fma_f64 v[44:45], v[0:1], 0, v[44:45]
	v_fma_f64 v[46:47], v[103:104], v[0:1], v[46:47]
	v_fma_f64 v[0:1], v[0:1], 0, v[36:37]
	v_fma_f64 v[32:33], v[95:96], v[2:3], v[32:33]
	v_fma_f64 v[36:37], 0x80000000, v[2:3], v[38:39]
	v_fma_f64 v[38:39], v[99:100], v[2:3], v[56:57]
	v_fma_f64 v[56:57], 0x80000000, v[2:3], v[71:72]
	v_fma_f64 v[34:35], 0x80000000, v[2:3], v[34:35]
	v_fma_f64 v[44:45], v[107:108], v[2:3], v[44:45]
	v_fma_f64 v[46:47], 0x80000000, v[2:3], v[46:47]
	v_fma_f64 v[0:1], v[103:104], v[2:3], v[0:1]
	;; [unrolled: 17-line block ×5, first 2 shown]
	s_and_not1_b32 exec_lo, exec_lo, s10
	s_cbranch_execnz .LBB145_25
; %bb.26:
	s_or_b32 exec_lo, exec_lo, s10
.LBB145_27:
	s_delay_alu instid0(SALU_CYCLE_1)
	s_or_b32 exec_lo, exec_lo, s7
.LBB145_28:
	s_delay_alu instid0(SALU_CYCLE_1)
	s_or_b32 exec_lo, exec_lo, s6
	s_cbranch_execz .LBB145_30
	s_branch .LBB145_41
.LBB145_29:
                                        ; implicit-def: $vgpr36_vgpr37
                                        ; implicit-def: $vgpr42_vgpr43
                                        ; implicit-def: $vgpr46_vgpr47
                                        ; implicit-def: $vgpr44_vgpr45
                                        ; implicit-def: $vgpr38_vgpr39
                                        ; implicit-def: $vgpr40_vgpr41
                                        ; implicit-def: $vgpr34_vgpr35
                                        ; implicit-def: $vgpr32_vgpr33
.LBB145_30:
	v_mov_b32_e32 v36, 0
	v_mov_b32_e32 v37, 0
	s_delay_alu instid0(VALU_DEP_2) | instskip(NEXT) | instid1(VALU_DEP_2)
	v_mov_b32_e32 v34, v36
	v_dual_mov_b32 v32, v36 :: v_dual_mov_b32 v33, v37
	v_dual_mov_b32 v43, v37 :: v_dual_mov_b32 v42, v36
	;; [unrolled: 1-line block ×6, first 2 shown]
	v_mov_b32_e32 v35, v37
	s_and_saveexec_b32 s1, s0
	s_cbranch_execz .LBB145_40
; %bb.31:
	v_or_b32_e32 v0, 4, v58
	v_not_b32_e32 v3, v48
	v_not_b32_e32 v2, v49
	v_mov_b32_e32 v32, 0
	s_mov_b32 s7, 0
	v_sub_co_u32 v0, s0, v0, s12
	s_delay_alu instid0(VALU_DEP_1) | instskip(SKIP_1) | instid1(VALU_DEP_3)
	v_sub_co_ci_u32_e64 v1, null, 0, s15, s0
	v_sub_co_u32 v4, s0, s12, v58
	v_add_co_u32 v0, vcc_lo, v0, v48
	s_delay_alu instid0(VALU_DEP_3) | instskip(SKIP_2) | instid1(VALU_DEP_2)
	v_add_co_ci_u32_e32 v1, vcc_lo, v1, v49, vcc_lo
	v_sub_co_ci_u32_e64 v5, null, s15, 0, s0
	s_mov_b32 s6, exec_lo
	v_cmp_gt_i64_e32 vcc_lo, v[0:1], v[28:29]
	v_dual_cndmask_b32 v1, v29, v1 :: v_dual_cndmask_b32 v0, v28, v0
	v_add_co_u32 v3, vcc_lo, v4, v3
	v_add_co_ci_u32_e32 v2, vcc_lo, v5, v2, vcc_lo
	s_delay_alu instid0(VALU_DEP_2) | instskip(NEXT) | instid1(VALU_DEP_2)
	v_add_co_u32 v0, vcc_lo, v3, v0
	v_add_co_ci_u32_e32 v1, vcc_lo, v2, v1, vcc_lo
	s_delay_alu instid0(VALU_DEP_2) | instskip(NEXT) | instid1(VALU_DEP_1)
	v_lshrrev_b32_e32 v2, 2, v0
	v_dual_mov_b32 v33, 0 :: v_dual_add_nc_u32 v2, 1, v2
	s_delay_alu instid0(VALU_DEP_1) | instskip(SKIP_1) | instid1(VALU_DEP_3)
	v_dual_mov_b32 v35, v33 :: v_dual_mov_b32 v34, v32
	v_dual_mov_b32 v39, v33 :: v_dual_mov_b32 v38, v32
	v_dual_mov_b32 v45, v33 :: v_dual_and_b32 v2, 3, v2
	v_dual_mov_b32 v44, v32 :: v_dual_mov_b32 v47, v33
	v_dual_mov_b32 v46, v32 :: v_dual_mov_b32 v43, v33
	;; [unrolled: 1-line block ×4, first 2 shown]
	v_mov_b32_e32 v36, v32
	v_cmpx_ne_u32_e32 0, v2
	s_cbranch_execz .LBB145_35
; %bb.32:
	v_lshlrev_b64 v[4:5], 3, v[26:27]
	v_dual_mov_b32 v3, 0 :: v_dual_mov_b32 v36, 0
	v_dual_mov_b32 v37, 0 :: v_dual_lshlrev_b32 v2, 3, v2
	s_delay_alu instid0(VALU_DEP_2) | instskip(NEXT) | instid1(VALU_DEP_4)
	v_mov_b32_e32 v34, v36
	v_add_co_u32 v4, vcc_lo, s8, v4
	s_delay_alu instid0(VALU_DEP_3)
	v_mov_b32_e32 v35, v37
	v_add_co_ci_u32_e32 v5, vcc_lo, s9, v5, vcc_lo
	v_dual_mov_b32 v43, v37 :: v_dual_mov_b32 v42, v36
	v_dual_mov_b32 v47, v37 :: v_dual_mov_b32 v46, v36
	;; [unrolled: 1-line block ×6, first 2 shown]
.LBB145_33:                             ; =>This Inner Loop Header: Depth=1
	global_load_b64 v[14:15], v[4:5], off
	s_clause 0x1
	global_load_b128 v[6:9], v[30:31], off offset:16
	global_load_b128 v[10:13], v[30:31], off
	v_add_co_u32 v4, s0, v4, 32
	s_delay_alu instid0(VALU_DEP_1) | instskip(SKIP_3) | instid1(VALU_DEP_1)
	v_add_co_ci_u32_e64 v5, s0, 0, v5, s0
	s_waitcnt vmcnt(2)
	v_sub_co_u32 v14, vcc_lo, v14, s12
	v_subrev_co_ci_u32_e32 v15, vcc_lo, s15, v15, vcc_lo
	v_lshlrev_b64 v[14:15], 6, v[14:15]
	s_waitcnt lgkmcnt(0)
	s_delay_alu instid0(VALU_DEP_1) | instskip(NEXT) | instid1(VALU_DEP_2)
	v_add_co_u32 v14, vcc_lo, s4, v14
	v_add_co_ci_u32_e32 v15, vcc_lo, s5, v15, vcc_lo
	s_clause 0x1
	global_load_b128 v[48:51], v[14:15], off
	global_load_b128 v[52:55], v[14:15], off offset:16
	s_clause 0x3
	global_load_b128 v[59:62], v[30:31], off offset:32
	global_load_b128 v[63:66], v[30:31], off offset:48
	;; [unrolled: 1-line block ×4, first 2 shown]
	s_clause 0x1
	global_load_b128 v[75:78], v[14:15], off offset:32
	global_load_b128 v[79:82], v[14:15], off offset:48
	s_clause 0x1
	global_load_b128 v[83:86], v[30:31], off offset:96
	global_load_b128 v[87:90], v[30:31], off offset:112
	v_add_co_u32 v30, vcc_lo, 0x200, v30
	v_add_co_ci_u32_e32 v31, vcc_lo, 0, v31, vcc_lo
	v_add_co_u32 v2, vcc_lo, v2, -8
	v_add_co_ci_u32_e32 v3, vcc_lo, -1, v3, vcc_lo
	v_add_co_u32 v26, vcc_lo, v26, 4
	v_add_co_ci_u32_e32 v27, vcc_lo, 0, v27, vcc_lo
	s_delay_alu instid0(VALU_DEP_3)
	v_cmp_eq_u64_e32 vcc_lo, 0, v[2:3]
	s_or_b32 s7, vcc_lo, s7
	s_waitcnt vmcnt(9)
	v_fma_f64 v[14:15], v[10:11], v[48:49], v[42:43]
	v_fma_f64 v[36:37], v[48:49], 0, v[36:37]
	;; [unrolled: 1-line block ×16, first 2 shown]
	s_waitcnt vmcnt(7)
	v_fma_f64 v[14:15], v[59:60], v[52:53], v[14:15]
	v_fma_f64 v[10:11], v[52:53], 0, v[10:11]
	v_fma_f64 v[34:35], v[61:62], v[52:53], v[36:37]
	v_fma_f64 v[12:13], v[52:53], 0, v[12:13]
	s_waitcnt vmcnt(6)
	v_fma_f64 v[36:37], v[63:64], v[52:53], v[40:41]
	v_fma_f64 v[6:7], v[52:53], 0, v[6:7]
	;; [unrolled: 1-line block ×12, first 2 shown]
	s_waitcnt vmcnt(3)
	v_fma_f64 v[14:15], v[71:72], v[75:76], v[14:15]
	v_fma_f64 v[10:11], v[75:76], 0, v[10:11]
	;; [unrolled: 1-line block ×16, first 2 shown]
	s_waitcnt vmcnt(1)
	v_fma_f64 v[14:15], v[83:84], v[79:80], v[14:15]
	v_fma_f64 v[10:11], v[79:80], 0, v[10:11]
	;; [unrolled: 1-line block ×4, first 2 shown]
	s_waitcnt vmcnt(0)
	v_fma_f64 v[38:39], v[87:88], v[79:80], v[36:37]
	v_fma_f64 v[6:7], v[79:80], 0, v[6:7]
	;; [unrolled: 1-line block ×12, first 2 shown]
	s_and_not1_b32 exec_lo, exec_lo, s7
	s_cbranch_execnz .LBB145_33
; %bb.34:
	s_or_b32 exec_lo, exec_lo, s7
.LBB145_35:
	s_delay_alu instid0(SALU_CYCLE_1) | instskip(NEXT) | instid1(SALU_CYCLE_1)
	s_or_b32 exec_lo, exec_lo, s6
	s_mov_b32 s6, exec_lo
	v_cmpx_lt_u64_e32 11, v[0:1]
	s_cbranch_execz .LBB145_39
; %bb.36:
	v_lshlrev_b64 v[0:1], 3, v[26:27]
	s_mov_b32 s7, 0
	s_delay_alu instid0(VALU_DEP_1) | instskip(NEXT) | instid1(VALU_DEP_2)
	v_add_co_u32 v0, vcc_lo, v0, s8
	v_add_co_ci_u32_e32 v1, vcc_lo, s9, v1, vcc_lo
	s_delay_alu instid0(VALU_DEP_2) | instskip(NEXT) | instid1(VALU_DEP_2)
	v_add_co_u32 v0, vcc_lo, v0, 64
	v_add_co_ci_u32_e32 v1, vcc_lo, 0, v1, vcc_lo
.LBB145_37:                             ; =>This Inner Loop Header: Depth=1
	s_clause 0x1
	global_load_b64 v[2:3], v[0:1], off offset:-64
	global_load_b64 v[56:57], v[0:1], off offset:-32
	s_clause 0x1
	global_load_b128 v[4:7], v[30:31], off offset:16
	global_load_b128 v[8:11], v[30:31], off
	s_clause 0x1
	global_load_b64 v[99:100], v[0:1], off
	global_load_b64 v[101:102], v[0:1], off offset:32
	v_add_co_u32 v0, s0, 0x80, v0
	s_delay_alu instid0(VALU_DEP_1) | instskip(SKIP_3) | instid1(VALU_DEP_1)
	v_add_co_ci_u32_e64 v1, s0, 0, v1, s0
	s_waitcnt vmcnt(5)
	v_sub_co_u32 v2, vcc_lo, v2, s12
	v_subrev_co_ci_u32_e32 v3, vcc_lo, s15, v3, vcc_lo
	v_lshlrev_b64 v[2:3], 6, v[2:3]
	s_waitcnt lgkmcnt(0)
	s_delay_alu instid0(VALU_DEP_1) | instskip(NEXT) | instid1(VALU_DEP_2)
	v_add_co_u32 v2, vcc_lo, s4, v2
	v_add_co_ci_u32_e32 v3, vcc_lo, s5, v3, vcc_lo
	global_load_b128 v[12:15], v[2:3], off
	s_clause 0x1
	global_load_b128 v[48:51], v[30:31], off offset:32
	global_load_b128 v[52:55], v[30:31], off offset:48
	global_load_b128 v[59:62], v[2:3], off offset:16
	s_clause 0x1
	global_load_b128 v[63:66], v[30:31], off offset:80
	global_load_b128 v[67:70], v[30:31], off offset:64
	global_load_b128 v[71:74], v[2:3], off offset:32
	;; [unrolled: 4-line block ×3, first 2 shown]
	s_clause 0x1
	global_load_b128 v[87:90], v[30:31], off offset:528
	global_load_b128 v[91:94], v[30:31], off offset:512
	s_waitcnt vmcnt(16)
	v_sub_co_u32 v2, vcc_lo, v56, s12
	v_subrev_co_ci_u32_e32 v3, vcc_lo, s15, v57, vcc_lo
	s_delay_alu instid0(VALU_DEP_1) | instskip(NEXT) | instid1(VALU_DEP_1)
	v_lshlrev_b64 v[2:3], 6, v[2:3]
	v_add_co_u32 v56, vcc_lo, s4, v2
	s_delay_alu instid0(VALU_DEP_2)
	v_add_co_ci_u32_e32 v57, vcc_lo, s5, v3, vcc_lo
	global_load_b128 v[95:98], v[56:57], off
	s_waitcnt vmcnt(12)
	v_fma_f64 v[2:3], v[12:13], 0, v[36:37]
	v_fma_f64 v[36:37], v[12:13], 0, v[46:47]
	v_fma_f64 v[42:43], v[8:9], v[12:13], v[42:43]
	v_fma_f64 v[44:45], v[10:11], v[12:13], v[44:45]
	v_fma_f64 v[40:41], v[4:5], v[12:13], v[40:41]
	v_fma_f64 v[38:39], v[12:13], 0, v[38:39]
	v_fma_f64 v[32:33], v[6:7], v[12:13], v[32:33]
	v_fma_f64 v[12:13], v[12:13], 0, v[34:35]
	v_fma_f64 v[34:35], v[8:9], v[14:15], v[2:3]
	v_fma_f64 v[36:37], v[10:11], v[14:15], v[36:37]
	v_fma_f64 v[42:43], 0x80000000, v[14:15], v[42:43]
	v_fma_f64 v[44:45], 0x80000000, v[14:15], v[44:45]
	v_fma_f64 v[40:41], 0x80000000, v[14:15], v[40:41]
	v_fma_f64 v[38:39], v[4:5], v[14:15], v[38:39]
	v_fma_f64 v[32:33], 0x80000000, v[14:15], v[32:33]
	v_fma_f64 v[14:15], v[6:7], v[14:15], v[12:13]
	s_clause 0x1
	global_load_b128 v[2:5], v[30:31], off offset:544
	global_load_b128 v[6:9], v[30:31], off offset:560
	global_load_b128 v[10:13], v[56:57], off offset:16
	s_waitcnt vmcnt(12)
	v_fma_f64 v[34:35], v[59:60], 0, v[34:35]
	v_fma_f64 v[36:37], v[59:60], 0, v[36:37]
	v_fma_f64 v[42:43], v[48:49], v[59:60], v[42:43]
	v_fma_f64 v[44:45], v[50:51], v[59:60], v[44:45]
	v_fma_f64 v[40:41], v[52:53], v[59:60], v[40:41]
	v_fma_f64 v[38:39], v[59:60], 0, v[38:39]
	v_fma_f64 v[32:33], v[54:55], v[59:60], v[32:33]
	v_fma_f64 v[14:15], v[59:60], 0, v[14:15]
	v_fma_f64 v[46:47], v[48:49], v[61:62], v[34:35]
	v_fma_f64 v[48:49], v[50:51], v[61:62], v[36:37]
	v_fma_f64 v[50:51], 0x80000000, v[61:62], v[42:43]
	v_fma_f64 v[44:45], 0x80000000, v[61:62], v[44:45]
	v_fma_f64 v[59:60], 0x80000000, v[61:62], v[40:41]
	v_fma_f64 v[52:53], v[52:53], v[61:62], v[38:39]
	v_fma_f64 v[103:104], 0x80000000, v[61:62], v[32:33]
	v_fma_f64 v[14:15], v[54:55], v[61:62], v[14:15]
	s_clause 0x1
	global_load_b128 v[32:35], v[30:31], off offset:592
	global_load_b128 v[36:39], v[30:31], off offset:576
	global_load_b128 v[40:43], v[56:57], off offset:32
	;; [unrolled: 21-line block ×3, first 2 shown]
	s_waitcnt vmcnt(12)
	v_fma_f64 v[56:57], v[83:84], 0, v[61:62]
	v_fma_f64 v[67:68], v[83:84], 0, v[67:68]
	;; [unrolled: 1-line block ×8, first 2 shown]
	v_sub_co_u32 v83, vcc_lo, v99, s12
	v_subrev_co_ci_u32_e32 v84, vcc_lo, s15, v100, vcc_lo
	s_clause 0x1
	global_load_b128 v[59:62], v[30:31], off offset:1040
	global_load_b128 v[63:66], v[30:31], off offset:1024
	v_fma_f64 v[56:57], v[75:76], v[85:86], v[56:57]
	v_fma_f64 v[75:76], v[77:78], v[85:86], v[67:68]
	;; [unrolled: 1-line block ×8, first 2 shown]
	v_lshlrev_b64 v[67:68], 6, v[83:84]
	s_delay_alu instid0(VALU_DEP_1) | instskip(NEXT) | instid1(VALU_DEP_2)
	v_add_co_u32 v83, vcc_lo, s4, v67
	v_add_co_ci_u32_e32 v84, vcc_lo, s5, v68, vcc_lo
	global_load_b128 v[67:70], v[83:84], off
	s_waitcnt vmcnt(12)
	v_fma_f64 v[56:57], v[95:96], 0, v[56:57]
	v_fma_f64 v[75:76], v[95:96], 0, v[75:76]
	v_fma_f64 v[77:78], v[91:92], v[95:96], v[77:78]
	v_fma_f64 v[71:72], v[93:94], v[95:96], v[71:72]
	v_fma_f64 v[73:74], v[87:88], v[95:96], v[73:74]
	v_fma_f64 v[79:80], v[95:96], 0, v[79:80]
	v_fma_f64 v[81:82], v[89:90], v[95:96], v[103:104]
	v_fma_f64 v[14:15], v[95:96], 0, v[14:15]
	v_fma_f64 v[56:57], v[91:92], v[97:98], v[56:57]
	v_fma_f64 v[85:86], v[93:94], v[97:98], v[75:76]
	v_fma_f64 v[91:92], 0x80000000, v[97:98], v[77:78]
	v_fma_f64 v[93:94], 0x80000000, v[97:98], v[71:72]
	v_fma_f64 v[95:96], 0x80000000, v[97:98], v[73:74]
	v_fma_f64 v[87:88], v[87:88], v[97:98], v[79:80]
	v_fma_f64 v[99:100], 0x80000000, v[97:98], v[81:82]
	v_fma_f64 v[14:15], v[89:90], v[97:98], v[14:15]
	s_clause 0x1
	global_load_b128 v[71:74], v[30:31], off offset:1056
	global_load_b128 v[75:78], v[30:31], off offset:1072
	global_load_b128 v[79:82], v[83:84], off offset:16
	s_waitcnt vmcnt(12)
	v_fma_f64 v[56:57], v[10:11], 0, v[56:57]
	v_fma_f64 v[85:86], v[10:11], 0, v[85:86]
	v_fma_f64 v[89:90], v[2:3], v[10:11], v[91:92]
	v_fma_f64 v[91:92], v[4:5], v[10:11], v[93:94]
	v_fma_f64 v[93:94], v[6:7], v[10:11], v[95:96]
	v_fma_f64 v[87:88], v[10:11], 0, v[87:88]
	v_fma_f64 v[95:96], v[8:9], v[10:11], v[99:100]
	v_fma_f64 v[10:11], v[10:11], 0, v[14:15]
	v_fma_f64 v[14:15], v[2:3], v[12:13], v[56:57]
	v_fma_f64 v[56:57], v[4:5], v[12:13], v[85:86]
	v_fma_f64 v[85:86], 0x80000000, v[12:13], v[89:90]
	v_fma_f64 v[89:90], 0x80000000, v[12:13], v[91:92]
	v_fma_f64 v[91:92], 0x80000000, v[12:13], v[93:94]
	v_fma_f64 v[87:88], v[6:7], v[12:13], v[87:88]
	v_fma_f64 v[93:94], 0x80000000, v[12:13], v[95:96]
	v_fma_f64 v[95:96], v[8:9], v[12:13], v[10:11]
	s_clause 0x1
	global_load_b128 v[2:5], v[30:31], off offset:1104
	global_load_b128 v[6:9], v[30:31], off offset:1088
	global_load_b128 v[10:13], v[83:84], off offset:32
	;; [unrolled: 21-line block ×3, first 2 shown]
	s_waitcnt vmcnt(12)
	v_fma_f64 v[14:15], v[52:53], 0, v[14:15]
	v_fma_f64 v[56:57], v[52:53], 0, v[56:57]
	;; [unrolled: 1-line block ×8, first 2 shown]
	v_sub_co_u32 v95, vcc_lo, v101, s12
	v_subrev_co_ci_u32_e32 v96, vcc_lo, s15, v102, vcc_lo
	s_clause 0x1
	global_load_b128 v[83:86], v[30:31], off offset:1552
	global_load_b128 v[87:90], v[30:31], off offset:1536
	v_fma_f64 v[14:15], v[44:45], v[54:55], v[14:15]
	v_fma_f64 v[56:57], v[46:47], v[54:55], v[56:57]
	;; [unrolled: 1-line block ×8, first 2 shown]
	v_lshlrev_b64 v[44:45], 6, v[95:96]
	s_delay_alu instid0(VALU_DEP_1) | instskip(NEXT) | instid1(VALU_DEP_2)
	v_add_co_u32 v95, vcc_lo, s4, v44
	v_add_co_ci_u32_e32 v96, vcc_lo, s5, v45, vcc_lo
	v_add_co_u32 v26, vcc_lo, v26, 16
	v_add_co_ci_u32_e32 v27, vcc_lo, 0, v27, vcc_lo
	global_load_b128 v[44:47], v[95:96], off
	s_waitcnt vmcnt(12)
	v_fma_f64 v[14:15], v[67:68], 0, v[14:15]
	v_fma_f64 v[56:57], v[67:68], 0, v[56:57]
	v_fma_f64 v[52:53], v[63:64], v[67:68], v[97:98]
	v_fma_f64 v[54:55], v[65:66], v[67:68], v[99:100]
	v_fma_f64 v[91:92], v[59:60], v[67:68], v[91:92]
	v_fma_f64 v[48:49], v[67:68], 0, v[48:49]
	v_fma_f64 v[93:94], v[61:62], v[67:68], v[93:94]
	v_fma_f64 v[50:51], v[67:68], 0, v[50:51]
	v_fma_f64 v[14:15], v[63:64], v[69:70], v[14:15]
	v_fma_f64 v[56:57], v[65:66], v[69:70], v[56:57]
	v_fma_f64 v[67:68], 0x80000000, v[69:70], v[52:53]
	v_fma_f64 v[63:64], 0x80000000, v[69:70], v[54:55]
	v_fma_f64 v[65:66], 0x80000000, v[69:70], v[91:92]
	v_fma_f64 v[91:92], v[59:60], v[69:70], v[48:49]
	v_fma_f64 v[93:94], 0x80000000, v[69:70], v[93:94]
	v_fma_f64 v[69:70], v[61:62], v[69:70], v[50:51]
	s_clause 0x1
	global_load_b128 v[48:51], v[30:31], off offset:1568
	global_load_b128 v[52:55], v[30:31], off offset:1584
	global_load_b128 v[59:62], v[95:96], off offset:16
	s_waitcnt vmcnt(12)
	v_fma_f64 v[14:15], v[79:80], 0, v[14:15]
	v_fma_f64 v[56:57], v[79:80], 0, v[56:57]
	v_fma_f64 v[67:68], v[71:72], v[79:80], v[67:68]
	v_fma_f64 v[63:64], v[73:74], v[79:80], v[63:64]
	v_fma_f64 v[65:66], v[75:76], v[79:80], v[65:66]
	v_fma_f64 v[91:92], v[79:80], 0, v[91:92]
	v_fma_f64 v[93:94], v[77:78], v[79:80], v[93:94]
	v_fma_f64 v[69:70], v[79:80], 0, v[69:70]
	v_fma_f64 v[14:15], v[71:72], v[81:82], v[14:15]
	v_fma_f64 v[56:57], v[73:74], v[81:82], v[56:57]
	v_fma_f64 v[79:80], 0x80000000, v[81:82], v[67:68]
	v_fma_f64 v[97:98], 0x80000000, v[81:82], v[63:64]
	v_fma_f64 v[99:100], 0x80000000, v[81:82], v[65:66]
	v_fma_f64 v[75:76], v[75:76], v[81:82], v[91:92]
	v_fma_f64 v[91:92], 0x80000000, v[81:82], v[93:94]
	v_fma_f64 v[77:78], v[77:78], v[81:82], v[69:70]
	s_clause 0x1
	global_load_b128 v[63:66], v[30:31], off offset:1616
	global_load_b128 v[67:70], v[30:31], off offset:1600
	global_load_b128 v[71:74], v[95:96], off offset:32
	;; [unrolled: 21-line block ×3, first 2 shown]
	v_add_co_u32 v30, vcc_lo, 0x800, v30
	v_add_co_ci_u32_e32 v31, vcc_lo, 0, v31, vcc_lo
	v_cmp_ge_i64_e32 vcc_lo, v[26:27], v[28:29]
	s_or_b32 s7, vcc_lo, s7
	s_waitcnt vmcnt(12)
	v_fma_f64 v[14:15], v[40:41], 0, v[14:15]
	v_fma_f64 v[56:57], v[40:41], 0, v[56:57]
	v_fma_f64 v[77:78], v[32:33], v[40:41], v[77:78]
	v_fma_f64 v[79:80], v[34:35], v[40:41], v[79:80]
	v_fma_f64 v[81:82], v[36:37], v[40:41], v[81:82]
	v_fma_f64 v[75:76], v[40:41], 0, v[75:76]
	v_fma_f64 v[91:92], v[38:39], v[40:41], v[91:92]
	v_fma_f64 v[40:41], v[40:41], 0, v[93:94]
	v_fma_f64 v[14:15], v[32:33], v[42:43], v[14:15]
	v_fma_f64 v[34:35], v[34:35], v[42:43], v[56:57]
	v_fma_f64 v[77:78], 0x80000000, v[42:43], v[77:78]
	v_fma_f64 v[32:33], 0x80000000, v[42:43], v[79:80]
	v_fma_f64 v[56:57], 0x80000000, v[42:43], v[81:82]
	v_fma_f64 v[36:37], v[36:37], v[42:43], v[75:76]
	v_fma_f64 v[75:76], 0x80000000, v[42:43], v[91:92]
	v_fma_f64 v[38:39], v[38:39], v[42:43], v[40:41]
	s_waitcnt vmcnt(9)
	v_fma_f64 v[14:15], v[44:45], 0, v[14:15]
	v_fma_f64 v[34:35], v[44:45], 0, v[34:35]
	v_fma_f64 v[40:41], v[87:88], v[44:45], v[77:78]
	v_fma_f64 v[32:33], v[89:90], v[44:45], v[32:33]
	v_fma_f64 v[42:43], v[83:84], v[44:45], v[56:57]
	v_fma_f64 v[36:37], v[44:45], 0, v[36:37]
	v_fma_f64 v[56:57], v[85:86], v[44:45], v[75:76]
	v_fma_f64 v[38:39], v[44:45], 0, v[38:39]
	v_fma_f64 v[14:15], v[87:88], v[46:47], v[14:15]
	v_fma_f64 v[34:35], v[89:90], v[46:47], v[34:35]
	v_fma_f64 v[40:41], 0x80000000, v[46:47], v[40:41]
	v_fma_f64 v[32:33], 0x80000000, v[46:47], v[32:33]
	v_fma_f64 v[42:43], 0x80000000, v[46:47], v[42:43]
	v_fma_f64 v[36:37], v[83:84], v[46:47], v[36:37]
	v_fma_f64 v[44:45], 0x80000000, v[46:47], v[56:57]
	v_fma_f64 v[38:39], v[85:86], v[46:47], v[38:39]
	;; [unrolled: 17-line block ×5, first 2 shown]
	s_and_not1_b32 exec_lo, exec_lo, s7
	s_cbranch_execnz .LBB145_37
; %bb.38:
	s_or_b32 exec_lo, exec_lo, s7
.LBB145_39:
	s_delay_alu instid0(SALU_CYCLE_1)
	s_or_b32 exec_lo, exec_lo, s6
.LBB145_40:
	s_delay_alu instid0(SALU_CYCLE_1)
	s_or_b32 exec_lo, exec_lo, s1
.LBB145_41:
	v_mbcnt_lo_u32_b32 v30, -1, 0
	s_delay_alu instid0(VALU_DEP_1) | instskip(NEXT) | instid1(VALU_DEP_1)
	v_xor_b32_e32 v0, 2, v30
	v_cmp_gt_i32_e32 vcc_lo, 32, v0
	v_cndmask_b32_e32 v0, v30, v0, vcc_lo
	s_delay_alu instid0(VALU_DEP_1)
	v_lshlrev_b32_e32 v14, 2, v0
	ds_bpermute_b32 v0, v14, v42
	ds_bpermute_b32 v1, v14, v43
	;; [unrolled: 1-line block ×16, first 2 shown]
	s_waitcnt lgkmcnt(0)
	v_add_f64 v[0:1], v[42:43], v[0:1]
	v_add_f64 v[28:29], v[36:37], v[2:3]
	;; [unrolled: 1-line block ×7, first 2 shown]
	v_xor_b32_e32 v12, 1, v30
	v_add_f64 v[8:9], v[34:35], v[26:27]
	s_delay_alu instid0(VALU_DEP_2) | instskip(SKIP_2) | instid1(VALU_DEP_2)
	v_cmp_gt_i32_e32 vcc_lo, 32, v12
	v_cndmask_b32_e32 v12, v30, v12, vcc_lo
	v_cmp_eq_u32_e32 vcc_lo, 3, v58
	v_lshlrev_b32_e32 v35, 2, v12
	ds_bpermute_b32 v12, v35, v0
	ds_bpermute_b32 v13, v35, v1
	;; [unrolled: 1-line block ×16, first 2 shown]
	s_and_b32 exec_lo, exec_lo, vcc_lo
	s_cbranch_execz .LBB145_12
; %bb.42:
	s_waitcnt lgkmcnt(12)
	v_add_f64 v[28:29], v[28:29], v[40:41]
	s_waitcnt lgkmcnt(8)
	v_add_f64 v[14:15], v[14:15], v[38:39]
	;; [unrolled: 2-line block ×4, first 2 shown]
	v_add_f64 v[0:1], v[0:1], v[12:13]
	v_add_f64 v[2:3], v[2:3], v[26:27]
	;; [unrolled: 1-line block ×4, first 2 shown]
	v_cmp_eq_f64_e32 vcc_lo, 0, v[16:17]
	v_cmp_eq_f64_e64 s0, 0, v[18:19]
	s_load_b64 s[2:3], s[2:3], 0x68
	v_mul_f64 v[4:5], v[28:29], -v[22:23]
	v_mul_f64 v[6:7], v[20:21], v[28:29]
	v_mul_f64 v[28:29], v[14:15], -v[22:23]
	v_mul_f64 v[32:33], v[20:21], v[14:15]
	v_mul_f64 v[34:35], v[10:11], -v[22:23]
	v_mul_f64 v[36:37], v[20:21], v[10:11]
	v_mul_f64 v[38:39], v[8:9], -v[22:23]
	v_mul_f64 v[40:41], v[20:21], v[8:9]
	s_and_b32 s0, vcc_lo, s0
	v_fma_f64 v[12:13], v[20:21], v[0:1], v[4:5]
	v_fma_f64 v[14:15], v[22:23], v[0:1], v[6:7]
	;; [unrolled: 1-line block ×8, first 2 shown]
	v_lshlrev_b64 v[20:21], 6, v[24:25]
	s_and_saveexec_b32 s1, s0
	s_delay_alu instid0(SALU_CYCLE_1)
	s_xor_b32 s0, exec_lo, s1
	s_cbranch_execz .LBB145_44
; %bb.43:
	s_waitcnt lgkmcnt(0)
	s_delay_alu instid0(VALU_DEP_1)
	v_add_co_u32 v16, vcc_lo, s2, v20
	v_add_co_ci_u32_e32 v17, vcc_lo, s3, v21, vcc_lo
                                        ; implicit-def: $vgpr18_vgpr19
                                        ; implicit-def: $vgpr20_vgpr21
	s_clause 0x3
	global_store_b128 v[16:17], v[12:15], off
	global_store_b128 v[16:17], v[8:11], off offset:16
	global_store_b128 v[16:17], v[4:7], off offset:32
	global_store_b128 v[16:17], v[0:3], off offset:48
                                        ; implicit-def: $vgpr16_vgpr17
                                        ; implicit-def: $vgpr12_vgpr13
                                        ; implicit-def: $vgpr8_vgpr9
                                        ; implicit-def: $vgpr4_vgpr5
                                        ; implicit-def: $vgpr0_vgpr1
.LBB145_44:
	s_and_not1_saveexec_b32 s0, s0
	s_cbranch_execz .LBB145_12
; %bb.45:
	s_waitcnt lgkmcnt(0)
	v_add_co_u32 v36, vcc_lo, s2, v20
	v_add_co_ci_u32_e32 v37, vcc_lo, s3, v21, vcc_lo
	s_clause 0x3
	global_load_b128 v[20:23], v[36:37], off
	global_load_b128 v[24:27], v[36:37], off offset:16
	global_load_b128 v[28:31], v[36:37], off offset:32
	;; [unrolled: 1-line block ×3, first 2 shown]
	s_waitcnt vmcnt(3)
	v_fma_f64 v[12:13], v[16:17], v[20:21], v[12:13]
	v_fma_f64 v[14:15], v[18:19], v[20:21], v[14:15]
	s_waitcnt vmcnt(2)
	v_fma_f64 v[8:9], v[16:17], v[24:25], v[8:9]
	v_fma_f64 v[10:11], v[18:19], v[24:25], v[10:11]
	;; [unrolled: 3-line block ×4, first 2 shown]
	v_fma_f64 v[0:1], -v[18:19], v[22:23], v[12:13]
	v_fma_f64 v[2:3], v[16:17], v[22:23], v[14:15]
	v_fma_f64 v[4:5], -v[18:19], v[26:27], v[8:9]
	v_fma_f64 v[6:7], v[16:17], v[26:27], v[10:11]
	;; [unrolled: 2-line block ×4, first 2 shown]
	s_clause 0x3
	global_store_b128 v[36:37], v[0:3], off
	global_store_b128 v[36:37], v[4:7], off offset:16
	global_store_b128 v[36:37], v[8:11], off offset:32
	;; [unrolled: 1-line block ×3, first 2 shown]
	s_nop 0
	s_sendmsg sendmsg(MSG_DEALLOC_VGPRS)
	s_endpgm
	.section	.rodata,"a",@progbits
	.p2align	6, 0x0
	.amdhsa_kernel _ZN9rocsparseL18bsrxmvn_4x4_kernelILj128ELj4E21rocsparse_complex_numIdElldS2_S2_EEvT3_20rocsparse_direction_NS_24const_host_device_scalarIT1_EES3_PKS3_PKT2_SC_S9_PKT4_PKT5_S7_PT6_21rocsparse_index_base_b
		.amdhsa_group_segment_fixed_size 2048
		.amdhsa_private_segment_fixed_size 0
		.amdhsa_kernarg_size 120
		.amdhsa_user_sgpr_count 15
		.amdhsa_user_sgpr_dispatch_ptr 1
		.amdhsa_user_sgpr_queue_ptr 0
		.amdhsa_user_sgpr_kernarg_segment_ptr 1
		.amdhsa_user_sgpr_dispatch_id 0
		.amdhsa_user_sgpr_private_segment_size 0
		.amdhsa_wavefront_size32 1
		.amdhsa_uses_dynamic_stack 0
		.amdhsa_enable_private_segment 0
		.amdhsa_system_sgpr_workgroup_id_x 1
		.amdhsa_system_sgpr_workgroup_id_y 0
		.amdhsa_system_sgpr_workgroup_id_z 0
		.amdhsa_system_sgpr_workgroup_info 0
		.amdhsa_system_vgpr_workitem_id 2
		.amdhsa_next_free_vgpr 119
		.amdhsa_next_free_sgpr 18
		.amdhsa_reserve_vcc 1
		.amdhsa_float_round_mode_32 0
		.amdhsa_float_round_mode_16_64 0
		.amdhsa_float_denorm_mode_32 3
		.amdhsa_float_denorm_mode_16_64 3
		.amdhsa_dx10_clamp 1
		.amdhsa_ieee_mode 1
		.amdhsa_fp16_overflow 0
		.amdhsa_workgroup_processor_mode 1
		.amdhsa_memory_ordered 1
		.amdhsa_forward_progress 0
		.amdhsa_shared_vgpr_count 0
		.amdhsa_exception_fp_ieee_invalid_op 0
		.amdhsa_exception_fp_denorm_src 0
		.amdhsa_exception_fp_ieee_div_zero 0
		.amdhsa_exception_fp_ieee_overflow 0
		.amdhsa_exception_fp_ieee_underflow 0
		.amdhsa_exception_fp_ieee_inexact 0
		.amdhsa_exception_int_div_zero 0
	.end_amdhsa_kernel
	.section	.text._ZN9rocsparseL18bsrxmvn_4x4_kernelILj128ELj4E21rocsparse_complex_numIdElldS2_S2_EEvT3_20rocsparse_direction_NS_24const_host_device_scalarIT1_EES3_PKS3_PKT2_SC_S9_PKT4_PKT5_S7_PT6_21rocsparse_index_base_b,"axG",@progbits,_ZN9rocsparseL18bsrxmvn_4x4_kernelILj128ELj4E21rocsparse_complex_numIdElldS2_S2_EEvT3_20rocsparse_direction_NS_24const_host_device_scalarIT1_EES3_PKS3_PKT2_SC_S9_PKT4_PKT5_S7_PT6_21rocsparse_index_base_b,comdat
.Lfunc_end145:
	.size	_ZN9rocsparseL18bsrxmvn_4x4_kernelILj128ELj4E21rocsparse_complex_numIdElldS2_S2_EEvT3_20rocsparse_direction_NS_24const_host_device_scalarIT1_EES3_PKS3_PKT2_SC_S9_PKT4_PKT5_S7_PT6_21rocsparse_index_base_b, .Lfunc_end145-_ZN9rocsparseL18bsrxmvn_4x4_kernelILj128ELj4E21rocsparse_complex_numIdElldS2_S2_EEvT3_20rocsparse_direction_NS_24const_host_device_scalarIT1_EES3_PKS3_PKT2_SC_S9_PKT4_PKT5_S7_PT6_21rocsparse_index_base_b
                                        ; -- End function
	.section	.AMDGPU.csdata,"",@progbits
; Kernel info:
; codeLenInByte = 10524
; NumSgprs: 20
; NumVgprs: 119
; ScratchSize: 0
; MemoryBound: 0
; FloatMode: 240
; IeeeMode: 1
; LDSByteSize: 2048 bytes/workgroup (compile time only)
; SGPRBlocks: 2
; VGPRBlocks: 14
; NumSGPRsForWavesPerEU: 20
; NumVGPRsForWavesPerEU: 119
; Occupancy: 12
; WaveLimiterHint : 1
; COMPUTE_PGM_RSRC2:SCRATCH_EN: 0
; COMPUTE_PGM_RSRC2:USER_SGPR: 15
; COMPUTE_PGM_RSRC2:TRAP_HANDLER: 0
; COMPUTE_PGM_RSRC2:TGID_X_EN: 1
; COMPUTE_PGM_RSRC2:TGID_Y_EN: 0
; COMPUTE_PGM_RSRC2:TGID_Z_EN: 0
; COMPUTE_PGM_RSRC2:TIDIG_COMP_CNT: 2
	.section	.text._ZN9rocsparseL18bsrxmvn_4x4_kernelILj128ELj8E21rocsparse_complex_numIdElldS2_S2_EEvT3_20rocsparse_direction_NS_24const_host_device_scalarIT1_EES3_PKS3_PKT2_SC_S9_PKT4_PKT5_S7_PT6_21rocsparse_index_base_b,"axG",@progbits,_ZN9rocsparseL18bsrxmvn_4x4_kernelILj128ELj8E21rocsparse_complex_numIdElldS2_S2_EEvT3_20rocsparse_direction_NS_24const_host_device_scalarIT1_EES3_PKS3_PKT2_SC_S9_PKT4_PKT5_S7_PT6_21rocsparse_index_base_b,comdat
	.globl	_ZN9rocsparseL18bsrxmvn_4x4_kernelILj128ELj8E21rocsparse_complex_numIdElldS2_S2_EEvT3_20rocsparse_direction_NS_24const_host_device_scalarIT1_EES3_PKS3_PKT2_SC_S9_PKT4_PKT5_S7_PT6_21rocsparse_index_base_b ; -- Begin function _ZN9rocsparseL18bsrxmvn_4x4_kernelILj128ELj8E21rocsparse_complex_numIdElldS2_S2_EEvT3_20rocsparse_direction_NS_24const_host_device_scalarIT1_EES3_PKS3_PKT2_SC_S9_PKT4_PKT5_S7_PT6_21rocsparse_index_base_b
	.p2align	8
	.type	_ZN9rocsparseL18bsrxmvn_4x4_kernelILj128ELj8E21rocsparse_complex_numIdElldS2_S2_EEvT3_20rocsparse_direction_NS_24const_host_device_scalarIT1_EES3_PKS3_PKT2_SC_S9_PKT4_PKT5_S7_PT6_21rocsparse_index_base_b,@function
_ZN9rocsparseL18bsrxmvn_4x4_kernelILj128ELj8E21rocsparse_complex_numIdElldS2_S2_EEvT3_20rocsparse_direction_NS_24const_host_device_scalarIT1_EES3_PKS3_PKT2_SC_S9_PKT4_PKT5_S7_PT6_21rocsparse_index_base_b: ; @_ZN9rocsparseL18bsrxmvn_4x4_kernelILj128ELj8E21rocsparse_complex_numIdElldS2_S2_EEvT3_20rocsparse_direction_NS_24const_host_device_scalarIT1_EES3_PKS3_PKT2_SC_S9_PKT4_PKT5_S7_PT6_21rocsparse_index_base_b
; %bb.0:
	s_load_b64 s[12:13], s[2:3], 0x70
	s_load_b64 s[16:17], s[0:1], 0x4
	s_load_b128 s[8:11], s[2:3], 0x10
	v_bfe_u32 v1, v0, 10, 10
	s_mov_b64 s[0:1], src_shared_base
	s_load_b128 s[4:7], s[2:3], 0x58
	v_and_b32_e32 v2, 0x3ff, v0
	v_bfe_u32 v0, v0, 20, 10
	s_waitcnt lgkmcnt(0)
	s_bitcmp1_b32 s13, 0
	v_mul_u32_u24_e32 v1, s17, v1
	v_mov_b32_e32 v3, s8
	s_cselect_b32 s0, -1, 0
	v_mov_b32_e32 v23, s11
	s_and_b32 vcc_lo, s0, exec_lo
	s_cselect_b32 s13, s1, s9
	s_lshr_b32 s14, s16, 16
	v_dual_mov_b32 v6, s5 :: v_dual_mov_b32 v5, s4
	s_mul_i32 s14, s14, s17
	v_mov_b32_e32 v8, s13
	v_mad_u32_u24 v1, s14, v2, v1
	v_mov_b32_e32 v22, s10
	s_xor_b32 s10, s0, -1
	v_mov_b32_e32 v4, s9
	s_delay_alu instid0(VALU_DEP_3) | instskip(NEXT) | instid1(VALU_DEP_1)
	v_add_lshl_u32 v0, v1, v0, 3
	v_add_nc_u32_e32 v1, 0x400, v0
	ds_store_2addr_stride64_b64 v0, v[5:6], v[3:4] offset1:2
	v_cndmask_b32_e64 v7, s8, v1, s0
	flat_load_b64 v[20:21], v[7:8]
	s_cbranch_vccnz .LBB146_2
; %bb.1:
	v_dual_mov_b32 v3, s8 :: v_dual_mov_b32 v4, s9
	flat_load_b64 v[22:23], v[3:4] offset:8
.LBB146_2:
	s_and_b32 s8, s0, exec_lo
	s_cselect_b32 s1, s1, s5
	v_cndmask_b32_e64 v0, s4, v0, s0
	v_mov_b32_e32 v1, s1
	v_dual_mov_b32 v19, s7 :: v_dual_mov_b32 v18, s6
	s_and_not1_b32 vcc_lo, exec_lo, s10
	flat_load_b64 v[16:17], v[0:1]
	s_cbranch_vccnz .LBB146_4
; %bb.3:
	v_dual_mov_b32 v0, s4 :: v_dual_mov_b32 v1, s5
	flat_load_b64 v[18:19], v[0:1] offset:8
.LBB146_4:
	s_waitcnt vmcnt(1) lgkmcnt(1)
	v_cmp_eq_f64_e32 vcc_lo, 0, v[20:21]
	v_cmp_eq_f64_e64 s0, 0, v[22:23]
	s_delay_alu instid0(VALU_DEP_1)
	s_and_b32 s4, vcc_lo, s0
	s_mov_b32 s0, -1
	s_and_saveexec_b32 s1, s4
	s_cbranch_execz .LBB146_6
; %bb.5:
	s_waitcnt vmcnt(0) lgkmcnt(0)
	v_cmp_neq_f64_e32 vcc_lo, 1.0, v[16:17]
	v_cmp_neq_f64_e64 s0, 0, v[18:19]
	s_delay_alu instid0(VALU_DEP_1) | instskip(NEXT) | instid1(SALU_CYCLE_1)
	s_or_b32 s0, vcc_lo, s0
	s_or_not1_b32 s0, s0, exec_lo
.LBB146_6:
	s_or_b32 exec_lo, exec_lo, s1
	s_and_saveexec_b32 s1, s0
	s_cbranch_execz .LBB146_12
; %bb.7:
	s_load_b64 s[0:1], s[2:3], 0x28
	v_lshrrev_b32_e32 v0, 3, v2
	v_mov_b32_e32 v1, 0
	s_mov_b32 s4, 0
	s_delay_alu instid0(VALU_DEP_2)
	v_lshl_or_b32 v0, s15, 4, v0
	s_waitcnt lgkmcnt(0)
	s_cmp_lg_u64 s[0:1], 0
	s_cbranch_scc0 .LBB146_13
; %bb.8:
	s_load_b64 s[4:5], s[2:3], 0x20
                                        ; implicit-def: $vgpr24_vgpr25
	s_waitcnt lgkmcnt(0)
	v_cmp_gt_i64_e32 vcc_lo, s[4:5], v[0:1]
	s_mov_b32 s5, 0
	s_mov_b32 s4, 0
	s_and_saveexec_b32 s6, vcc_lo
	s_delay_alu instid0(SALU_CYCLE_1)
	s_xor_b32 s6, exec_lo, s6
                                        ; implicit-def: $sgpr14_sgpr15
	s_cbranch_execz .LBB146_10
; %bb.9:
	v_lshlrev_b64 v[3:4], 3, v[0:1]
	s_mov_b32 s4, exec_lo
	s_mov_b32 s15, 0
	s_delay_alu instid0(VALU_DEP_1) | instskip(NEXT) | instid1(VALU_DEP_2)
	v_add_co_u32 v3, vcc_lo, s0, v3
	v_add_co_ci_u32_e32 v4, vcc_lo, s1, v4, vcc_lo
	global_load_b64 v[3:4], v[3:4], off
	s_waitcnt vmcnt(0)
	v_sub_co_u32 v24, vcc_lo, v3, s12
	v_subrev_co_ci_u32_e32 v25, vcc_lo, 0, v4, vcc_lo
.LBB146_10:
	s_or_b32 exec_lo, exec_lo, s6
	s_delay_alu instid0(SALU_CYCLE_1)
	s_and_b32 vcc_lo, exec_lo, s5
	s_cbranch_vccnz .LBB146_14
.LBB146_11:
	s_and_b32 exec_lo, exec_lo, s4
	s_cbranch_execnz .LBB146_17
.LBB146_12:
	s_nop 0
	s_sendmsg sendmsg(MSG_DEALLOC_VGPRS)
	s_endpgm
.LBB146_13:
                                        ; implicit-def: $vgpr24_vgpr25
                                        ; implicit-def: $sgpr14_sgpr15
	s_cbranch_execz .LBB146_11
.LBB146_14:
	s_load_b64 s[0:1], s[2:3], 0x0
                                        ; implicit-def: $vgpr24_vgpr25
	s_waitcnt lgkmcnt(0)
	v_cmp_gt_i64_e32 vcc_lo, s[0:1], v[0:1]
	s_and_saveexec_b32 s0, vcc_lo
                                        ; implicit-def: $sgpr14_sgpr15
; %bb.15:
	v_dual_mov_b32 v25, v1 :: v_dual_mov_b32 v24, v0
	s_mov_b32 s15, 0
	s_or_b32 s4, s4, exec_lo
; %bb.16:
	s_or_b32 exec_lo, exec_lo, s0
	s_delay_alu instid0(SALU_CYCLE_1)
	s_and_b32 exec_lo, exec_lo, s4
	s_cbranch_execz .LBB146_12
.LBB146_17:
	s_load_b256 s[4:11], s[2:3], 0x30
	v_lshlrev_b64 v[0:1], 3, v[24:25]
	v_and_b32_e32 v58, 7, v2
	s_load_b32 s1, s[2:3], 0x8
	s_waitcnt lgkmcnt(0)
	s_delay_alu instid0(VALU_DEP_2) | instskip(NEXT) | instid1(VALU_DEP_3)
	v_add_co_u32 v3, vcc_lo, s4, v0
	v_add_co_ci_u32_e32 v4, vcc_lo, s5, v1, vcc_lo
	v_add_co_u32 v0, vcc_lo, s6, v0
	v_add_co_ci_u32_e32 v1, vcc_lo, s7, v1, vcc_lo
	s_delay_alu instid0(VALU_DEP_4) | instskip(NEXT) | instid1(VALU_DEP_4)
	v_add_co_u32 v5, vcc_lo, v3, 8
	v_add_co_ci_u32_e32 v6, vcc_lo, 0, v4, vcc_lo
	global_load_b64 v[48:49], v[3:4], off
	s_cmp_eq_u64 s[6:7], 0
	s_load_b64 s[4:5], s[2:3], 0x50
	s_cselect_b32 vcc_lo, -1, 0
	s_cmp_eq_u32 s1, 1
	v_dual_cndmask_b32 v1, v1, v6 :: v_dual_cndmask_b32 v0, v0, v5
	global_load_b64 v[0:1], v[0:1], off
	s_waitcnt vmcnt(1)
	v_sub_co_u32 v2, vcc_lo, v48, s12
	v_subrev_co_ci_u32_e32 v3, vcc_lo, s15, v49, vcc_lo
	s_delay_alu instid0(VALU_DEP_2) | instskip(NEXT) | instid1(VALU_DEP_2)
	v_add_co_u32 v26, vcc_lo, v2, v58
	v_add_co_ci_u32_e32 v27, vcc_lo, 0, v3, vcc_lo
	s_waitcnt vmcnt(0)
	v_sub_co_u32 v28, vcc_lo, v0, s12
	v_subrev_co_ci_u32_e32 v29, vcc_lo, s15, v1, vcc_lo
	s_delay_alu instid0(VALU_DEP_3) | instskip(NEXT) | instid1(VALU_DEP_2)
	v_lshlrev_b64 v[0:1], 7, v[26:27]
	v_cmp_lt_i64_e64 s0, v[26:27], v[28:29]
	s_delay_alu instid0(VALU_DEP_2) | instskip(NEXT) | instid1(VALU_DEP_3)
	v_add_co_u32 v30, vcc_lo, s10, v0
	v_add_co_ci_u32_e32 v31, vcc_lo, s11, v1, vcc_lo
	s_cbranch_scc1 .LBB146_29
; %bb.18:
	v_mov_b32_e32 v36, 0
	v_mov_b32_e32 v37, 0
	s_delay_alu instid0(VALU_DEP_2) | instskip(NEXT) | instid1(VALU_DEP_2)
	v_mov_b32_e32 v34, v36
	v_dual_mov_b32 v32, v36 :: v_dual_mov_b32 v33, v37
	v_dual_mov_b32 v43, v37 :: v_dual_mov_b32 v42, v36
	;; [unrolled: 1-line block ×6, first 2 shown]
	v_mov_b32_e32 v35, v37
	s_and_saveexec_b32 s6, s0
	s_cbranch_execz .LBB146_28
; %bb.19:
	v_or_b32_e32 v0, 8, v58
	v_not_b32_e32 v3, v48
	v_not_b32_e32 v2, v49
	v_dual_mov_b32 v32, 0 :: v_dual_mov_b32 v51, v31
	s_delay_alu instid0(VALU_DEP_4) | instskip(NEXT) | instid1(VALU_DEP_1)
	v_sub_co_u32 v0, s1, v0, s12
	v_sub_co_ci_u32_e64 v1, null, 0, s15, s1
	v_sub_co_u32 v4, s1, s12, v58
	s_delay_alu instid0(VALU_DEP_3) | instskip(NEXT) | instid1(VALU_DEP_3)
	v_add_co_u32 v0, vcc_lo, v0, v48
	v_add_co_ci_u32_e32 v1, vcc_lo, v1, v49, vcc_lo
	v_sub_co_ci_u32_e64 v5, null, s15, 0, s1
	s_mov_b32 s10, 0
	s_delay_alu instid0(VALU_DEP_2)
	v_cmp_gt_i64_e32 vcc_lo, v[0:1], v[28:29]
	s_mov_b32 s7, exec_lo
	v_dual_mov_b32 v53, v27 :: v_dual_mov_b32 v52, v26
	v_dual_cndmask_b32 v1, v29, v1 :: v_dual_cndmask_b32 v0, v28, v0
	v_add_co_u32 v3, vcc_lo, v4, v3
	v_add_co_ci_u32_e32 v2, vcc_lo, v5, v2, vcc_lo
	s_delay_alu instid0(VALU_DEP_2) | instskip(NEXT) | instid1(VALU_DEP_2)
	v_add_co_u32 v0, vcc_lo, v3, v0
	v_add_co_ci_u32_e32 v1, vcc_lo, v2, v1, vcc_lo
	s_delay_alu instid0(VALU_DEP_2) | instskip(NEXT) | instid1(VALU_DEP_1)
	v_lshrrev_b32_e32 v2, 3, v0
	v_dual_mov_b32 v33, 0 :: v_dual_add_nc_u32 v2, 1, v2
	s_delay_alu instid0(VALU_DEP_1)
	v_dual_mov_b32 v50, v30 :: v_dual_mov_b32 v35, v33
	v_dual_mov_b32 v34, v32 :: v_dual_mov_b32 v41, v33
	;; [unrolled: 1-line block ×4, first 2 shown]
	v_dual_mov_b32 v47, v33 :: v_dual_and_b32 v2, 3, v2
	v_dual_mov_b32 v44, v32 :: v_dual_mov_b32 v43, v33
	v_dual_mov_b32 v46, v32 :: v_dual_mov_b32 v37, v33
	v_mov_b32_e32 v42, v32
	v_mov_b32_e32 v36, v32
	v_cmpx_ne_u32_e32 0, v2
	s_cbranch_execz .LBB146_23
; %bb.20:
	v_lshlrev_b64 v[4:5], 3, v[26:27]
	v_dual_mov_b32 v3, 0 :: v_dual_mov_b32 v36, 0
	v_dual_mov_b32 v37, 0 :: v_dual_lshlrev_b32 v2, 3, v2
	v_dual_mov_b32 v53, v27 :: v_dual_mov_b32 v52, v26
	s_delay_alu instid0(VALU_DEP_4)
	v_add_co_u32 v4, vcc_lo, s8, v4
	v_add_co_ci_u32_e32 v5, vcc_lo, s9, v5, vcc_lo
	v_dual_mov_b32 v51, v31 :: v_dual_mov_b32 v50, v30
	v_dual_mov_b32 v43, v37 :: v_dual_mov_b32 v42, v36
	;; [unrolled: 1-line block ×8, first 2 shown]
.LBB146_21:                             ; =>This Inner Loop Header: Depth=1
	global_load_b64 v[14:15], v[4:5], off
	s_clause 0x7
	global_load_b128 v[6:9], v[50:51], off offset:48
	global_load_b128 v[10:13], v[50:51], off offset:32
	;; [unrolled: 1-line block ×3, first 2 shown]
	global_load_b128 v[59:62], v[50:51], off
	global_load_b128 v[63:66], v[50:51], off offset:112
	global_load_b128 v[67:70], v[50:51], off offset:96
	;; [unrolled: 1-line block ×4, first 2 shown]
	v_add_co_u32 v4, s1, v4, 64
	s_delay_alu instid0(VALU_DEP_1) | instskip(SKIP_3) | instid1(VALU_DEP_1)
	v_add_co_ci_u32_e64 v5, s1, 0, v5, s1
	s_waitcnt vmcnt(8)
	v_sub_co_u32 v14, vcc_lo, v14, s12
	v_subrev_co_ci_u32_e32 v15, vcc_lo, s15, v15, vcc_lo
	v_lshlrev_b64 v[14:15], 6, v[14:15]
	s_waitcnt lgkmcnt(0)
	s_delay_alu instid0(VALU_DEP_1) | instskip(NEXT) | instid1(VALU_DEP_2)
	v_add_co_u32 v14, vcc_lo, s4, v14
	v_add_co_ci_u32_e32 v15, vcc_lo, s5, v15, vcc_lo
	v_add_co_u32 v50, vcc_lo, 0x400, v50
	v_add_co_ci_u32_e32 v51, vcc_lo, 0, v51, vcc_lo
	s_clause 0x3
	global_load_b128 v[79:82], v[14:15], off
	global_load_b128 v[83:86], v[14:15], off offset:16
	global_load_b128 v[87:90], v[14:15], off offset:32
	;; [unrolled: 1-line block ×3, first 2 shown]
	v_add_co_u32 v2, vcc_lo, v2, -8
	v_add_co_ci_u32_e32 v3, vcc_lo, -1, v3, vcc_lo
	v_add_co_u32 v52, vcc_lo, v52, 8
	v_add_co_ci_u32_e32 v53, vcc_lo, 0, v53, vcc_lo
	s_delay_alu instid0(VALU_DEP_3)
	v_cmp_eq_u64_e32 vcc_lo, 0, v[2:3]
	s_or_b32 s10, vcc_lo, s10
	s_waitcnt vmcnt(3)
	v_fma_f64 v[14:15], v[59:60], v[79:80], v[42:43]
	v_fma_f64 v[36:37], v[79:80], 0, v[36:37]
	v_fma_f64 v[42:43], v[10:11], v[79:80], v[44:45]
	v_fma_f64 v[44:45], v[79:80], 0, v[46:47]
	v_fma_f64 v[40:41], v[75:76], v[79:80], v[40:41]
	v_fma_f64 v[38:39], v[79:80], 0, v[38:39]
	v_fma_f64 v[32:33], v[67:68], v[79:80], v[32:33]
	v_fma_f64 v[34:35], v[79:80], 0, v[34:35]
	v_fma_f64 v[14:15], 0x80000000, v[81:82], v[14:15]
	v_fma_f64 v[36:37], v[59:60], v[81:82], v[36:37]
	v_fma_f64 v[42:43], 0x80000000, v[81:82], v[42:43]
	v_fma_f64 v[10:11], v[10:11], v[81:82], v[44:45]
	v_fma_f64 v[40:41], 0x80000000, v[81:82], v[40:41]
	v_fma_f64 v[38:39], v[75:76], v[81:82], v[38:39]
	v_fma_f64 v[32:33], 0x80000000, v[81:82], v[32:33]
	v_fma_f64 v[34:35], v[67:68], v[81:82], v[34:35]
	s_waitcnt vmcnt(2)
	v_fma_f64 v[14:15], v[61:62], v[83:84], v[14:15]
	v_fma_f64 v[36:37], v[83:84], 0, v[36:37]
	v_fma_f64 v[42:43], v[12:13], v[83:84], v[42:43]
	v_fma_f64 v[10:11], v[83:84], 0, v[10:11]
	v_fma_f64 v[40:41], v[77:78], v[83:84], v[40:41]
	v_fma_f64 v[38:39], v[83:84], 0, v[38:39]
	v_fma_f64 v[32:33], v[69:70], v[83:84], v[32:33]
	v_fma_f64 v[34:35], v[83:84], 0, v[34:35]
	v_fma_f64 v[14:15], 0x80000000, v[85:86], v[14:15]
	v_fma_f64 v[36:37], v[61:62], v[85:86], v[36:37]
	v_fma_f64 v[42:43], 0x80000000, v[85:86], v[42:43]
	v_fma_f64 v[10:11], v[12:13], v[85:86], v[10:11]
	v_fma_f64 v[12:13], 0x80000000, v[85:86], v[40:41]
	v_fma_f64 v[38:39], v[77:78], v[85:86], v[38:39]
	v_fma_f64 v[32:33], 0x80000000, v[85:86], v[32:33]
	v_fma_f64 v[34:35], v[69:70], v[85:86], v[34:35]
	;; [unrolled: 17-line block ×4, first 2 shown]
	s_and_not1_b32 exec_lo, exec_lo, s10
	s_cbranch_execnz .LBB146_21
; %bb.22:
	s_or_b32 exec_lo, exec_lo, s10
.LBB146_23:
	s_delay_alu instid0(SALU_CYCLE_1) | instskip(NEXT) | instid1(SALU_CYCLE_1)
	s_or_b32 exec_lo, exec_lo, s7
	s_mov_b32 s7, exec_lo
	v_cmpx_lt_u64_e32 23, v[0:1]
	s_cbranch_execz .LBB146_27
; %bb.24:
	v_lshlrev_b64 v[0:1], 3, v[52:53]
	s_mov_b32 s10, 0
	s_delay_alu instid0(VALU_DEP_1) | instskip(NEXT) | instid1(VALU_DEP_2)
	v_add_co_u32 v0, vcc_lo, v0, s8
	v_add_co_ci_u32_e32 v1, vcc_lo, s9, v1, vcc_lo
	s_delay_alu instid0(VALU_DEP_2) | instskip(NEXT) | instid1(VALU_DEP_2)
	v_add_co_u32 v54, vcc_lo, 0x80, v0
	v_add_co_ci_u32_e32 v55, vcc_lo, 0, v1, vcc_lo
.LBB146_25:                             ; =>This Inner Loop Header: Depth=1
	s_clause 0x1
	global_load_b64 v[56:57], v[54:55], off offset:-128
	global_load_b64 v[107:108], v[54:55], off offset:-64
	s_clause 0x3
	global_load_b128 v[4:7], v[50:51], off offset:32
	global_load_b128 v[8:11], v[50:51], off
	global_load_b128 v[0:3], v[50:51], off offset:96
	global_load_b128 v[12:15], v[50:51], off offset:64
	s_clause 0x1
	global_load_b64 v[111:112], v[54:55], off
	global_load_b64 v[113:114], v[54:55], off offset:64
	v_add_co_u32 v54, s1, 0x100, v54
	s_delay_alu instid0(VALU_DEP_1) | instskip(SKIP_3) | instid1(VALU_DEP_1)
	v_add_co_ci_u32_e64 v55, s1, 0, v55, s1
	s_waitcnt vmcnt(7)
	v_sub_co_u32 v56, vcc_lo, v56, s12
	v_subrev_co_ci_u32_e32 v57, vcc_lo, s15, v57, vcc_lo
	v_lshlrev_b64 v[56:57], 6, v[56:57]
	s_waitcnt lgkmcnt(0)
	s_delay_alu instid0(VALU_DEP_1) | instskip(NEXT) | instid1(VALU_DEP_2)
	v_add_co_u32 v56, vcc_lo, s4, v56
	v_add_co_ci_u32_e32 v57, vcc_lo, s5, v57, vcc_lo
	s_clause 0x1
	global_load_b128 v[59:62], v[56:57], off
	global_load_b128 v[63:66], v[56:57], off offset:16
	s_clause 0x3
	global_load_b128 v[67:70], v[50:51], off offset:48
	global_load_b128 v[71:74], v[50:51], off offset:16
	;; [unrolled: 1-line block ×4, first 2 shown]
	s_clause 0x1
	global_load_b128 v[83:86], v[56:57], off offset:32
	global_load_b128 v[87:90], v[56:57], off offset:48
	s_clause 0x3
	global_load_b128 v[91:94], v[50:51], off offset:1056
	global_load_b128 v[95:98], v[50:51], off offset:1024
	;; [unrolled: 1-line block ×4, first 2 shown]
	s_waitcnt vmcnt(18)
	v_sub_co_u32 v56, vcc_lo, v107, s12
	v_subrev_co_ci_u32_e32 v57, vcc_lo, s15, v108, vcc_lo
	s_delay_alu instid0(VALU_DEP_1) | instskip(NEXT) | instid1(VALU_DEP_1)
	v_lshlrev_b64 v[56:57], 6, v[56:57]
	v_add_co_u32 v56, vcc_lo, s4, v56
	s_delay_alu instid0(VALU_DEP_2)
	v_add_co_ci_u32_e32 v57, vcc_lo, s5, v57, vcc_lo
	s_waitcnt vmcnt(13)
	v_sub_co_u32 v111, vcc_lo, v111, s12
	v_subrev_co_ci_u32_e32 v112, vcc_lo, s15, v112, vcc_lo
	global_load_b128 v[107:110], v[56:57], off
	s_waitcnt vmcnt(12)
	v_fma_f64 v[36:37], v[59:60], 0, v[36:37]
	v_fma_f64 v[46:47], v[59:60], 0, v[46:47]
	;; [unrolled: 1-line block ×16, first 2 shown]
	global_load_b128 v[32:35], v[56:57], off offset:16
	s_waitcnt vmcnt(12)
	v_fma_f64 v[8:9], v[63:64], 0, v[8:9]
	v_fma_f64 v[4:5], v[63:64], 0, v[4:5]
	;; [unrolled: 1-line block ×16, first 2 shown]
	s_clause 0x3
	global_load_b128 v[0:3], v[50:51], off offset:1072
	global_load_b128 v[4:7], v[50:51], off offset:1040
	;; [unrolled: 1-line block ×5, first 2 shown]
	s_waitcnt vmcnt(12)
	v_fma_f64 v[44:45], v[83:84], 0, v[44:45]
	v_fma_f64 v[46:47], v[83:84], 0, v[46:47]
	;; [unrolled: 1-line block ×16, first 2 shown]
	global_load_b128 v[40:43], v[56:57], off offset:48
	s_waitcnt vmcnt(12)
	v_fma_f64 v[56:57], v[87:88], 0, v[44:45]
	v_fma_f64 v[75:76], v[87:88], 0, v[46:47]
	;; [unrolled: 1-line block ×8, first 2 shown]
	s_clause 0x3
	global_load_b128 v[44:47], v[50:51], off offset:2080
	global_load_b128 v[59:62], v[50:51], off offset:2048
	global_load_b128 v[63:66], v[50:51], off offset:2144
	global_load_b128 v[83:86], v[50:51], off offset:2112
	v_fma_f64 v[56:57], v[73:74], v[89:90], v[56:57]
	v_fma_f64 v[73:74], v[69:70], v[89:90], v[75:76]
	;; [unrolled: 1-line block ×8, first 2 shown]
	v_lshlrev_b64 v[67:68], 6, v[111:112]
	s_delay_alu instid0(VALU_DEP_1) | instskip(NEXT) | instid1(VALU_DEP_2)
	v_add_co_u32 v111, vcc_lo, s4, v67
	v_add_co_ci_u32_e32 v112, vcc_lo, s5, v68, vcc_lo
	global_load_b128 v[67:70], v[111:112], off
	s_waitcnt vmcnt(12)
	v_fma_f64 v[56:57], v[107:108], 0, v[56:57]
	v_fma_f64 v[73:74], v[107:108], 0, v[73:74]
	;; [unrolled: 1-line block ×15, first 2 shown]
	global_load_b128 v[71:74], v[111:112], off offset:16
	v_fma_f64 v[77:78], v[99:100], v[109:110], v[77:78]
	s_waitcnt vmcnt(12)
	v_fma_f64 v[56:57], v[32:33], 0, v[56:57]
	v_fma_f64 v[89:90], v[32:33], 0, v[89:90]
	;; [unrolled: 1-line block ×16, first 2 shown]
	s_clause 0x3
	global_load_b128 v[32:35], v[50:51], off offset:2096
	global_load_b128 v[75:78], v[50:51], off offset:2064
	;; [unrolled: 1-line block ×5, first 2 shown]
	s_waitcnt vmcnt(12)
	v_fma_f64 v[56:57], v[36:37], 0, v[56:57]
	v_fma_f64 v[95:96], v[36:37], 0, v[95:96]
	v_fma_f64 v[97:98], v[36:37], 0, v[97:98]
	v_fma_f64 v[99:100], v[4:5], v[36:37], v[99:100]
	v_fma_f64 v[103:104], v[0:1], v[36:37], v[103:104]
	v_fma_f64 v[105:106], v[12:13], v[36:37], v[105:106]
	v_fma_f64 v[107:108], v[8:9], v[36:37], v[107:108]
	v_fma_f64 v[36:37], v[36:37], 0, v[101:102]
	v_fma_f64 v[4:5], v[4:5], v[38:39], v[56:57]
	v_fma_f64 v[0:1], v[0:1], v[38:39], v[95:96]
	v_fma_f64 v[12:13], v[12:13], v[38:39], v[97:98]
	v_fma_f64 v[56:57], 0x80000000, v[38:39], v[99:100]
	v_fma_f64 v[95:96], 0x80000000, v[38:39], v[103:104]
	v_fma_f64 v[97:98], 0x80000000, v[38:39], v[105:106]
	v_fma_f64 v[99:100], 0x80000000, v[38:39], v[107:108]
	v_fma_f64 v[8:9], v[8:9], v[38:39], v[36:37]
	global_load_b128 v[36:39], v[111:112], off offset:48
	s_waitcnt vmcnt(12)
	v_fma_f64 v[4:5], v[40:41], 0, v[4:5]
	v_fma_f64 v[0:1], v[40:41], 0, v[0:1]
	;; [unrolled: 1-line block ×7, first 2 shown]
	s_clause 0x3
	global_load_b128 v[95:98], v[50:51], off offset:3104
	global_load_b128 v[99:102], v[50:51], off offset:3072
	;; [unrolled: 1-line block ×4, first 2 shown]
	v_fma_f64 v[8:9], v[40:41], 0, v[8:9]
	v_sub_co_u32 v40, vcc_lo, v113, s12
	v_subrev_co_ci_u32_e32 v41, vcc_lo, s15, v114, vcc_lo
	v_fma_f64 v[4:5], v[6:7], v[42:43], v[4:5]
	v_fma_f64 v[6:7], v[2:3], v[42:43], v[0:1]
	v_fma_f64 v[12:13], v[14:15], v[42:43], v[12:13]
	v_fma_f64 v[14:15], 0x80000000, v[42:43], v[56:57]
	v_fma_f64 v[56:57], 0x80000000, v[42:43], v[111:112]
	v_fma_f64 v[111:112], 0x80000000, v[42:43], v[115:116]
	v_fma_f64 v[115:116], 0x80000000, v[42:43], v[117:118]
	v_lshlrev_b64 v[0:1], 6, v[40:41]
	v_fma_f64 v[8:9], v[10:11], v[42:43], v[8:9]
	s_delay_alu instid0(VALU_DEP_2) | instskip(NEXT) | instid1(VALU_DEP_3)
	v_add_co_u32 v113, vcc_lo, s4, v0
	v_add_co_ci_u32_e32 v114, vcc_lo, s5, v1, vcc_lo
	v_add_co_u32 v52, vcc_lo, v52, 32
	v_add_co_ci_u32_e32 v53, vcc_lo, 0, v53, vcc_lo
	global_load_b128 v[0:3], v[113:114], off
	s_waitcnt vmcnt(12)
	v_fma_f64 v[4:5], v[67:68], 0, v[4:5]
	v_fma_f64 v[6:7], v[67:68], 0, v[6:7]
	;; [unrolled: 1-line block ×10, first 2 shown]
	global_load_b128 v[4:7], v[113:114], off offset:16
	v_fma_f64 v[10:11], 0x80000000, v[69:70], v[10:11]
	v_fma_f64 v[14:15], 0x80000000, v[69:70], v[14:15]
	v_fma_f64 v[40:41], 0x80000000, v[69:70], v[40:41]
	v_fma_f64 v[12:13], v[83:84], v[69:70], v[12:13]
	v_fma_f64 v[42:43], 0x80000000, v[69:70], v[42:43]
	v_fma_f64 v[8:9], v[63:64], v[69:70], v[8:9]
	s_waitcnt vmcnt(12)
	v_fma_f64 v[56:57], v[71:72], 0, v[56:57]
	v_fma_f64 v[44:45], v[71:72], 0, v[44:45]
	;; [unrolled: 1-line block ×16, first 2 shown]
	s_clause 0x3
	global_load_b128 v[8:11], v[50:51], off offset:3120
	global_load_b128 v[12:15], v[50:51], off offset:3088
	;; [unrolled: 1-line block ×5, first 2 shown]
	v_add_co_u32 v50, vcc_lo, 0x1000, v50
	v_add_co_ci_u32_e32 v51, vcc_lo, 0, v51, vcc_lo
	v_cmp_ge_i64_e32 vcc_lo, v[52:53], v[28:29]
	s_or_b32 s10, vcc_lo, s10
	s_waitcnt vmcnt(12)
	v_fma_f64 v[56:57], v[91:92], 0, v[56:57]
	v_fma_f64 v[44:45], v[91:92], 0, v[44:45]
	;; [unrolled: 1-line block ×16, first 2 shown]
	global_load_b128 v[67:70], v[113:114], off offset:48
	s_waitcnt vmcnt(12)
	v_fma_f64 v[56:57], v[36:37], 0, v[56:57]
	v_fma_f64 v[32:33], v[36:37], 0, v[32:33]
	v_fma_f64 v[79:80], v[77:78], v[36:37], v[85:86]
	v_fma_f64 v[75:76], v[34:35], v[36:37], v[75:76]
	v_fma_f64 v[44:45], v[89:90], v[36:37], v[44:45]
	v_fma_f64 v[46:47], v[36:37], 0, v[46:47]
	v_fma_f64 v[71:72], v[81:82], v[36:37], v[71:72]
	v_fma_f64 v[36:37], v[36:37], 0, v[73:74]
	v_fma_f64 v[56:57], v[77:78], v[38:39], v[56:57]
	v_fma_f64 v[32:33], v[34:35], v[38:39], v[32:33]
	v_fma_f64 v[73:74], 0x80000000, v[38:39], v[79:80]
	v_fma_f64 v[75:76], 0x80000000, v[38:39], v[75:76]
	v_fma_f64 v[34:35], 0x80000000, v[38:39], v[44:45]
	v_fma_f64 v[44:45], v[89:90], v[38:39], v[46:47]
	v_fma_f64 v[46:47], 0x80000000, v[38:39], v[71:72]
	v_fma_f64 v[36:37], v[81:82], v[38:39], v[36:37]
	s_waitcnt vmcnt(7)
	v_fma_f64 v[56:57], v[0:1], 0, v[56:57]
	v_fma_f64 v[32:33], v[0:1], 0, v[32:33]
	v_fma_f64 v[38:39], v[99:100], v[0:1], v[73:74]
	v_fma_f64 v[71:72], v[95:96], v[0:1], v[75:76]
	v_fma_f64 v[34:35], v[107:108], v[0:1], v[34:35]
	v_fma_f64 v[44:45], v[0:1], 0, v[44:45]
	v_fma_f64 v[46:47], v[103:104], v[0:1], v[46:47]
	v_fma_f64 v[0:1], v[0:1], 0, v[36:37]
	v_fma_f64 v[32:33], v[95:96], v[2:3], v[32:33]
	v_fma_f64 v[36:37], 0x80000000, v[2:3], v[38:39]
	v_fma_f64 v[38:39], v[99:100], v[2:3], v[56:57]
	v_fma_f64 v[56:57], 0x80000000, v[2:3], v[71:72]
	v_fma_f64 v[34:35], 0x80000000, v[2:3], v[34:35]
	v_fma_f64 v[44:45], v[107:108], v[2:3], v[44:45]
	v_fma_f64 v[46:47], 0x80000000, v[2:3], v[46:47]
	v_fma_f64 v[0:1], v[103:104], v[2:3], v[0:1]
	;; [unrolled: 17-line block ×5, first 2 shown]
	s_and_not1_b32 exec_lo, exec_lo, s10
	s_cbranch_execnz .LBB146_25
; %bb.26:
	s_or_b32 exec_lo, exec_lo, s10
.LBB146_27:
	s_delay_alu instid0(SALU_CYCLE_1)
	s_or_b32 exec_lo, exec_lo, s7
.LBB146_28:
	s_delay_alu instid0(SALU_CYCLE_1)
	s_or_b32 exec_lo, exec_lo, s6
	s_cbranch_execz .LBB146_30
	s_branch .LBB146_41
.LBB146_29:
                                        ; implicit-def: $vgpr36_vgpr37
                                        ; implicit-def: $vgpr42_vgpr43
                                        ; implicit-def: $vgpr46_vgpr47
                                        ; implicit-def: $vgpr44_vgpr45
                                        ; implicit-def: $vgpr38_vgpr39
                                        ; implicit-def: $vgpr40_vgpr41
                                        ; implicit-def: $vgpr34_vgpr35
                                        ; implicit-def: $vgpr32_vgpr33
.LBB146_30:
	v_mov_b32_e32 v36, 0
	v_mov_b32_e32 v37, 0
	s_delay_alu instid0(VALU_DEP_2) | instskip(NEXT) | instid1(VALU_DEP_2)
	v_mov_b32_e32 v34, v36
	v_dual_mov_b32 v32, v36 :: v_dual_mov_b32 v33, v37
	v_dual_mov_b32 v43, v37 :: v_dual_mov_b32 v42, v36
	;; [unrolled: 1-line block ×6, first 2 shown]
	v_mov_b32_e32 v35, v37
	s_and_saveexec_b32 s1, s0
	s_cbranch_execz .LBB146_40
; %bb.31:
	v_or_b32_e32 v0, 8, v58
	v_not_b32_e32 v3, v48
	v_not_b32_e32 v2, v49
	v_mov_b32_e32 v32, 0
	s_mov_b32 s7, 0
	v_sub_co_u32 v0, s0, v0, s12
	s_delay_alu instid0(VALU_DEP_1) | instskip(SKIP_1) | instid1(VALU_DEP_3)
	v_sub_co_ci_u32_e64 v1, null, 0, s15, s0
	v_sub_co_u32 v4, s0, s12, v58
	v_add_co_u32 v0, vcc_lo, v0, v48
	s_delay_alu instid0(VALU_DEP_3) | instskip(SKIP_2) | instid1(VALU_DEP_2)
	v_add_co_ci_u32_e32 v1, vcc_lo, v1, v49, vcc_lo
	v_sub_co_ci_u32_e64 v5, null, s15, 0, s0
	s_mov_b32 s6, exec_lo
	v_cmp_gt_i64_e32 vcc_lo, v[0:1], v[28:29]
	v_dual_cndmask_b32 v1, v29, v1 :: v_dual_cndmask_b32 v0, v28, v0
	v_add_co_u32 v3, vcc_lo, v4, v3
	v_add_co_ci_u32_e32 v2, vcc_lo, v5, v2, vcc_lo
	s_delay_alu instid0(VALU_DEP_2) | instskip(NEXT) | instid1(VALU_DEP_2)
	v_add_co_u32 v0, vcc_lo, v3, v0
	v_add_co_ci_u32_e32 v1, vcc_lo, v2, v1, vcc_lo
	s_delay_alu instid0(VALU_DEP_2) | instskip(NEXT) | instid1(VALU_DEP_1)
	v_lshrrev_b32_e32 v2, 3, v0
	v_dual_mov_b32 v33, 0 :: v_dual_add_nc_u32 v2, 1, v2
	s_delay_alu instid0(VALU_DEP_1) | instskip(SKIP_1) | instid1(VALU_DEP_3)
	v_dual_mov_b32 v35, v33 :: v_dual_mov_b32 v34, v32
	v_dual_mov_b32 v39, v33 :: v_dual_mov_b32 v38, v32
	v_dual_mov_b32 v45, v33 :: v_dual_and_b32 v2, 3, v2
	v_dual_mov_b32 v44, v32 :: v_dual_mov_b32 v47, v33
	v_dual_mov_b32 v46, v32 :: v_dual_mov_b32 v43, v33
	;; [unrolled: 1-line block ×4, first 2 shown]
	v_mov_b32_e32 v36, v32
	v_cmpx_ne_u32_e32 0, v2
	s_cbranch_execz .LBB146_35
; %bb.32:
	v_lshlrev_b64 v[4:5], 3, v[26:27]
	v_dual_mov_b32 v3, 0 :: v_dual_mov_b32 v36, 0
	v_dual_mov_b32 v37, 0 :: v_dual_lshlrev_b32 v2, 3, v2
	s_delay_alu instid0(VALU_DEP_2) | instskip(NEXT) | instid1(VALU_DEP_4)
	v_mov_b32_e32 v34, v36
	v_add_co_u32 v4, vcc_lo, s8, v4
	s_delay_alu instid0(VALU_DEP_3)
	v_mov_b32_e32 v35, v37
	v_add_co_ci_u32_e32 v5, vcc_lo, s9, v5, vcc_lo
	v_dual_mov_b32 v43, v37 :: v_dual_mov_b32 v42, v36
	v_dual_mov_b32 v47, v37 :: v_dual_mov_b32 v46, v36
	;; [unrolled: 1-line block ×6, first 2 shown]
.LBB146_33:                             ; =>This Inner Loop Header: Depth=1
	global_load_b64 v[14:15], v[4:5], off
	s_clause 0x1
	global_load_b128 v[6:9], v[30:31], off offset:16
	global_load_b128 v[10:13], v[30:31], off
	v_add_co_u32 v4, s0, v4, 64
	s_delay_alu instid0(VALU_DEP_1) | instskip(SKIP_3) | instid1(VALU_DEP_1)
	v_add_co_ci_u32_e64 v5, s0, 0, v5, s0
	s_waitcnt vmcnt(2)
	v_sub_co_u32 v14, vcc_lo, v14, s12
	v_subrev_co_ci_u32_e32 v15, vcc_lo, s15, v15, vcc_lo
	v_lshlrev_b64 v[14:15], 6, v[14:15]
	s_waitcnt lgkmcnt(0)
	s_delay_alu instid0(VALU_DEP_1) | instskip(NEXT) | instid1(VALU_DEP_2)
	v_add_co_u32 v14, vcc_lo, s4, v14
	v_add_co_ci_u32_e32 v15, vcc_lo, s5, v15, vcc_lo
	s_clause 0x1
	global_load_b128 v[48:51], v[14:15], off
	global_load_b128 v[52:55], v[14:15], off offset:16
	s_clause 0x3
	global_load_b128 v[59:62], v[30:31], off offset:32
	global_load_b128 v[63:66], v[30:31], off offset:48
	;; [unrolled: 1-line block ×4, first 2 shown]
	s_clause 0x1
	global_load_b128 v[75:78], v[14:15], off offset:32
	global_load_b128 v[79:82], v[14:15], off offset:48
	s_clause 0x1
	global_load_b128 v[83:86], v[30:31], off offset:96
	global_load_b128 v[87:90], v[30:31], off offset:112
	v_add_co_u32 v30, vcc_lo, 0x400, v30
	v_add_co_ci_u32_e32 v31, vcc_lo, 0, v31, vcc_lo
	v_add_co_u32 v2, vcc_lo, v2, -8
	v_add_co_ci_u32_e32 v3, vcc_lo, -1, v3, vcc_lo
	v_add_co_u32 v26, vcc_lo, v26, 8
	v_add_co_ci_u32_e32 v27, vcc_lo, 0, v27, vcc_lo
	s_delay_alu instid0(VALU_DEP_3)
	v_cmp_eq_u64_e32 vcc_lo, 0, v[2:3]
	s_or_b32 s7, vcc_lo, s7
	s_waitcnt vmcnt(9)
	v_fma_f64 v[14:15], v[10:11], v[48:49], v[42:43]
	v_fma_f64 v[36:37], v[48:49], 0, v[36:37]
	;; [unrolled: 1-line block ×16, first 2 shown]
	s_waitcnt vmcnt(7)
	v_fma_f64 v[14:15], v[59:60], v[52:53], v[14:15]
	v_fma_f64 v[10:11], v[52:53], 0, v[10:11]
	;; [unrolled: 1-line block ×4, first 2 shown]
	s_waitcnt vmcnt(6)
	v_fma_f64 v[36:37], v[63:64], v[52:53], v[40:41]
	v_fma_f64 v[6:7], v[52:53], 0, v[6:7]
	;; [unrolled: 1-line block ×12, first 2 shown]
	s_waitcnt vmcnt(3)
	v_fma_f64 v[14:15], v[71:72], v[75:76], v[14:15]
	v_fma_f64 v[10:11], v[75:76], 0, v[10:11]
	;; [unrolled: 1-line block ×16, first 2 shown]
	s_waitcnt vmcnt(1)
	v_fma_f64 v[14:15], v[83:84], v[79:80], v[14:15]
	v_fma_f64 v[10:11], v[79:80], 0, v[10:11]
	;; [unrolled: 1-line block ×4, first 2 shown]
	s_waitcnt vmcnt(0)
	v_fma_f64 v[38:39], v[87:88], v[79:80], v[36:37]
	v_fma_f64 v[6:7], v[79:80], 0, v[6:7]
	;; [unrolled: 1-line block ×12, first 2 shown]
	s_and_not1_b32 exec_lo, exec_lo, s7
	s_cbranch_execnz .LBB146_33
; %bb.34:
	s_or_b32 exec_lo, exec_lo, s7
.LBB146_35:
	s_delay_alu instid0(SALU_CYCLE_1) | instskip(NEXT) | instid1(SALU_CYCLE_1)
	s_or_b32 exec_lo, exec_lo, s6
	s_mov_b32 s6, exec_lo
	v_cmpx_lt_u64_e32 23, v[0:1]
	s_cbranch_execz .LBB146_39
; %bb.36:
	v_lshlrev_b64 v[0:1], 3, v[26:27]
	s_mov_b32 s7, 0
	s_delay_alu instid0(VALU_DEP_1) | instskip(NEXT) | instid1(VALU_DEP_2)
	v_add_co_u32 v0, vcc_lo, v0, s8
	v_add_co_ci_u32_e32 v1, vcc_lo, s9, v1, vcc_lo
	s_delay_alu instid0(VALU_DEP_2) | instskip(NEXT) | instid1(VALU_DEP_2)
	v_add_co_u32 v0, vcc_lo, 0x80, v0
	v_add_co_ci_u32_e32 v1, vcc_lo, 0, v1, vcc_lo
.LBB146_37:                             ; =>This Inner Loop Header: Depth=1
	s_clause 0x1
	global_load_b64 v[2:3], v[0:1], off offset:-128
	global_load_b64 v[56:57], v[0:1], off offset:-64
	s_clause 0x1
	global_load_b128 v[4:7], v[30:31], off offset:16
	global_load_b128 v[8:11], v[30:31], off
	s_clause 0x1
	global_load_b64 v[99:100], v[0:1], off
	global_load_b64 v[101:102], v[0:1], off offset:64
	v_add_co_u32 v0, s0, 0x100, v0
	s_delay_alu instid0(VALU_DEP_1) | instskip(SKIP_3) | instid1(VALU_DEP_1)
	v_add_co_ci_u32_e64 v1, s0, 0, v1, s0
	s_waitcnt vmcnt(5)
	v_sub_co_u32 v2, vcc_lo, v2, s12
	v_subrev_co_ci_u32_e32 v3, vcc_lo, s15, v3, vcc_lo
	v_lshlrev_b64 v[2:3], 6, v[2:3]
	s_waitcnt lgkmcnt(0)
	s_delay_alu instid0(VALU_DEP_1) | instskip(NEXT) | instid1(VALU_DEP_2)
	v_add_co_u32 v2, vcc_lo, s4, v2
	v_add_co_ci_u32_e32 v3, vcc_lo, s5, v3, vcc_lo
	global_load_b128 v[12:15], v[2:3], off
	s_clause 0x1
	global_load_b128 v[48:51], v[30:31], off offset:32
	global_load_b128 v[52:55], v[30:31], off offset:48
	global_load_b128 v[59:62], v[2:3], off offset:16
	s_clause 0x1
	global_load_b128 v[63:66], v[30:31], off offset:80
	global_load_b128 v[67:70], v[30:31], off offset:64
	global_load_b128 v[71:74], v[2:3], off offset:32
	;; [unrolled: 4-line block ×3, first 2 shown]
	s_clause 0x1
	global_load_b128 v[87:90], v[30:31], off offset:1040
	global_load_b128 v[91:94], v[30:31], off offset:1024
	s_waitcnt vmcnt(16)
	v_sub_co_u32 v2, vcc_lo, v56, s12
	v_subrev_co_ci_u32_e32 v3, vcc_lo, s15, v57, vcc_lo
	s_delay_alu instid0(VALU_DEP_1) | instskip(NEXT) | instid1(VALU_DEP_1)
	v_lshlrev_b64 v[2:3], 6, v[2:3]
	v_add_co_u32 v56, vcc_lo, s4, v2
	s_delay_alu instid0(VALU_DEP_2)
	v_add_co_ci_u32_e32 v57, vcc_lo, s5, v3, vcc_lo
	global_load_b128 v[95:98], v[56:57], off
	s_waitcnt vmcnt(12)
	v_fma_f64 v[2:3], v[12:13], 0, v[36:37]
	v_fma_f64 v[36:37], v[12:13], 0, v[46:47]
	v_fma_f64 v[42:43], v[8:9], v[12:13], v[42:43]
	v_fma_f64 v[44:45], v[10:11], v[12:13], v[44:45]
	v_fma_f64 v[40:41], v[4:5], v[12:13], v[40:41]
	v_fma_f64 v[38:39], v[12:13], 0, v[38:39]
	v_fma_f64 v[32:33], v[6:7], v[12:13], v[32:33]
	v_fma_f64 v[12:13], v[12:13], 0, v[34:35]
	v_fma_f64 v[34:35], v[8:9], v[14:15], v[2:3]
	v_fma_f64 v[36:37], v[10:11], v[14:15], v[36:37]
	v_fma_f64 v[42:43], 0x80000000, v[14:15], v[42:43]
	v_fma_f64 v[44:45], 0x80000000, v[14:15], v[44:45]
	v_fma_f64 v[40:41], 0x80000000, v[14:15], v[40:41]
	v_fma_f64 v[38:39], v[4:5], v[14:15], v[38:39]
	v_fma_f64 v[32:33], 0x80000000, v[14:15], v[32:33]
	v_fma_f64 v[14:15], v[6:7], v[14:15], v[12:13]
	s_clause 0x1
	global_load_b128 v[2:5], v[30:31], off offset:1056
	global_load_b128 v[6:9], v[30:31], off offset:1072
	global_load_b128 v[10:13], v[56:57], off offset:16
	s_waitcnt vmcnt(12)
	v_fma_f64 v[34:35], v[59:60], 0, v[34:35]
	v_fma_f64 v[36:37], v[59:60], 0, v[36:37]
	v_fma_f64 v[42:43], v[48:49], v[59:60], v[42:43]
	v_fma_f64 v[44:45], v[50:51], v[59:60], v[44:45]
	v_fma_f64 v[40:41], v[52:53], v[59:60], v[40:41]
	v_fma_f64 v[38:39], v[59:60], 0, v[38:39]
	v_fma_f64 v[32:33], v[54:55], v[59:60], v[32:33]
	v_fma_f64 v[14:15], v[59:60], 0, v[14:15]
	v_fma_f64 v[46:47], v[48:49], v[61:62], v[34:35]
	v_fma_f64 v[48:49], v[50:51], v[61:62], v[36:37]
	v_fma_f64 v[50:51], 0x80000000, v[61:62], v[42:43]
	v_fma_f64 v[44:45], 0x80000000, v[61:62], v[44:45]
	v_fma_f64 v[59:60], 0x80000000, v[61:62], v[40:41]
	v_fma_f64 v[52:53], v[52:53], v[61:62], v[38:39]
	v_fma_f64 v[103:104], 0x80000000, v[61:62], v[32:33]
	v_fma_f64 v[14:15], v[54:55], v[61:62], v[14:15]
	s_clause 0x1
	global_load_b128 v[32:35], v[30:31], off offset:1104
	global_load_b128 v[36:39], v[30:31], off offset:1088
	global_load_b128 v[40:43], v[56:57], off offset:32
	;; [unrolled: 21-line block ×3, first 2 shown]
	s_waitcnt vmcnt(12)
	v_fma_f64 v[56:57], v[83:84], 0, v[61:62]
	v_fma_f64 v[67:68], v[83:84], 0, v[67:68]
	;; [unrolled: 1-line block ×8, first 2 shown]
	v_sub_co_u32 v83, vcc_lo, v99, s12
	v_subrev_co_ci_u32_e32 v84, vcc_lo, s15, v100, vcc_lo
	s_clause 0x1
	global_load_b128 v[59:62], v[30:31], off offset:2064
	global_load_b128 v[63:66], v[30:31], off offset:2048
	v_fma_f64 v[56:57], v[75:76], v[85:86], v[56:57]
	v_fma_f64 v[75:76], v[77:78], v[85:86], v[67:68]
	;; [unrolled: 1-line block ×8, first 2 shown]
	v_lshlrev_b64 v[67:68], 6, v[83:84]
	s_delay_alu instid0(VALU_DEP_1) | instskip(NEXT) | instid1(VALU_DEP_2)
	v_add_co_u32 v83, vcc_lo, s4, v67
	v_add_co_ci_u32_e32 v84, vcc_lo, s5, v68, vcc_lo
	global_load_b128 v[67:70], v[83:84], off
	s_waitcnt vmcnt(12)
	v_fma_f64 v[56:57], v[95:96], 0, v[56:57]
	v_fma_f64 v[75:76], v[95:96], 0, v[75:76]
	v_fma_f64 v[77:78], v[91:92], v[95:96], v[77:78]
	v_fma_f64 v[71:72], v[93:94], v[95:96], v[71:72]
	v_fma_f64 v[73:74], v[87:88], v[95:96], v[73:74]
	v_fma_f64 v[79:80], v[95:96], 0, v[79:80]
	v_fma_f64 v[81:82], v[89:90], v[95:96], v[103:104]
	v_fma_f64 v[14:15], v[95:96], 0, v[14:15]
	v_fma_f64 v[56:57], v[91:92], v[97:98], v[56:57]
	v_fma_f64 v[85:86], v[93:94], v[97:98], v[75:76]
	v_fma_f64 v[91:92], 0x80000000, v[97:98], v[77:78]
	v_fma_f64 v[93:94], 0x80000000, v[97:98], v[71:72]
	v_fma_f64 v[95:96], 0x80000000, v[97:98], v[73:74]
	v_fma_f64 v[87:88], v[87:88], v[97:98], v[79:80]
	v_fma_f64 v[99:100], 0x80000000, v[97:98], v[81:82]
	v_fma_f64 v[14:15], v[89:90], v[97:98], v[14:15]
	s_clause 0x1
	global_load_b128 v[71:74], v[30:31], off offset:2080
	global_load_b128 v[75:78], v[30:31], off offset:2096
	global_load_b128 v[79:82], v[83:84], off offset:16
	s_waitcnt vmcnt(12)
	v_fma_f64 v[56:57], v[10:11], 0, v[56:57]
	v_fma_f64 v[85:86], v[10:11], 0, v[85:86]
	v_fma_f64 v[89:90], v[2:3], v[10:11], v[91:92]
	v_fma_f64 v[91:92], v[4:5], v[10:11], v[93:94]
	v_fma_f64 v[93:94], v[6:7], v[10:11], v[95:96]
	v_fma_f64 v[87:88], v[10:11], 0, v[87:88]
	v_fma_f64 v[95:96], v[8:9], v[10:11], v[99:100]
	v_fma_f64 v[10:11], v[10:11], 0, v[14:15]
	v_fma_f64 v[14:15], v[2:3], v[12:13], v[56:57]
	v_fma_f64 v[56:57], v[4:5], v[12:13], v[85:86]
	v_fma_f64 v[85:86], 0x80000000, v[12:13], v[89:90]
	v_fma_f64 v[89:90], 0x80000000, v[12:13], v[91:92]
	v_fma_f64 v[91:92], 0x80000000, v[12:13], v[93:94]
	v_fma_f64 v[87:88], v[6:7], v[12:13], v[87:88]
	v_fma_f64 v[93:94], 0x80000000, v[12:13], v[95:96]
	v_fma_f64 v[95:96], v[8:9], v[12:13], v[10:11]
	s_clause 0x1
	global_load_b128 v[2:5], v[30:31], off offset:2128
	global_load_b128 v[6:9], v[30:31], off offset:2112
	global_load_b128 v[10:13], v[83:84], off offset:32
	;; [unrolled: 21-line block ×3, first 2 shown]
	s_waitcnt vmcnt(12)
	v_fma_f64 v[14:15], v[52:53], 0, v[14:15]
	v_fma_f64 v[56:57], v[52:53], 0, v[56:57]
	;; [unrolled: 1-line block ×8, first 2 shown]
	v_sub_co_u32 v95, vcc_lo, v101, s12
	v_subrev_co_ci_u32_e32 v96, vcc_lo, s15, v102, vcc_lo
	s_clause 0x1
	global_load_b128 v[83:86], v[30:31], off offset:3088
	global_load_b128 v[87:90], v[30:31], off offset:3072
	v_fma_f64 v[14:15], v[44:45], v[54:55], v[14:15]
	v_fma_f64 v[56:57], v[46:47], v[54:55], v[56:57]
	v_fma_f64 v[97:98], 0x80000000, v[54:55], v[97:98]
	v_fma_f64 v[99:100], 0x80000000, v[54:55], v[99:100]
	v_fma_f64 v[91:92], 0x80000000, v[54:55], v[91:92]
	v_fma_f64 v[48:49], v[48:49], v[54:55], v[103:104]
	v_fma_f64 v[93:94], 0x80000000, v[54:55], v[93:94]
	v_fma_f64 v[50:51], v[50:51], v[54:55], v[52:53]
	v_lshlrev_b64 v[44:45], 6, v[95:96]
	s_delay_alu instid0(VALU_DEP_1) | instskip(NEXT) | instid1(VALU_DEP_2)
	v_add_co_u32 v95, vcc_lo, s4, v44
	v_add_co_ci_u32_e32 v96, vcc_lo, s5, v45, vcc_lo
	v_add_co_u32 v26, vcc_lo, v26, 32
	v_add_co_ci_u32_e32 v27, vcc_lo, 0, v27, vcc_lo
	global_load_b128 v[44:47], v[95:96], off
	s_waitcnt vmcnt(12)
	v_fma_f64 v[14:15], v[67:68], 0, v[14:15]
	v_fma_f64 v[56:57], v[67:68], 0, v[56:57]
	v_fma_f64 v[52:53], v[63:64], v[67:68], v[97:98]
	v_fma_f64 v[54:55], v[65:66], v[67:68], v[99:100]
	v_fma_f64 v[91:92], v[59:60], v[67:68], v[91:92]
	v_fma_f64 v[48:49], v[67:68], 0, v[48:49]
	v_fma_f64 v[93:94], v[61:62], v[67:68], v[93:94]
	v_fma_f64 v[50:51], v[67:68], 0, v[50:51]
	v_fma_f64 v[14:15], v[63:64], v[69:70], v[14:15]
	v_fma_f64 v[56:57], v[65:66], v[69:70], v[56:57]
	v_fma_f64 v[67:68], 0x80000000, v[69:70], v[52:53]
	v_fma_f64 v[63:64], 0x80000000, v[69:70], v[54:55]
	v_fma_f64 v[65:66], 0x80000000, v[69:70], v[91:92]
	v_fma_f64 v[91:92], v[59:60], v[69:70], v[48:49]
	v_fma_f64 v[93:94], 0x80000000, v[69:70], v[93:94]
	v_fma_f64 v[69:70], v[61:62], v[69:70], v[50:51]
	s_clause 0x1
	global_load_b128 v[48:51], v[30:31], off offset:3104
	global_load_b128 v[52:55], v[30:31], off offset:3120
	global_load_b128 v[59:62], v[95:96], off offset:16
	s_waitcnt vmcnt(12)
	v_fma_f64 v[14:15], v[79:80], 0, v[14:15]
	v_fma_f64 v[56:57], v[79:80], 0, v[56:57]
	v_fma_f64 v[67:68], v[71:72], v[79:80], v[67:68]
	v_fma_f64 v[63:64], v[73:74], v[79:80], v[63:64]
	v_fma_f64 v[65:66], v[75:76], v[79:80], v[65:66]
	v_fma_f64 v[91:92], v[79:80], 0, v[91:92]
	v_fma_f64 v[93:94], v[77:78], v[79:80], v[93:94]
	v_fma_f64 v[69:70], v[79:80], 0, v[69:70]
	v_fma_f64 v[14:15], v[71:72], v[81:82], v[14:15]
	v_fma_f64 v[56:57], v[73:74], v[81:82], v[56:57]
	v_fma_f64 v[79:80], 0x80000000, v[81:82], v[67:68]
	v_fma_f64 v[97:98], 0x80000000, v[81:82], v[63:64]
	v_fma_f64 v[99:100], 0x80000000, v[81:82], v[65:66]
	v_fma_f64 v[75:76], v[75:76], v[81:82], v[91:92]
	v_fma_f64 v[91:92], 0x80000000, v[81:82], v[93:94]
	v_fma_f64 v[77:78], v[77:78], v[81:82], v[69:70]
	s_clause 0x1
	global_load_b128 v[63:66], v[30:31], off offset:3152
	global_load_b128 v[67:70], v[30:31], off offset:3136
	global_load_b128 v[71:74], v[95:96], off offset:32
	;; [unrolled: 21-line block ×3, first 2 shown]
	v_add_co_u32 v30, vcc_lo, 0x1000, v30
	v_add_co_ci_u32_e32 v31, vcc_lo, 0, v31, vcc_lo
	v_cmp_ge_i64_e32 vcc_lo, v[26:27], v[28:29]
	s_or_b32 s7, vcc_lo, s7
	s_waitcnt vmcnt(12)
	v_fma_f64 v[14:15], v[40:41], 0, v[14:15]
	v_fma_f64 v[56:57], v[40:41], 0, v[56:57]
	v_fma_f64 v[77:78], v[32:33], v[40:41], v[77:78]
	v_fma_f64 v[79:80], v[34:35], v[40:41], v[79:80]
	v_fma_f64 v[81:82], v[36:37], v[40:41], v[81:82]
	v_fma_f64 v[75:76], v[40:41], 0, v[75:76]
	v_fma_f64 v[91:92], v[38:39], v[40:41], v[91:92]
	v_fma_f64 v[40:41], v[40:41], 0, v[93:94]
	v_fma_f64 v[14:15], v[32:33], v[42:43], v[14:15]
	v_fma_f64 v[34:35], v[34:35], v[42:43], v[56:57]
	v_fma_f64 v[77:78], 0x80000000, v[42:43], v[77:78]
	v_fma_f64 v[32:33], 0x80000000, v[42:43], v[79:80]
	v_fma_f64 v[56:57], 0x80000000, v[42:43], v[81:82]
	v_fma_f64 v[36:37], v[36:37], v[42:43], v[75:76]
	v_fma_f64 v[75:76], 0x80000000, v[42:43], v[91:92]
	v_fma_f64 v[38:39], v[38:39], v[42:43], v[40:41]
	s_waitcnt vmcnt(9)
	v_fma_f64 v[14:15], v[44:45], 0, v[14:15]
	v_fma_f64 v[34:35], v[44:45], 0, v[34:35]
	v_fma_f64 v[40:41], v[87:88], v[44:45], v[77:78]
	v_fma_f64 v[32:33], v[89:90], v[44:45], v[32:33]
	v_fma_f64 v[42:43], v[83:84], v[44:45], v[56:57]
	v_fma_f64 v[36:37], v[44:45], 0, v[36:37]
	v_fma_f64 v[56:57], v[85:86], v[44:45], v[75:76]
	v_fma_f64 v[38:39], v[44:45], 0, v[38:39]
	v_fma_f64 v[14:15], v[87:88], v[46:47], v[14:15]
	v_fma_f64 v[34:35], v[89:90], v[46:47], v[34:35]
	v_fma_f64 v[40:41], 0x80000000, v[46:47], v[40:41]
	v_fma_f64 v[32:33], 0x80000000, v[46:47], v[32:33]
	v_fma_f64 v[42:43], 0x80000000, v[46:47], v[42:43]
	v_fma_f64 v[36:37], v[83:84], v[46:47], v[36:37]
	v_fma_f64 v[44:45], 0x80000000, v[46:47], v[56:57]
	v_fma_f64 v[38:39], v[85:86], v[46:47], v[38:39]
	;; [unrolled: 17-line block ×5, first 2 shown]
	s_and_not1_b32 exec_lo, exec_lo, s7
	s_cbranch_execnz .LBB146_37
; %bb.38:
	s_or_b32 exec_lo, exec_lo, s7
.LBB146_39:
	s_delay_alu instid0(SALU_CYCLE_1)
	s_or_b32 exec_lo, exec_lo, s6
.LBB146_40:
	s_delay_alu instid0(SALU_CYCLE_1)
	s_or_b32 exec_lo, exec_lo, s1
.LBB146_41:
	v_mbcnt_lo_u32_b32 v48, -1, 0
	s_delay_alu instid0(VALU_DEP_1) | instskip(NEXT) | instid1(VALU_DEP_1)
	v_xor_b32_e32 v0, 4, v48
	v_cmp_gt_i32_e32 vcc_lo, 32, v0
	v_cndmask_b32_e32 v0, v48, v0, vcc_lo
	s_delay_alu instid0(VALU_DEP_1)
	v_lshlrev_b32_e32 v15, 2, v0
	ds_bpermute_b32 v0, v15, v42
	ds_bpermute_b32 v1, v15, v43
	;; [unrolled: 1-line block ×16, first 2 shown]
	s_waitcnt lgkmcnt(0)
	v_add_f64 v[0:1], v[42:43], v[0:1]
	v_add_f64 v[2:3], v[36:37], v[2:3]
	;; [unrolled: 1-line block ×8, first 2 shown]
	v_xor_b32_e32 v14, 2, v48
	s_delay_alu instid0(VALU_DEP_1) | instskip(SKIP_1) | instid1(VALU_DEP_1)
	v_cmp_gt_i32_e32 vcc_lo, 32, v14
	v_cndmask_b32_e32 v14, v48, v14, vcc_lo
	v_lshlrev_b32_e32 v41, 2, v14
	ds_bpermute_b32 v14, v41, v0
	ds_bpermute_b32 v15, v41, v1
	;; [unrolled: 1-line block ×16, first 2 shown]
	s_waitcnt lgkmcnt(14)
	v_add_f64 v[0:1], v[0:1], v[14:15]
	s_waitcnt lgkmcnt(12)
	v_add_f64 v[28:29], v[2:3], v[28:29]
	;; [unrolled: 2-line block ×7, first 2 shown]
	v_xor_b32_e32 v12, 1, v48
	s_waitcnt lgkmcnt(0)
	v_add_f64 v[8:9], v[26:27], v[40:41]
	s_delay_alu instid0(VALU_DEP_2) | instskip(SKIP_2) | instid1(VALU_DEP_2)
	v_cmp_gt_i32_e32 vcc_lo, 32, v12
	v_cndmask_b32_e32 v12, v48, v12, vcc_lo
	v_cmp_eq_u32_e32 vcc_lo, 7, v58
	v_lshlrev_b32_e32 v35, 2, v12
	ds_bpermute_b32 v12, v35, v0
	ds_bpermute_b32 v13, v35, v1
	;; [unrolled: 1-line block ×16, first 2 shown]
	s_and_b32 exec_lo, exec_lo, vcc_lo
	s_cbranch_execz .LBB146_12
; %bb.42:
	s_waitcnt lgkmcnt(12)
	v_add_f64 v[28:29], v[28:29], v[40:41]
	s_waitcnt lgkmcnt(8)
	v_add_f64 v[14:15], v[14:15], v[38:39]
	;; [unrolled: 2-line block ×4, first 2 shown]
	v_add_f64 v[0:1], v[0:1], v[12:13]
	v_add_f64 v[2:3], v[2:3], v[26:27]
	;; [unrolled: 1-line block ×4, first 2 shown]
	v_cmp_eq_f64_e32 vcc_lo, 0, v[16:17]
	v_cmp_eq_f64_e64 s0, 0, v[18:19]
	s_load_b64 s[2:3], s[2:3], 0x68
	v_mul_f64 v[4:5], v[28:29], -v[22:23]
	v_mul_f64 v[6:7], v[20:21], v[28:29]
	v_mul_f64 v[28:29], v[14:15], -v[22:23]
	v_mul_f64 v[32:33], v[20:21], v[14:15]
	;; [unrolled: 2-line block ×4, first 2 shown]
	s_and_b32 s0, vcc_lo, s0
	v_fma_f64 v[12:13], v[20:21], v[0:1], v[4:5]
	v_fma_f64 v[14:15], v[22:23], v[0:1], v[6:7]
	;; [unrolled: 1-line block ×8, first 2 shown]
	v_lshlrev_b64 v[20:21], 6, v[24:25]
	s_and_saveexec_b32 s1, s0
	s_delay_alu instid0(SALU_CYCLE_1)
	s_xor_b32 s0, exec_lo, s1
	s_cbranch_execz .LBB146_44
; %bb.43:
	s_waitcnt lgkmcnt(0)
	s_delay_alu instid0(VALU_DEP_1)
	v_add_co_u32 v16, vcc_lo, s2, v20
	v_add_co_ci_u32_e32 v17, vcc_lo, s3, v21, vcc_lo
                                        ; implicit-def: $vgpr18_vgpr19
                                        ; implicit-def: $vgpr20_vgpr21
	s_clause 0x3
	global_store_b128 v[16:17], v[12:15], off
	global_store_b128 v[16:17], v[8:11], off offset:16
	global_store_b128 v[16:17], v[4:7], off offset:32
	global_store_b128 v[16:17], v[0:3], off offset:48
                                        ; implicit-def: $vgpr16_vgpr17
                                        ; implicit-def: $vgpr12_vgpr13
                                        ; implicit-def: $vgpr8_vgpr9
                                        ; implicit-def: $vgpr4_vgpr5
                                        ; implicit-def: $vgpr0_vgpr1
.LBB146_44:
	s_and_not1_saveexec_b32 s0, s0
	s_cbranch_execz .LBB146_12
; %bb.45:
	s_waitcnt lgkmcnt(0)
	v_add_co_u32 v36, vcc_lo, s2, v20
	v_add_co_ci_u32_e32 v37, vcc_lo, s3, v21, vcc_lo
	s_clause 0x3
	global_load_b128 v[20:23], v[36:37], off
	global_load_b128 v[24:27], v[36:37], off offset:16
	global_load_b128 v[28:31], v[36:37], off offset:32
	;; [unrolled: 1-line block ×3, first 2 shown]
	s_waitcnt vmcnt(3)
	v_fma_f64 v[12:13], v[16:17], v[20:21], v[12:13]
	v_fma_f64 v[14:15], v[18:19], v[20:21], v[14:15]
	s_waitcnt vmcnt(2)
	v_fma_f64 v[8:9], v[16:17], v[24:25], v[8:9]
	v_fma_f64 v[10:11], v[18:19], v[24:25], v[10:11]
	;; [unrolled: 3-line block ×4, first 2 shown]
	v_fma_f64 v[0:1], -v[18:19], v[22:23], v[12:13]
	v_fma_f64 v[2:3], v[16:17], v[22:23], v[14:15]
	v_fma_f64 v[4:5], -v[18:19], v[26:27], v[8:9]
	v_fma_f64 v[6:7], v[16:17], v[26:27], v[10:11]
	;; [unrolled: 2-line block ×4, first 2 shown]
	s_clause 0x3
	global_store_b128 v[36:37], v[0:3], off
	global_store_b128 v[36:37], v[4:7], off offset:16
	global_store_b128 v[36:37], v[8:11], off offset:32
	;; [unrolled: 1-line block ×3, first 2 shown]
	s_nop 0
	s_sendmsg sendmsg(MSG_DEALLOC_VGPRS)
	s_endpgm
	.section	.rodata,"a",@progbits
	.p2align	6, 0x0
	.amdhsa_kernel _ZN9rocsparseL18bsrxmvn_4x4_kernelILj128ELj8E21rocsparse_complex_numIdElldS2_S2_EEvT3_20rocsparse_direction_NS_24const_host_device_scalarIT1_EES3_PKS3_PKT2_SC_S9_PKT4_PKT5_S7_PT6_21rocsparse_index_base_b
		.amdhsa_group_segment_fixed_size 2048
		.amdhsa_private_segment_fixed_size 0
		.amdhsa_kernarg_size 120
		.amdhsa_user_sgpr_count 15
		.amdhsa_user_sgpr_dispatch_ptr 1
		.amdhsa_user_sgpr_queue_ptr 0
		.amdhsa_user_sgpr_kernarg_segment_ptr 1
		.amdhsa_user_sgpr_dispatch_id 0
		.amdhsa_user_sgpr_private_segment_size 0
		.amdhsa_wavefront_size32 1
		.amdhsa_uses_dynamic_stack 0
		.amdhsa_enable_private_segment 0
		.amdhsa_system_sgpr_workgroup_id_x 1
		.amdhsa_system_sgpr_workgroup_id_y 0
		.amdhsa_system_sgpr_workgroup_id_z 0
		.amdhsa_system_sgpr_workgroup_info 0
		.amdhsa_system_vgpr_workitem_id 2
		.amdhsa_next_free_vgpr 119
		.amdhsa_next_free_sgpr 18
		.amdhsa_reserve_vcc 1
		.amdhsa_float_round_mode_32 0
		.amdhsa_float_round_mode_16_64 0
		.amdhsa_float_denorm_mode_32 3
		.amdhsa_float_denorm_mode_16_64 3
		.amdhsa_dx10_clamp 1
		.amdhsa_ieee_mode 1
		.amdhsa_fp16_overflow 0
		.amdhsa_workgroup_processor_mode 1
		.amdhsa_memory_ordered 1
		.amdhsa_forward_progress 0
		.amdhsa_shared_vgpr_count 0
		.amdhsa_exception_fp_ieee_invalid_op 0
		.amdhsa_exception_fp_denorm_src 0
		.amdhsa_exception_fp_ieee_div_zero 0
		.amdhsa_exception_fp_ieee_overflow 0
		.amdhsa_exception_fp_ieee_underflow 0
		.amdhsa_exception_fp_ieee_inexact 0
		.amdhsa_exception_int_div_zero 0
	.end_amdhsa_kernel
	.section	.text._ZN9rocsparseL18bsrxmvn_4x4_kernelILj128ELj8E21rocsparse_complex_numIdElldS2_S2_EEvT3_20rocsparse_direction_NS_24const_host_device_scalarIT1_EES3_PKS3_PKT2_SC_S9_PKT4_PKT5_S7_PT6_21rocsparse_index_base_b,"axG",@progbits,_ZN9rocsparseL18bsrxmvn_4x4_kernelILj128ELj8E21rocsparse_complex_numIdElldS2_S2_EEvT3_20rocsparse_direction_NS_24const_host_device_scalarIT1_EES3_PKS3_PKT2_SC_S9_PKT4_PKT5_S7_PT6_21rocsparse_index_base_b,comdat
.Lfunc_end146:
	.size	_ZN9rocsparseL18bsrxmvn_4x4_kernelILj128ELj8E21rocsparse_complex_numIdElldS2_S2_EEvT3_20rocsparse_direction_NS_24const_host_device_scalarIT1_EES3_PKS3_PKT2_SC_S9_PKT4_PKT5_S7_PT6_21rocsparse_index_base_b, .Lfunc_end146-_ZN9rocsparseL18bsrxmvn_4x4_kernelILj128ELj8E21rocsparse_complex_numIdElldS2_S2_EEvT3_20rocsparse_direction_NS_24const_host_device_scalarIT1_EES3_PKS3_PKT2_SC_S9_PKT4_PKT5_S7_PT6_21rocsparse_index_base_b
                                        ; -- End function
	.section	.AMDGPU.csdata,"",@progbits
; Kernel info:
; codeLenInByte = 10776
; NumSgprs: 20
; NumVgprs: 119
; ScratchSize: 0
; MemoryBound: 0
; FloatMode: 240
; IeeeMode: 1
; LDSByteSize: 2048 bytes/workgroup (compile time only)
; SGPRBlocks: 2
; VGPRBlocks: 14
; NumSGPRsForWavesPerEU: 20
; NumVGPRsForWavesPerEU: 119
; Occupancy: 12
; WaveLimiterHint : 1
; COMPUTE_PGM_RSRC2:SCRATCH_EN: 0
; COMPUTE_PGM_RSRC2:USER_SGPR: 15
; COMPUTE_PGM_RSRC2:TRAP_HANDLER: 0
; COMPUTE_PGM_RSRC2:TGID_X_EN: 1
; COMPUTE_PGM_RSRC2:TGID_Y_EN: 0
; COMPUTE_PGM_RSRC2:TGID_Z_EN: 0
; COMPUTE_PGM_RSRC2:TIDIG_COMP_CNT: 2
	.section	.text._ZN9rocsparseL18bsrxmvn_4x4_kernelILj128ELj16E21rocsparse_complex_numIdElldS2_S2_EEvT3_20rocsparse_direction_NS_24const_host_device_scalarIT1_EES3_PKS3_PKT2_SC_S9_PKT4_PKT5_S7_PT6_21rocsparse_index_base_b,"axG",@progbits,_ZN9rocsparseL18bsrxmvn_4x4_kernelILj128ELj16E21rocsparse_complex_numIdElldS2_S2_EEvT3_20rocsparse_direction_NS_24const_host_device_scalarIT1_EES3_PKS3_PKT2_SC_S9_PKT4_PKT5_S7_PT6_21rocsparse_index_base_b,comdat
	.globl	_ZN9rocsparseL18bsrxmvn_4x4_kernelILj128ELj16E21rocsparse_complex_numIdElldS2_S2_EEvT3_20rocsparse_direction_NS_24const_host_device_scalarIT1_EES3_PKS3_PKT2_SC_S9_PKT4_PKT5_S7_PT6_21rocsparse_index_base_b ; -- Begin function _ZN9rocsparseL18bsrxmvn_4x4_kernelILj128ELj16E21rocsparse_complex_numIdElldS2_S2_EEvT3_20rocsparse_direction_NS_24const_host_device_scalarIT1_EES3_PKS3_PKT2_SC_S9_PKT4_PKT5_S7_PT6_21rocsparse_index_base_b
	.p2align	8
	.type	_ZN9rocsparseL18bsrxmvn_4x4_kernelILj128ELj16E21rocsparse_complex_numIdElldS2_S2_EEvT3_20rocsparse_direction_NS_24const_host_device_scalarIT1_EES3_PKS3_PKT2_SC_S9_PKT4_PKT5_S7_PT6_21rocsparse_index_base_b,@function
_ZN9rocsparseL18bsrxmvn_4x4_kernelILj128ELj16E21rocsparse_complex_numIdElldS2_S2_EEvT3_20rocsparse_direction_NS_24const_host_device_scalarIT1_EES3_PKS3_PKT2_SC_S9_PKT4_PKT5_S7_PT6_21rocsparse_index_base_b: ; @_ZN9rocsparseL18bsrxmvn_4x4_kernelILj128ELj16E21rocsparse_complex_numIdElldS2_S2_EEvT3_20rocsparse_direction_NS_24const_host_device_scalarIT1_EES3_PKS3_PKT2_SC_S9_PKT4_PKT5_S7_PT6_21rocsparse_index_base_b
; %bb.0:
	s_load_b64 s[12:13], s[2:3], 0x70
	s_load_b64 s[16:17], s[0:1], 0x4
	s_load_b128 s[8:11], s[2:3], 0x10
	v_bfe_u32 v1, v0, 10, 10
	s_mov_b64 s[0:1], src_shared_base
	s_load_b128 s[4:7], s[2:3], 0x58
	v_and_b32_e32 v2, 0x3ff, v0
	v_bfe_u32 v0, v0, 20, 10
	s_waitcnt lgkmcnt(0)
	s_bitcmp1_b32 s13, 0
	v_mul_u32_u24_e32 v1, s17, v1
	v_mov_b32_e32 v3, s8
	s_cselect_b32 s0, -1, 0
	v_mov_b32_e32 v23, s11
	s_and_b32 vcc_lo, s0, exec_lo
	s_cselect_b32 s13, s1, s9
	s_lshr_b32 s14, s16, 16
	v_dual_mov_b32 v6, s5 :: v_dual_mov_b32 v5, s4
	s_mul_i32 s14, s14, s17
	v_mov_b32_e32 v8, s13
	v_mad_u32_u24 v1, s14, v2, v1
	v_mov_b32_e32 v22, s10
	s_xor_b32 s10, s0, -1
	v_mov_b32_e32 v4, s9
	s_delay_alu instid0(VALU_DEP_3) | instskip(NEXT) | instid1(VALU_DEP_1)
	v_add_lshl_u32 v0, v1, v0, 3
	v_add_nc_u32_e32 v1, 0x400, v0
	ds_store_2addr_stride64_b64 v0, v[5:6], v[3:4] offset1:2
	v_cndmask_b32_e64 v7, s8, v1, s0
	flat_load_b64 v[20:21], v[7:8]
	s_cbranch_vccnz .LBB147_2
; %bb.1:
	v_dual_mov_b32 v3, s8 :: v_dual_mov_b32 v4, s9
	flat_load_b64 v[22:23], v[3:4] offset:8
.LBB147_2:
	s_and_b32 s8, s0, exec_lo
	s_cselect_b32 s1, s1, s5
	v_cndmask_b32_e64 v0, s4, v0, s0
	v_mov_b32_e32 v1, s1
	v_dual_mov_b32 v19, s7 :: v_dual_mov_b32 v18, s6
	s_and_not1_b32 vcc_lo, exec_lo, s10
	flat_load_b64 v[16:17], v[0:1]
	s_cbranch_vccnz .LBB147_4
; %bb.3:
	v_dual_mov_b32 v0, s4 :: v_dual_mov_b32 v1, s5
	flat_load_b64 v[18:19], v[0:1] offset:8
.LBB147_4:
	s_waitcnt vmcnt(1) lgkmcnt(1)
	v_cmp_eq_f64_e32 vcc_lo, 0, v[20:21]
	v_cmp_eq_f64_e64 s0, 0, v[22:23]
	s_delay_alu instid0(VALU_DEP_1)
	s_and_b32 s4, vcc_lo, s0
	s_mov_b32 s0, -1
	s_and_saveexec_b32 s1, s4
	s_cbranch_execz .LBB147_6
; %bb.5:
	s_waitcnt vmcnt(0) lgkmcnt(0)
	v_cmp_neq_f64_e32 vcc_lo, 1.0, v[16:17]
	v_cmp_neq_f64_e64 s0, 0, v[18:19]
	s_delay_alu instid0(VALU_DEP_1) | instskip(NEXT) | instid1(SALU_CYCLE_1)
	s_or_b32 s0, vcc_lo, s0
	s_or_not1_b32 s0, s0, exec_lo
.LBB147_6:
	s_or_b32 exec_lo, exec_lo, s1
	s_and_saveexec_b32 s1, s0
	s_cbranch_execz .LBB147_12
; %bb.7:
	s_load_b64 s[0:1], s[2:3], 0x28
	v_lshrrev_b32_e32 v0, 4, v2
	v_mov_b32_e32 v1, 0
	s_mov_b32 s4, 0
	s_delay_alu instid0(VALU_DEP_2)
	v_lshl_or_b32 v0, s15, 3, v0
	s_waitcnt lgkmcnt(0)
	s_cmp_lg_u64 s[0:1], 0
	s_cbranch_scc0 .LBB147_13
; %bb.8:
	s_load_b64 s[4:5], s[2:3], 0x20
                                        ; implicit-def: $vgpr24_vgpr25
	s_waitcnt lgkmcnt(0)
	v_cmp_gt_i64_e32 vcc_lo, s[4:5], v[0:1]
	s_mov_b32 s5, 0
	s_mov_b32 s4, 0
	s_and_saveexec_b32 s6, vcc_lo
	s_delay_alu instid0(SALU_CYCLE_1)
	s_xor_b32 s6, exec_lo, s6
                                        ; implicit-def: $sgpr14_sgpr15
	s_cbranch_execz .LBB147_10
; %bb.9:
	v_lshlrev_b64 v[3:4], 3, v[0:1]
	s_mov_b32 s4, exec_lo
	s_mov_b32 s15, 0
	s_delay_alu instid0(VALU_DEP_1) | instskip(NEXT) | instid1(VALU_DEP_2)
	v_add_co_u32 v3, vcc_lo, s0, v3
	v_add_co_ci_u32_e32 v4, vcc_lo, s1, v4, vcc_lo
	global_load_b64 v[3:4], v[3:4], off
	s_waitcnt vmcnt(0)
	v_sub_co_u32 v24, vcc_lo, v3, s12
	v_subrev_co_ci_u32_e32 v25, vcc_lo, 0, v4, vcc_lo
.LBB147_10:
	s_or_b32 exec_lo, exec_lo, s6
	s_delay_alu instid0(SALU_CYCLE_1)
	s_and_b32 vcc_lo, exec_lo, s5
	s_cbranch_vccnz .LBB147_14
.LBB147_11:
	s_and_b32 exec_lo, exec_lo, s4
	s_cbranch_execnz .LBB147_17
.LBB147_12:
	s_nop 0
	s_sendmsg sendmsg(MSG_DEALLOC_VGPRS)
	s_endpgm
.LBB147_13:
                                        ; implicit-def: $vgpr24_vgpr25
                                        ; implicit-def: $sgpr14_sgpr15
	s_cbranch_execz .LBB147_11
.LBB147_14:
	s_load_b64 s[0:1], s[2:3], 0x0
                                        ; implicit-def: $vgpr24_vgpr25
	s_waitcnt lgkmcnt(0)
	v_cmp_gt_i64_e32 vcc_lo, s[0:1], v[0:1]
	s_and_saveexec_b32 s0, vcc_lo
                                        ; implicit-def: $sgpr14_sgpr15
; %bb.15:
	v_dual_mov_b32 v25, v1 :: v_dual_mov_b32 v24, v0
	s_mov_b32 s15, 0
	s_or_b32 s4, s4, exec_lo
; %bb.16:
	s_or_b32 exec_lo, exec_lo, s0
	s_delay_alu instid0(SALU_CYCLE_1)
	s_and_b32 exec_lo, exec_lo, s4
	s_cbranch_execz .LBB147_12
.LBB147_17:
	s_load_b256 s[4:11], s[2:3], 0x30
	v_lshlrev_b64 v[0:1], 3, v[24:25]
	v_and_b32_e32 v58, 15, v2
	s_load_b32 s1, s[2:3], 0x8
	s_waitcnt lgkmcnt(0)
	s_delay_alu instid0(VALU_DEP_2) | instskip(NEXT) | instid1(VALU_DEP_3)
	v_add_co_u32 v3, vcc_lo, s4, v0
	v_add_co_ci_u32_e32 v4, vcc_lo, s5, v1, vcc_lo
	v_add_co_u32 v0, vcc_lo, s6, v0
	v_add_co_ci_u32_e32 v1, vcc_lo, s7, v1, vcc_lo
	s_delay_alu instid0(VALU_DEP_4) | instskip(NEXT) | instid1(VALU_DEP_4)
	v_add_co_u32 v5, vcc_lo, v3, 8
	v_add_co_ci_u32_e32 v6, vcc_lo, 0, v4, vcc_lo
	global_load_b64 v[48:49], v[3:4], off
	s_cmp_eq_u64 s[6:7], 0
	s_load_b64 s[4:5], s[2:3], 0x50
	s_cselect_b32 vcc_lo, -1, 0
	s_cmp_eq_u32 s1, 1
	v_dual_cndmask_b32 v1, v1, v6 :: v_dual_cndmask_b32 v0, v0, v5
	global_load_b64 v[0:1], v[0:1], off
	s_waitcnt vmcnt(1)
	v_sub_co_u32 v2, vcc_lo, v48, s12
	v_subrev_co_ci_u32_e32 v3, vcc_lo, s15, v49, vcc_lo
	s_delay_alu instid0(VALU_DEP_2) | instskip(NEXT) | instid1(VALU_DEP_2)
	v_add_co_u32 v26, vcc_lo, v2, v58
	v_add_co_ci_u32_e32 v27, vcc_lo, 0, v3, vcc_lo
	s_waitcnt vmcnt(0)
	v_sub_co_u32 v28, vcc_lo, v0, s12
	v_subrev_co_ci_u32_e32 v29, vcc_lo, s15, v1, vcc_lo
	s_delay_alu instid0(VALU_DEP_3) | instskip(NEXT) | instid1(VALU_DEP_2)
	v_lshlrev_b64 v[0:1], 7, v[26:27]
	v_cmp_lt_i64_e64 s0, v[26:27], v[28:29]
	s_delay_alu instid0(VALU_DEP_2) | instskip(NEXT) | instid1(VALU_DEP_3)
	v_add_co_u32 v30, vcc_lo, s10, v0
	v_add_co_ci_u32_e32 v31, vcc_lo, s11, v1, vcc_lo
	s_cbranch_scc1 .LBB147_29
; %bb.18:
	v_mov_b32_e32 v36, 0
	v_mov_b32_e32 v37, 0
	s_delay_alu instid0(VALU_DEP_2) | instskip(NEXT) | instid1(VALU_DEP_2)
	v_mov_b32_e32 v34, v36
	v_dual_mov_b32 v32, v36 :: v_dual_mov_b32 v33, v37
	v_dual_mov_b32 v43, v37 :: v_dual_mov_b32 v42, v36
	;; [unrolled: 1-line block ×6, first 2 shown]
	v_mov_b32_e32 v35, v37
	s_and_saveexec_b32 s6, s0
	s_cbranch_execz .LBB147_28
; %bb.19:
	v_or_b32_e32 v0, 16, v58
	v_not_b32_e32 v3, v48
	v_not_b32_e32 v2, v49
	v_dual_mov_b32 v32, 0 :: v_dual_mov_b32 v51, v31
	s_delay_alu instid0(VALU_DEP_4) | instskip(NEXT) | instid1(VALU_DEP_1)
	v_sub_co_u32 v0, s1, v0, s12
	v_sub_co_ci_u32_e64 v1, null, 0, s15, s1
	v_sub_co_u32 v4, s1, s12, v58
	s_delay_alu instid0(VALU_DEP_3) | instskip(NEXT) | instid1(VALU_DEP_3)
	v_add_co_u32 v0, vcc_lo, v0, v48
	v_add_co_ci_u32_e32 v1, vcc_lo, v1, v49, vcc_lo
	v_sub_co_ci_u32_e64 v5, null, s15, 0, s1
	s_mov_b32 s10, 0
	s_delay_alu instid0(VALU_DEP_2)
	v_cmp_gt_i64_e32 vcc_lo, v[0:1], v[28:29]
	s_mov_b32 s7, exec_lo
	v_dual_mov_b32 v53, v27 :: v_dual_mov_b32 v52, v26
	v_dual_cndmask_b32 v1, v29, v1 :: v_dual_cndmask_b32 v0, v28, v0
	v_add_co_u32 v3, vcc_lo, v4, v3
	v_add_co_ci_u32_e32 v2, vcc_lo, v5, v2, vcc_lo
	s_delay_alu instid0(VALU_DEP_2) | instskip(NEXT) | instid1(VALU_DEP_2)
	v_add_co_u32 v0, vcc_lo, v3, v0
	v_add_co_ci_u32_e32 v1, vcc_lo, v2, v1, vcc_lo
	s_delay_alu instid0(VALU_DEP_2) | instskip(NEXT) | instid1(VALU_DEP_1)
	v_lshrrev_b32_e32 v2, 4, v0
	v_dual_mov_b32 v33, 0 :: v_dual_add_nc_u32 v2, 1, v2
	s_delay_alu instid0(VALU_DEP_1)
	v_dual_mov_b32 v50, v30 :: v_dual_mov_b32 v35, v33
	v_dual_mov_b32 v34, v32 :: v_dual_mov_b32 v39, v33
	v_dual_mov_b32 v38, v32 :: v_dual_mov_b32 v41, v33
	v_dual_mov_b32 v40, v32 :: v_dual_mov_b32 v45, v33
	v_dual_mov_b32 v47, v33 :: v_dual_and_b32 v2, 3, v2
	v_dual_mov_b32 v44, v32 :: v_dual_mov_b32 v43, v33
	v_dual_mov_b32 v46, v32 :: v_dual_mov_b32 v37, v33
	v_mov_b32_e32 v42, v32
	v_mov_b32_e32 v36, v32
	v_cmpx_ne_u32_e32 0, v2
	s_cbranch_execz .LBB147_23
; %bb.20:
	v_lshlrev_b64 v[4:5], 3, v[26:27]
	v_dual_mov_b32 v3, 0 :: v_dual_mov_b32 v36, 0
	v_dual_mov_b32 v37, 0 :: v_dual_lshlrev_b32 v2, 3, v2
	v_dual_mov_b32 v53, v27 :: v_dual_mov_b32 v52, v26
	s_delay_alu instid0(VALU_DEP_4)
	v_add_co_u32 v4, vcc_lo, s8, v4
	v_add_co_ci_u32_e32 v5, vcc_lo, s9, v5, vcc_lo
	v_dual_mov_b32 v51, v31 :: v_dual_mov_b32 v50, v30
	v_dual_mov_b32 v43, v37 :: v_dual_mov_b32 v42, v36
	v_dual_mov_b32 v47, v37 :: v_dual_mov_b32 v46, v36
	v_dual_mov_b32 v45, v37 :: v_dual_mov_b32 v44, v36
	v_dual_mov_b32 v41, v37 :: v_dual_mov_b32 v40, v36
	v_dual_mov_b32 v39, v37 :: v_dual_mov_b32 v38, v36
	v_dual_mov_b32 v34, v36 :: v_dual_mov_b32 v35, v37
	v_dual_mov_b32 v32, v36 :: v_dual_mov_b32 v33, v37
.LBB147_21:                             ; =>This Inner Loop Header: Depth=1
	global_load_b64 v[14:15], v[4:5], off
	s_clause 0x7
	global_load_b128 v[6:9], v[50:51], off offset:48
	global_load_b128 v[10:13], v[50:51], off offset:32
	;; [unrolled: 1-line block ×3, first 2 shown]
	global_load_b128 v[59:62], v[50:51], off
	global_load_b128 v[63:66], v[50:51], off offset:112
	global_load_b128 v[67:70], v[50:51], off offset:96
	;; [unrolled: 1-line block ×4, first 2 shown]
	v_add_co_u32 v4, s1, 0x80, v4
	s_delay_alu instid0(VALU_DEP_1) | instskip(SKIP_3) | instid1(VALU_DEP_1)
	v_add_co_ci_u32_e64 v5, s1, 0, v5, s1
	s_waitcnt vmcnt(8)
	v_sub_co_u32 v14, vcc_lo, v14, s12
	v_subrev_co_ci_u32_e32 v15, vcc_lo, s15, v15, vcc_lo
	v_lshlrev_b64 v[14:15], 6, v[14:15]
	s_waitcnt lgkmcnt(0)
	s_delay_alu instid0(VALU_DEP_1) | instskip(NEXT) | instid1(VALU_DEP_2)
	v_add_co_u32 v14, vcc_lo, s4, v14
	v_add_co_ci_u32_e32 v15, vcc_lo, s5, v15, vcc_lo
	v_add_co_u32 v50, vcc_lo, 0x800, v50
	v_add_co_ci_u32_e32 v51, vcc_lo, 0, v51, vcc_lo
	s_clause 0x3
	global_load_b128 v[79:82], v[14:15], off
	global_load_b128 v[83:86], v[14:15], off offset:16
	global_load_b128 v[87:90], v[14:15], off offset:32
	;; [unrolled: 1-line block ×3, first 2 shown]
	v_add_co_u32 v2, vcc_lo, v2, -8
	v_add_co_ci_u32_e32 v3, vcc_lo, -1, v3, vcc_lo
	v_add_co_u32 v52, vcc_lo, v52, 16
	v_add_co_ci_u32_e32 v53, vcc_lo, 0, v53, vcc_lo
	s_delay_alu instid0(VALU_DEP_3)
	v_cmp_eq_u64_e32 vcc_lo, 0, v[2:3]
	s_or_b32 s10, vcc_lo, s10
	s_waitcnt vmcnt(3)
	v_fma_f64 v[14:15], v[59:60], v[79:80], v[42:43]
	v_fma_f64 v[36:37], v[79:80], 0, v[36:37]
	v_fma_f64 v[42:43], v[10:11], v[79:80], v[44:45]
	v_fma_f64 v[44:45], v[79:80], 0, v[46:47]
	v_fma_f64 v[38:39], v[75:76], v[79:80], v[38:39]
	v_fma_f64 v[40:41], v[79:80], 0, v[40:41]
	v_fma_f64 v[32:33], v[67:68], v[79:80], v[32:33]
	v_fma_f64 v[34:35], v[79:80], 0, v[34:35]
	v_fma_f64 v[14:15], 0x80000000, v[81:82], v[14:15]
	v_fma_f64 v[36:37], v[59:60], v[81:82], v[36:37]
	v_fma_f64 v[42:43], 0x80000000, v[81:82], v[42:43]
	v_fma_f64 v[10:11], v[10:11], v[81:82], v[44:45]
	v_fma_f64 v[38:39], 0x80000000, v[81:82], v[38:39]
	v_fma_f64 v[40:41], v[75:76], v[81:82], v[40:41]
	v_fma_f64 v[32:33], 0x80000000, v[81:82], v[32:33]
	v_fma_f64 v[34:35], v[67:68], v[81:82], v[34:35]
	s_waitcnt vmcnt(2)
	v_fma_f64 v[14:15], v[61:62], v[83:84], v[14:15]
	v_fma_f64 v[36:37], v[83:84], 0, v[36:37]
	v_fma_f64 v[42:43], v[12:13], v[83:84], v[42:43]
	v_fma_f64 v[10:11], v[83:84], 0, v[10:11]
	v_fma_f64 v[38:39], v[77:78], v[83:84], v[38:39]
	v_fma_f64 v[40:41], v[83:84], 0, v[40:41]
	v_fma_f64 v[32:33], v[69:70], v[83:84], v[32:33]
	v_fma_f64 v[34:35], v[83:84], 0, v[34:35]
	v_fma_f64 v[14:15], 0x80000000, v[85:86], v[14:15]
	v_fma_f64 v[36:37], v[61:62], v[85:86], v[36:37]
	v_fma_f64 v[42:43], 0x80000000, v[85:86], v[42:43]
	v_fma_f64 v[10:11], v[12:13], v[85:86], v[10:11]
	v_fma_f64 v[12:13], 0x80000000, v[85:86], v[38:39]
	v_fma_f64 v[38:39], v[77:78], v[85:86], v[40:41]
	v_fma_f64 v[32:33], 0x80000000, v[85:86], v[32:33]
	v_fma_f64 v[34:35], v[69:70], v[85:86], v[34:35]
	;; [unrolled: 17-line block ×4, first 2 shown]
	s_and_not1_b32 exec_lo, exec_lo, s10
	s_cbranch_execnz .LBB147_21
; %bb.22:
	s_or_b32 exec_lo, exec_lo, s10
.LBB147_23:
	s_delay_alu instid0(SALU_CYCLE_1) | instskip(NEXT) | instid1(SALU_CYCLE_1)
	s_or_b32 exec_lo, exec_lo, s7
	s_mov_b32 s7, exec_lo
	v_cmpx_lt_u64_e32 47, v[0:1]
	s_cbranch_execz .LBB147_27
; %bb.24:
	v_lshlrev_b64 v[0:1], 3, v[52:53]
	s_mov_b32 s10, 0
	s_delay_alu instid0(VALU_DEP_1) | instskip(NEXT) | instid1(VALU_DEP_2)
	v_add_co_u32 v0, vcc_lo, v0, s8
	v_add_co_ci_u32_e32 v1, vcc_lo, s9, v1, vcc_lo
	s_delay_alu instid0(VALU_DEP_2) | instskip(NEXT) | instid1(VALU_DEP_2)
	v_add_co_u32 v54, vcc_lo, 0x100, v0
	v_add_co_ci_u32_e32 v55, vcc_lo, 0, v1, vcc_lo
.LBB147_25:                             ; =>This Inner Loop Header: Depth=1
	s_clause 0x1
	global_load_b64 v[56:57], v[54:55], off offset:-256
	global_load_b64 v[107:108], v[54:55], off offset:-128
	s_clause 0x3
	global_load_b128 v[4:7], v[50:51], off offset:32
	global_load_b128 v[8:11], v[50:51], off
	global_load_b128 v[0:3], v[50:51], off offset:96
	global_load_b128 v[12:15], v[50:51], off offset:64
	s_clause 0x1
	global_load_b64 v[111:112], v[54:55], off
	global_load_b64 v[113:114], v[54:55], off offset:128
	s_waitcnt vmcnt(7)
	v_sub_co_u32 v56, vcc_lo, v56, s12
	v_subrev_co_ci_u32_e32 v57, vcc_lo, s15, v57, vcc_lo
	s_delay_alu instid0(VALU_DEP_1) | instskip(SKIP_1) | instid1(VALU_DEP_1)
	v_lshlrev_b64 v[56:57], 6, v[56:57]
	s_waitcnt lgkmcnt(0)
	v_add_co_u32 v56, vcc_lo, s4, v56
	s_delay_alu instid0(VALU_DEP_2)
	v_add_co_ci_u32_e32 v57, vcc_lo, s5, v57, vcc_lo
	s_clause 0x1
	global_load_b128 v[59:62], v[56:57], off
	global_load_b128 v[63:66], v[56:57], off offset:16
	s_clause 0x3
	global_load_b128 v[67:70], v[50:51], off offset:48
	global_load_b128 v[71:74], v[50:51], off offset:16
	;; [unrolled: 1-line block ×4, first 2 shown]
	s_clause 0x1
	global_load_b128 v[83:86], v[56:57], off offset:32
	global_load_b128 v[87:90], v[56:57], off offset:48
	s_clause 0x3
	global_load_b128 v[91:94], v[50:51], off offset:2080
	global_load_b128 v[95:98], v[50:51], off offset:2048
	;; [unrolled: 1-line block ×4, first 2 shown]
	s_waitcnt vmcnt(18)
	v_sub_co_u32 v56, vcc_lo, v107, s12
	v_subrev_co_ci_u32_e32 v57, vcc_lo, s15, v108, vcc_lo
	s_delay_alu instid0(VALU_DEP_1) | instskip(NEXT) | instid1(VALU_DEP_1)
	v_lshlrev_b64 v[56:57], 6, v[56:57]
	v_add_co_u32 v56, vcc_lo, s4, v56
	s_delay_alu instid0(VALU_DEP_2)
	v_add_co_ci_u32_e32 v57, vcc_lo, s5, v57, vcc_lo
	v_add_co_u32 v119, vcc_lo, 0x1000, v50
	v_add_co_ci_u32_e32 v120, vcc_lo, 0, v51, vcc_lo
	global_load_b128 v[107:110], v[56:57], off
	s_waitcnt vmcnt(14)
	v_sub_co_u32 v111, vcc_lo, v111, s12
	v_subrev_co_ci_u32_e32 v112, vcc_lo, s15, v112, vcc_lo
	s_waitcnt vmcnt(12)
	v_fma_f64 v[36:37], v[59:60], 0, v[36:37]
	v_fma_f64 v[46:47], v[59:60], 0, v[46:47]
	;; [unrolled: 1-line block ×16, first 2 shown]
	global_load_b128 v[32:35], v[56:57], off offset:16
	s_waitcnt vmcnt(12)
	v_fma_f64 v[8:9], v[63:64], 0, v[8:9]
	v_fma_f64 v[4:5], v[63:64], 0, v[4:5]
	;; [unrolled: 1-line block ×16, first 2 shown]
	s_clause 0x3
	global_load_b128 v[0:3], v[50:51], off offset:2096
	global_load_b128 v[4:7], v[50:51], off offset:2064
	;; [unrolled: 1-line block ×5, first 2 shown]
	v_add_co_u32 v50, s1, 0x2000, v50
	s_delay_alu instid0(VALU_DEP_1)
	v_add_co_ci_u32_e64 v51, s1, 0, v51, s1
	s_waitcnt vmcnt(12)
	v_fma_f64 v[44:45], v[83:84], 0, v[44:45]
	v_fma_f64 v[46:47], v[83:84], 0, v[46:47]
	;; [unrolled: 1-line block ×16, first 2 shown]
	global_load_b128 v[40:43], v[56:57], off offset:48
	s_waitcnt vmcnt(12)
	v_fma_f64 v[56:57], v[87:88], 0, v[44:45]
	v_fma_f64 v[75:76], v[87:88], 0, v[46:47]
	;; [unrolled: 1-line block ×8, first 2 shown]
	s_clause 0x3
	global_load_b128 v[44:47], v[119:120], off
	global_load_b128 v[59:62], v[119:120], off offset:32
	global_load_b128 v[63:66], v[119:120], off offset:96
	;; [unrolled: 1-line block ×3, first 2 shown]
	v_fma_f64 v[56:57], v[73:74], v[89:90], v[56:57]
	v_fma_f64 v[73:74], v[69:70], v[89:90], v[75:76]
	;; [unrolled: 1-line block ×8, first 2 shown]
	v_lshlrev_b64 v[67:68], 6, v[111:112]
	s_delay_alu instid0(VALU_DEP_1) | instskip(NEXT) | instid1(VALU_DEP_2)
	v_add_co_u32 v111, vcc_lo, s4, v67
	v_add_co_ci_u32_e32 v112, vcc_lo, s5, v68, vcc_lo
	global_load_b128 v[67:70], v[111:112], off
	s_waitcnt vmcnt(12)
	v_fma_f64 v[56:57], v[107:108], 0, v[56:57]
	v_fma_f64 v[73:74], v[107:108], 0, v[73:74]
	;; [unrolled: 1-line block ×15, first 2 shown]
	global_load_b128 v[71:74], v[111:112], off offset:16
	v_fma_f64 v[77:78], v[99:100], v[109:110], v[77:78]
	s_waitcnt vmcnt(12)
	v_fma_f64 v[56:57], v[32:33], 0, v[56:57]
	v_fma_f64 v[89:90], v[32:33], 0, v[89:90]
	;; [unrolled: 1-line block ×16, first 2 shown]
	s_clause 0x3
	global_load_b128 v[32:35], v[119:120], off offset:48
	global_load_b128 v[75:78], v[119:120], off offset:112
	;; [unrolled: 1-line block ×5, first 2 shown]
	s_waitcnt vmcnt(12)
	v_fma_f64 v[56:57], v[36:37], 0, v[56:57]
	v_fma_f64 v[95:96], v[36:37], 0, v[95:96]
	;; [unrolled: 1-line block ×16, first 2 shown]
	global_load_b128 v[36:39], v[111:112], off offset:48
	s_waitcnt vmcnt(12)
	v_fma_f64 v[4:5], v[40:41], 0, v[4:5]
	v_fma_f64 v[0:1], v[40:41], 0, v[0:1]
	;; [unrolled: 1-line block ×7, first 2 shown]
	s_clause 0x3
	global_load_b128 v[95:98], v[119:120], off offset:2080
	global_load_b128 v[99:102], v[119:120], off offset:2048
	;; [unrolled: 1-line block ×4, first 2 shown]
	v_fma_f64 v[8:9], v[40:41], 0, v[8:9]
	v_sub_co_u32 v40, vcc_lo, v113, s12
	v_subrev_co_ci_u32_e32 v41, vcc_lo, s15, v114, vcc_lo
	v_fma_f64 v[4:5], v[6:7], v[42:43], v[4:5]
	v_fma_f64 v[6:7], v[2:3], v[42:43], v[0:1]
	;; [unrolled: 1-line block ×7, first 2 shown]
	v_lshlrev_b64 v[0:1], 6, v[40:41]
	v_fma_f64 v[8:9], v[10:11], v[42:43], v[8:9]
	s_delay_alu instid0(VALU_DEP_2) | instskip(NEXT) | instid1(VALU_DEP_3)
	v_add_co_u32 v113, vcc_lo, s4, v0
	v_add_co_ci_u32_e32 v114, vcc_lo, s5, v1, vcc_lo
	v_add_co_u32 v52, vcc_lo, v52, 64
	v_add_co_ci_u32_e32 v53, vcc_lo, 0, v53, vcc_lo
	global_load_b128 v[0:3], v[113:114], off
	v_add_co_u32 v54, vcc_lo, 0x200, v54
	v_add_co_ci_u32_e32 v55, vcc_lo, 0, v55, vcc_lo
	v_cmp_ge_i64_e32 vcc_lo, v[52:53], v[28:29]
	s_or_b32 s10, vcc_lo, s10
	s_waitcnt vmcnt(12)
	v_fma_f64 v[4:5], v[67:68], 0, v[4:5]
	v_fma_f64 v[6:7], v[67:68], 0, v[6:7]
	;; [unrolled: 1-line block ×10, first 2 shown]
	global_load_b128 v[4:7], v[113:114], off offset:16
	v_fma_f64 v[10:11], 0x80000000, v[69:70], v[10:11]
	v_fma_f64 v[14:15], 0x80000000, v[69:70], v[14:15]
	;; [unrolled: 1-line block ×6, first 2 shown]
	s_waitcnt vmcnt(12)
	v_fma_f64 v[44:45], v[71:72], 0, v[44:45]
	v_fma_f64 v[56:57], v[71:72], 0, v[56:57]
	v_fma_f64 v[10:11], v[46:47], v[71:72], v[10:11]
	v_fma_f64 v[14:15], v[61:62], v[71:72], v[14:15]
	v_fma_f64 v[40:41], v[85:86], v[71:72], v[40:41]
	v_fma_f64 v[12:13], v[71:72], 0, v[12:13]
	v_fma_f64 v[42:43], v[65:66], v[71:72], v[42:43]
	v_fma_f64 v[8:9], v[71:72], 0, v[8:9]
	v_fma_f64 v[44:45], v[46:47], v[73:74], v[44:45]
	v_fma_f64 v[56:57], v[61:62], v[73:74], v[56:57]
	v_fma_f64 v[67:68], 0x80000000, v[73:74], v[10:11]
	v_fma_f64 v[46:47], 0x80000000, v[73:74], v[14:15]
	v_fma_f64 v[69:70], 0x80000000, v[73:74], v[40:41]
	v_fma_f64 v[71:72], v[85:86], v[73:74], v[12:13]
	v_fma_f64 v[83:84], 0x80000000, v[73:74], v[42:43]
	v_fma_f64 v[73:74], v[65:66], v[73:74], v[8:9]
	s_clause 0x3
	global_load_b128 v[8:11], v[119:120], off offset:2096
	global_load_b128 v[12:15], v[119:120], off offset:2064
	;; [unrolled: 1-line block ×5, first 2 shown]
	s_waitcnt vmcnt(12)
	v_fma_f64 v[44:45], v[91:92], 0, v[44:45]
	v_fma_f64 v[56:57], v[91:92], 0, v[56:57]
	v_fma_f64 v[67:68], v[87:88], v[91:92], v[67:68]
	v_fma_f64 v[46:47], v[32:33], v[91:92], v[46:47]
	v_fma_f64 v[69:70], v[79:80], v[91:92], v[69:70]
	v_fma_f64 v[71:72], v[91:92], 0, v[71:72]
	v_fma_f64 v[83:84], v[75:76], v[91:92], v[83:84]
	v_fma_f64 v[73:74], v[91:92], 0, v[73:74]
	v_fma_f64 v[44:45], v[87:88], v[93:94], v[44:45]
	v_fma_f64 v[32:33], v[32:33], v[93:94], v[56:57]
	v_fma_f64 v[85:86], 0x80000000, v[93:94], v[67:68]
	v_fma_f64 v[46:47], 0x80000000, v[93:94], v[46:47]
	v_fma_f64 v[56:57], 0x80000000, v[93:94], v[69:70]
	v_fma_f64 v[71:72], v[79:80], v[93:94], v[71:72]
	v_fma_f64 v[79:80], 0x80000000, v[93:94], v[83:84]
	v_fma_f64 v[73:74], v[75:76], v[93:94], v[73:74]
	global_load_b128 v[67:70], v[113:114], off offset:48
	s_waitcnt vmcnt(12)
	v_fma_f64 v[44:45], v[36:37], 0, v[44:45]
	v_fma_f64 v[32:33], v[36:37], 0, v[32:33]
	v_fma_f64 v[75:76], v[89:90], v[36:37], v[85:86]
	v_fma_f64 v[46:47], v[34:35], v[36:37], v[46:47]
	v_fma_f64 v[56:57], v[81:82], v[36:37], v[56:57]
	v_fma_f64 v[71:72], v[36:37], 0, v[71:72]
	v_fma_f64 v[79:80], v[77:78], v[36:37], v[79:80]
	v_fma_f64 v[36:37], v[36:37], 0, v[73:74]
	v_fma_f64 v[44:45], v[89:90], v[38:39], v[44:45]
	v_fma_f64 v[32:33], v[34:35], v[38:39], v[32:33]
	v_fma_f64 v[73:74], 0x80000000, v[38:39], v[75:76]
	v_fma_f64 v[46:47], 0x80000000, v[38:39], v[46:47]
	v_fma_f64 v[34:35], 0x80000000, v[38:39], v[56:57]
	v_fma_f64 v[56:57], v[81:82], v[38:39], v[71:72]
	v_fma_f64 v[71:72], 0x80000000, v[38:39], v[79:80]
	v_fma_f64 v[36:37], v[77:78], v[38:39], v[36:37]
	s_waitcnt vmcnt(7)
	v_fma_f64 v[44:45], v[0:1], 0, v[44:45]
	v_fma_f64 v[32:33], v[0:1], 0, v[32:33]
	v_fma_f64 v[38:39], v[99:100], v[0:1], v[73:74]
	v_fma_f64 v[46:47], v[95:96], v[0:1], v[46:47]
	v_fma_f64 v[34:35], v[107:108], v[0:1], v[34:35]
	v_fma_f64 v[56:57], v[0:1], 0, v[56:57]
	v_fma_f64 v[71:72], v[103:104], v[0:1], v[71:72]
	v_fma_f64 v[0:1], v[0:1], 0, v[36:37]
	v_fma_f64 v[32:33], v[95:96], v[2:3], v[32:33]
	v_fma_f64 v[36:37], 0x80000000, v[2:3], v[38:39]
	v_fma_f64 v[38:39], v[99:100], v[2:3], v[44:45]
	v_fma_f64 v[44:45], 0x80000000, v[2:3], v[46:47]
	v_fma_f64 v[34:35], 0x80000000, v[2:3], v[34:35]
	v_fma_f64 v[46:47], v[107:108], v[2:3], v[56:57]
	v_fma_f64 v[56:57], 0x80000000, v[2:3], v[71:72]
	v_fma_f64 v[0:1], v[103:104], v[2:3], v[0:1]
	s_waitcnt vmcnt(6)
	v_fma_f64 v[32:33], v[4:5], 0, v[32:33]
	v_fma_f64 v[2:3], v[101:102], v[4:5], v[36:37]
	v_fma_f64 v[36:37], v[4:5], 0, v[38:39]
	v_fma_f64 v[38:39], v[97:98], v[4:5], v[44:45]
	v_fma_f64 v[34:35], v[109:110], v[4:5], v[34:35]
	v_fma_f64 v[44:45], v[4:5], 0, v[46:47]
	v_fma_f64 v[46:47], v[105:106], v[4:5], v[56:57]
	v_fma_f64 v[0:1], v[4:5], 0, v[0:1]
	v_fma_f64 v[32:33], v[97:98], v[6:7], v[32:33]
	v_fma_f64 v[2:3], 0x80000000, v[6:7], v[2:3]
	v_fma_f64 v[4:5], v[101:102], v[6:7], v[36:37]
	v_fma_f64 v[36:37], 0x80000000, v[6:7], v[38:39]
	v_fma_f64 v[34:35], 0x80000000, v[6:7], v[34:35]
	v_fma_f64 v[38:39], v[109:110], v[6:7], v[44:45]
	v_fma_f64 v[44:45], 0x80000000, v[6:7], v[46:47]
	v_fma_f64 v[0:1], v[105:106], v[6:7], v[0:1]
	s_waitcnt vmcnt(1)
	v_fma_f64 v[32:33], v[40:41], 0, v[32:33]
	v_fma_f64 v[2:3], v[12:13], v[40:41], v[2:3]
	v_fma_f64 v[4:5], v[40:41], 0, v[4:5]
	v_fma_f64 v[6:7], v[8:9], v[40:41], v[36:37]
	v_fma_f64 v[34:35], v[63:64], v[40:41], v[34:35]
	v_fma_f64 v[36:37], v[40:41], 0, v[38:39]
	v_fma_f64 v[38:39], v[59:60], v[40:41], v[44:45]
	v_fma_f64 v[0:1], v[40:41], 0, v[0:1]
	v_fma_f64 v[8:9], v[8:9], v[42:43], v[32:33]
	v_fma_f64 v[2:3], 0x80000000, v[42:43], v[2:3]
	v_fma_f64 v[4:5], v[12:13], v[42:43], v[4:5]
	v_fma_f64 v[6:7], 0x80000000, v[42:43], v[6:7]
	v_fma_f64 v[12:13], 0x80000000, v[42:43], v[34:35]
	v_fma_f64 v[32:33], v[63:64], v[42:43], v[36:37]
	v_fma_f64 v[34:35], 0x80000000, v[42:43], v[38:39]
	v_fma_f64 v[0:1], v[59:60], v[42:43], v[0:1]
	s_waitcnt vmcnt(0)
	v_fma_f64 v[8:9], v[67:68], 0, v[8:9]
	v_fma_f64 v[2:3], v[14:15], v[67:68], v[2:3]
	v_fma_f64 v[4:5], v[67:68], 0, v[4:5]
	v_fma_f64 v[6:7], v[10:11], v[67:68], v[6:7]
	v_fma_f64 v[12:13], v[65:66], v[67:68], v[12:13]
	v_fma_f64 v[32:33], v[67:68], 0, v[32:33]
	v_fma_f64 v[34:35], v[61:62], v[67:68], v[34:35]
	v_fma_f64 v[0:1], v[67:68], 0, v[0:1]
	v_fma_f64 v[46:47], v[10:11], v[69:70], v[8:9]
	v_fma_f64 v[42:43], 0x80000000, v[69:70], v[2:3]
	v_fma_f64 v[36:37], v[14:15], v[69:70], v[4:5]
	v_fma_f64 v[44:45], 0x80000000, v[69:70], v[6:7]
	v_fma_f64 v[38:39], 0x80000000, v[69:70], v[12:13]
	v_fma_f64 v[40:41], v[65:66], v[69:70], v[32:33]
	v_fma_f64 v[32:33], 0x80000000, v[69:70], v[34:35]
	v_fma_f64 v[34:35], v[61:62], v[69:70], v[0:1]
	s_and_not1_b32 exec_lo, exec_lo, s10
	s_cbranch_execnz .LBB147_25
; %bb.26:
	s_or_b32 exec_lo, exec_lo, s10
.LBB147_27:
	s_delay_alu instid0(SALU_CYCLE_1)
	s_or_b32 exec_lo, exec_lo, s7
.LBB147_28:
	s_delay_alu instid0(SALU_CYCLE_1)
	s_or_b32 exec_lo, exec_lo, s6
	s_cbranch_execz .LBB147_30
	s_branch .LBB147_41
.LBB147_29:
                                        ; implicit-def: $vgpr36_vgpr37
                                        ; implicit-def: $vgpr42_vgpr43
                                        ; implicit-def: $vgpr46_vgpr47
                                        ; implicit-def: $vgpr44_vgpr45
                                        ; implicit-def: $vgpr40_vgpr41
                                        ; implicit-def: $vgpr38_vgpr39
                                        ; implicit-def: $vgpr34_vgpr35
                                        ; implicit-def: $vgpr32_vgpr33
.LBB147_30:
	v_mov_b32_e32 v36, 0
	v_mov_b32_e32 v37, 0
	s_delay_alu instid0(VALU_DEP_2) | instskip(NEXT) | instid1(VALU_DEP_2)
	v_mov_b32_e32 v34, v36
	v_dual_mov_b32 v32, v36 :: v_dual_mov_b32 v33, v37
	v_dual_mov_b32 v43, v37 :: v_dual_mov_b32 v42, v36
	;; [unrolled: 1-line block ×6, first 2 shown]
	v_mov_b32_e32 v35, v37
	s_and_saveexec_b32 s1, s0
	s_cbranch_execz .LBB147_40
; %bb.31:
	v_or_b32_e32 v0, 16, v58
	v_not_b32_e32 v3, v48
	v_not_b32_e32 v2, v49
	v_mov_b32_e32 v32, 0
	s_mov_b32 s7, 0
	v_sub_co_u32 v0, s0, v0, s12
	s_delay_alu instid0(VALU_DEP_1) | instskip(SKIP_1) | instid1(VALU_DEP_3)
	v_sub_co_ci_u32_e64 v1, null, 0, s15, s0
	v_sub_co_u32 v4, s0, s12, v58
	v_add_co_u32 v0, vcc_lo, v0, v48
	s_delay_alu instid0(VALU_DEP_3) | instskip(SKIP_2) | instid1(VALU_DEP_2)
	v_add_co_ci_u32_e32 v1, vcc_lo, v1, v49, vcc_lo
	v_sub_co_ci_u32_e64 v5, null, s15, 0, s0
	s_mov_b32 s6, exec_lo
	v_cmp_gt_i64_e32 vcc_lo, v[0:1], v[28:29]
	v_dual_cndmask_b32 v1, v29, v1 :: v_dual_cndmask_b32 v0, v28, v0
	v_add_co_u32 v3, vcc_lo, v4, v3
	v_add_co_ci_u32_e32 v2, vcc_lo, v5, v2, vcc_lo
	s_delay_alu instid0(VALU_DEP_2) | instskip(NEXT) | instid1(VALU_DEP_2)
	v_add_co_u32 v0, vcc_lo, v3, v0
	v_add_co_ci_u32_e32 v1, vcc_lo, v2, v1, vcc_lo
	s_delay_alu instid0(VALU_DEP_2) | instskip(NEXT) | instid1(VALU_DEP_1)
	v_lshrrev_b32_e32 v2, 4, v0
	v_dual_mov_b32 v33, 0 :: v_dual_add_nc_u32 v2, 1, v2
	s_delay_alu instid0(VALU_DEP_1) | instskip(SKIP_1) | instid1(VALU_DEP_3)
	v_dual_mov_b32 v35, v33 :: v_dual_mov_b32 v34, v32
	v_dual_mov_b32 v41, v33 :: v_dual_mov_b32 v40, v32
	v_dual_mov_b32 v45, v33 :: v_dual_and_b32 v2, 3, v2
	v_dual_mov_b32 v44, v32 :: v_dual_mov_b32 v47, v33
	v_dual_mov_b32 v46, v32 :: v_dual_mov_b32 v43, v33
	;; [unrolled: 1-line block ×4, first 2 shown]
	v_mov_b32_e32 v36, v32
	v_cmpx_ne_u32_e32 0, v2
	s_cbranch_execz .LBB147_35
; %bb.32:
	v_lshlrev_b64 v[4:5], 3, v[26:27]
	v_dual_mov_b32 v3, 0 :: v_dual_mov_b32 v36, 0
	v_dual_mov_b32 v37, 0 :: v_dual_lshlrev_b32 v2, 3, v2
	s_delay_alu instid0(VALU_DEP_2) | instskip(NEXT) | instid1(VALU_DEP_4)
	v_mov_b32_e32 v34, v36
	v_add_co_u32 v4, vcc_lo, s8, v4
	s_delay_alu instid0(VALU_DEP_3)
	v_mov_b32_e32 v35, v37
	v_add_co_ci_u32_e32 v5, vcc_lo, s9, v5, vcc_lo
	v_dual_mov_b32 v43, v37 :: v_dual_mov_b32 v42, v36
	v_dual_mov_b32 v47, v37 :: v_dual_mov_b32 v46, v36
	;; [unrolled: 1-line block ×6, first 2 shown]
.LBB147_33:                             ; =>This Inner Loop Header: Depth=1
	global_load_b64 v[14:15], v[4:5], off
	s_clause 0x1
	global_load_b128 v[6:9], v[30:31], off offset:16
	global_load_b128 v[10:13], v[30:31], off
	v_add_co_u32 v4, s0, 0x80, v4
	s_delay_alu instid0(VALU_DEP_1) | instskip(SKIP_3) | instid1(VALU_DEP_1)
	v_add_co_ci_u32_e64 v5, s0, 0, v5, s0
	s_waitcnt vmcnt(2)
	v_sub_co_u32 v14, vcc_lo, v14, s12
	v_subrev_co_ci_u32_e32 v15, vcc_lo, s15, v15, vcc_lo
	v_lshlrev_b64 v[14:15], 6, v[14:15]
	s_waitcnt lgkmcnt(0)
	s_delay_alu instid0(VALU_DEP_1) | instskip(NEXT) | instid1(VALU_DEP_2)
	v_add_co_u32 v14, vcc_lo, s4, v14
	v_add_co_ci_u32_e32 v15, vcc_lo, s5, v15, vcc_lo
	s_clause 0x1
	global_load_b128 v[48:51], v[14:15], off
	global_load_b128 v[52:55], v[14:15], off offset:16
	s_clause 0x3
	global_load_b128 v[59:62], v[30:31], off offset:32
	global_load_b128 v[63:66], v[30:31], off offset:48
	;; [unrolled: 1-line block ×4, first 2 shown]
	s_clause 0x1
	global_load_b128 v[75:78], v[14:15], off offset:32
	global_load_b128 v[79:82], v[14:15], off offset:48
	s_clause 0x1
	global_load_b128 v[83:86], v[30:31], off offset:96
	global_load_b128 v[87:90], v[30:31], off offset:112
	v_add_co_u32 v30, vcc_lo, 0x800, v30
	v_add_co_ci_u32_e32 v31, vcc_lo, 0, v31, vcc_lo
	v_add_co_u32 v2, vcc_lo, v2, -8
	v_add_co_ci_u32_e32 v3, vcc_lo, -1, v3, vcc_lo
	v_add_co_u32 v26, vcc_lo, v26, 16
	v_add_co_ci_u32_e32 v27, vcc_lo, 0, v27, vcc_lo
	s_delay_alu instid0(VALU_DEP_3)
	v_cmp_eq_u64_e32 vcc_lo, 0, v[2:3]
	s_or_b32 s7, vcc_lo, s7
	s_waitcnt vmcnt(9)
	v_fma_f64 v[14:15], v[10:11], v[48:49], v[42:43]
	v_fma_f64 v[36:37], v[48:49], 0, v[36:37]
	;; [unrolled: 1-line block ×16, first 2 shown]
	s_waitcnt vmcnt(7)
	v_fma_f64 v[14:15], v[59:60], v[52:53], v[14:15]
	v_fma_f64 v[10:11], v[52:53], 0, v[10:11]
	v_fma_f64 v[34:35], v[61:62], v[52:53], v[36:37]
	v_fma_f64 v[12:13], v[52:53], 0, v[12:13]
	s_waitcnt vmcnt(6)
	v_fma_f64 v[36:37], v[63:64], v[52:53], v[38:39]
	v_fma_f64 v[6:7], v[52:53], 0, v[6:7]
	;; [unrolled: 1-line block ×12, first 2 shown]
	s_waitcnt vmcnt(3)
	v_fma_f64 v[14:15], v[71:72], v[75:76], v[14:15]
	v_fma_f64 v[10:11], v[75:76], 0, v[10:11]
	;; [unrolled: 1-line block ×16, first 2 shown]
	s_waitcnt vmcnt(1)
	v_fma_f64 v[14:15], v[83:84], v[79:80], v[14:15]
	v_fma_f64 v[10:11], v[79:80], 0, v[10:11]
	;; [unrolled: 1-line block ×4, first 2 shown]
	s_waitcnt vmcnt(0)
	v_fma_f64 v[38:39], v[87:88], v[79:80], v[36:37]
	v_fma_f64 v[6:7], v[79:80], 0, v[6:7]
	;; [unrolled: 1-line block ×12, first 2 shown]
	s_and_not1_b32 exec_lo, exec_lo, s7
	s_cbranch_execnz .LBB147_33
; %bb.34:
	s_or_b32 exec_lo, exec_lo, s7
.LBB147_35:
	s_delay_alu instid0(SALU_CYCLE_1) | instskip(NEXT) | instid1(SALU_CYCLE_1)
	s_or_b32 exec_lo, exec_lo, s6
	s_mov_b32 s6, exec_lo
	v_cmpx_lt_u64_e32 47, v[0:1]
	s_cbranch_execz .LBB147_39
; %bb.36:
	v_lshlrev_b64 v[0:1], 3, v[26:27]
	s_mov_b32 s7, 0
	s_delay_alu instid0(VALU_DEP_1) | instskip(NEXT) | instid1(VALU_DEP_2)
	v_add_co_u32 v0, vcc_lo, v0, s8
	v_add_co_ci_u32_e32 v1, vcc_lo, s9, v1, vcc_lo
	s_delay_alu instid0(VALU_DEP_2) | instskip(NEXT) | instid1(VALU_DEP_2)
	v_add_co_u32 v0, vcc_lo, 0x100, v0
	v_add_co_ci_u32_e32 v1, vcc_lo, 0, v1, vcc_lo
.LBB147_37:                             ; =>This Inner Loop Header: Depth=1
	s_clause 0x1
	global_load_b64 v[2:3], v[0:1], off offset:-256
	global_load_b64 v[56:57], v[0:1], off offset:-128
	s_clause 0x1
	global_load_b128 v[4:7], v[30:31], off offset:16
	global_load_b128 v[8:11], v[30:31], off
	s_clause 0x1
	global_load_b64 v[99:100], v[0:1], off
	global_load_b64 v[101:102], v[0:1], off offset:128
	s_waitcnt vmcnt(5)
	v_sub_co_u32 v2, vcc_lo, v2, s12
	v_subrev_co_ci_u32_e32 v3, vcc_lo, s15, v3, vcc_lo
	s_delay_alu instid0(VALU_DEP_1) | instskip(SKIP_1) | instid1(VALU_DEP_1)
	v_lshlrev_b64 v[2:3], 6, v[2:3]
	s_waitcnt lgkmcnt(0)
	v_add_co_u32 v2, vcc_lo, s4, v2
	s_delay_alu instid0(VALU_DEP_2)
	v_add_co_ci_u32_e32 v3, vcc_lo, s5, v3, vcc_lo
	global_load_b128 v[12:15], v[2:3], off
	s_clause 0x1
	global_load_b128 v[48:51], v[30:31], off offset:32
	global_load_b128 v[52:55], v[30:31], off offset:48
	global_load_b128 v[59:62], v[2:3], off offset:16
	s_clause 0x1
	global_load_b128 v[63:66], v[30:31], off offset:80
	global_load_b128 v[67:70], v[30:31], off offset:64
	global_load_b128 v[71:74], v[2:3], off offset:32
	;; [unrolled: 4-line block ×3, first 2 shown]
	s_clause 0x1
	global_load_b128 v[87:90], v[30:31], off offset:2064
	global_load_b128 v[91:94], v[30:31], off offset:2048
	s_waitcnt vmcnt(16)
	v_sub_co_u32 v2, vcc_lo, v56, s12
	v_subrev_co_ci_u32_e32 v3, vcc_lo, s15, v57, vcc_lo
	s_delay_alu instid0(VALU_DEP_1) | instskip(NEXT) | instid1(VALU_DEP_1)
	v_lshlrev_b64 v[2:3], 6, v[2:3]
	v_add_co_u32 v56, vcc_lo, s4, v2
	s_delay_alu instid0(VALU_DEP_2)
	v_add_co_ci_u32_e32 v57, vcc_lo, s5, v3, vcc_lo
	v_add_co_u32 v107, vcc_lo, 0x1000, v30
	v_add_co_ci_u32_e32 v108, vcc_lo, 0, v31, vcc_lo
	global_load_b128 v[95:98], v[56:57], off
	s_waitcnt vmcnt(12)
	v_fma_f64 v[2:3], v[12:13], 0, v[36:37]
	v_fma_f64 v[36:37], v[12:13], 0, v[46:47]
	;; [unrolled: 1-line block ×16, first 2 shown]
	s_clause 0x1
	global_load_b128 v[2:5], v[30:31], off offset:2096
	global_load_b128 v[6:9], v[30:31], off offset:2080
	;; [unrolled: 1-line block ×3, first 2 shown]
	s_waitcnt vmcnt(12)
	v_fma_f64 v[32:33], v[59:60], 0, v[32:33]
	v_fma_f64 v[36:37], v[59:60], 0, v[36:37]
	;; [unrolled: 1-line block ×16, first 2 shown]
	s_clause 0x1
	global_load_b128 v[32:35], v[30:31], off offset:2128
	global_load_b128 v[36:39], v[30:31], off offset:2112
	s_clause 0x1
	global_load_b128 v[40:43], v[56:57], off offset:32
	global_load_b128 v[44:47], v[56:57], off offset:48
	s_waitcnt vmcnt(13)
	v_fma_f64 v[48:49], v[71:72], 0, v[48:49]
	v_fma_f64 v[50:51], v[71:72], 0, v[50:51]
	;; [unrolled: 1-line block ×16, first 2 shown]
	s_clause 0x1
	global_load_b128 v[48:51], v[30:31], off offset:2144
	global_load_b128 v[52:55], v[30:31], off offset:2160
	v_add_co_u32 v30, s0, 0x2000, v30
	s_delay_alu instid0(VALU_DEP_1)
	v_add_co_ci_u32_e64 v31, s0, 0, v31, s0
	s_waitcnt vmcnt(12)
	v_fma_f64 v[67:68], v[83:84], 0, v[67:68]
	v_fma_f64 v[69:70], v[83:84], 0, v[69:70]
	;; [unrolled: 1-line block ×8, first 2 shown]
	v_sub_co_u32 v83, vcc_lo, v99, s12
	v_subrev_co_ci_u32_e32 v84, vcc_lo, s15, v100, vcc_lo
	s_clause 0x1
	global_load_b128 v[59:62], v[107:108], off
	global_load_b128 v[63:66], v[107:108], off offset:16
	v_fma_f64 v[79:80], v[79:80], v[85:86], v[67:68]
	v_fma_f64 v[81:82], v[81:82], v[85:86], v[69:70]
	v_fma_f64 v[71:72], v[75:76], v[85:86], v[71:72]
	v_fma_f64 v[73:74], v[77:78], v[85:86], v[73:74]
	v_fma_f64 v[56:57], 0x80000000, v[85:86], v[56:57]
	v_fma_f64 v[75:76], 0x80000000, v[85:86], v[103:104]
	v_fma_f64 v[77:78], 0x80000000, v[85:86], v[105:106]
	v_fma_f64 v[14:15], 0x80000000, v[85:86], v[14:15]
	v_lshlrev_b64 v[67:68], 6, v[83:84]
	s_delay_alu instid0(VALU_DEP_1) | instskip(NEXT) | instid1(VALU_DEP_2)
	v_add_co_u32 v83, vcc_lo, s4, v67
	v_add_co_ci_u32_e32 v84, vcc_lo, s5, v68, vcc_lo
	global_load_b128 v[67:70], v[83:84], off
	s_waitcnt vmcnt(12)
	v_fma_f64 v[79:80], v[95:96], 0, v[79:80]
	v_fma_f64 v[81:82], v[95:96], 0, v[81:82]
	v_fma_f64 v[71:72], v[95:96], 0, v[71:72]
	v_fma_f64 v[73:74], v[95:96], 0, v[73:74]
	v_fma_f64 v[56:57], v[91:92], v[95:96], v[56:57]
	v_fma_f64 v[75:76], v[93:94], v[95:96], v[75:76]
	v_fma_f64 v[77:78], v[87:88], v[95:96], v[77:78]
	v_fma_f64 v[14:15], v[89:90], v[95:96], v[14:15]
	v_fma_f64 v[85:86], v[91:92], v[97:98], v[79:80]
	v_fma_f64 v[91:92], v[93:94], v[97:98], v[81:82]
	v_fma_f64 v[87:88], v[87:88], v[97:98], v[71:72]
	v_fma_f64 v[89:90], v[89:90], v[97:98], v[73:74]
	v_fma_f64 v[56:57], 0x80000000, v[97:98], v[56:57]
	v_fma_f64 v[93:94], 0x80000000, v[97:98], v[75:76]
	v_fma_f64 v[95:96], 0x80000000, v[97:98], v[77:78]
	v_fma_f64 v[14:15], 0x80000000, v[97:98], v[14:15]
	s_clause 0x1
	global_load_b128 v[71:74], v[107:108], off offset:32
	global_load_b128 v[75:78], v[107:108], off offset:48
	global_load_b128 v[79:82], v[83:84], off offset:16
	s_waitcnt vmcnt(12)
	v_fma_f64 v[85:86], v[10:11], 0, v[85:86]
	v_fma_f64 v[91:92], v[10:11], 0, v[91:92]
	v_fma_f64 v[87:88], v[10:11], 0, v[87:88]
	v_fma_f64 v[89:90], v[10:11], 0, v[89:90]
	v_fma_f64 v[56:57], v[6:7], v[10:11], v[56:57]
	v_fma_f64 v[93:94], v[8:9], v[10:11], v[93:94]
	v_fma_f64 v[95:96], v[2:3], v[10:11], v[95:96]
	v_fma_f64 v[10:11], v[4:5], v[10:11], v[14:15]
	v_fma_f64 v[14:15], v[6:7], v[12:13], v[85:86]
	v_fma_f64 v[85:86], v[8:9], v[12:13], v[91:92]
	v_fma_f64 v[87:88], v[2:3], v[12:13], v[87:88]
	v_fma_f64 v[89:90], v[4:5], v[12:13], v[89:90]
	v_fma_f64 v[56:57], 0x80000000, v[12:13], v[56:57]
	v_fma_f64 v[91:92], 0x80000000, v[12:13], v[93:94]
	v_fma_f64 v[93:94], 0x80000000, v[12:13], v[95:96]
	v_fma_f64 v[95:96], 0x80000000, v[12:13], v[10:11]
	s_clause 0x1
	global_load_b128 v[2:5], v[107:108], off offset:80
	global_load_b128 v[6:9], v[107:108], off offset:64
	global_load_b128 v[10:13], v[83:84], off offset:32
	;; [unrolled: 21-line block ×3, first 2 shown]
	s_waitcnt vmcnt(14)
	v_fma_f64 v[14:15], v[44:45], 0, v[14:15]
	v_fma_f64 v[97:98], v[44:45], 0, v[85:86]
	;; [unrolled: 1-line block ×4, first 2 shown]
	s_waitcnt vmcnt(13)
	v_fma_f64 v[56:57], v[48:49], v[44:45], v[56:57]
	v_fma_f64 v[91:92], v[50:51], v[44:45], v[91:92]
	s_waitcnt vmcnt(12)
	v_fma_f64 v[93:94], v[52:53], v[44:45], v[93:94]
	v_fma_f64 v[44:45], v[54:55], v[44:45], v[95:96]
	v_sub_co_u32 v95, vcc_lo, v101, s12
	v_subrev_co_ci_u32_e32 v96, vcc_lo, s15, v102, vcc_lo
	s_clause 0x1
	global_load_b128 v[83:86], v[107:108], off offset:2064
	global_load_b128 v[87:90], v[107:108], off offset:2048
	v_fma_f64 v[14:15], v[48:49], v[46:47], v[14:15]
	v_fma_f64 v[48:49], v[50:51], v[46:47], v[97:98]
	;; [unrolled: 1-line block ×8, first 2 shown]
	v_lshlrev_b64 v[44:45], 6, v[95:96]
	s_delay_alu instid0(VALU_DEP_1) | instskip(NEXT) | instid1(VALU_DEP_2)
	v_add_co_u32 v95, vcc_lo, s4, v44
	v_add_co_ci_u32_e32 v96, vcc_lo, s5, v45, vcc_lo
	v_add_co_u32 v26, vcc_lo, v26, 64
	v_add_co_ci_u32_e32 v27, vcc_lo, 0, v27, vcc_lo
	global_load_b128 v[44:47], v[95:96], off
	v_add_co_u32 v0, vcc_lo, 0x200, v0
	v_add_co_ci_u32_e32 v1, vcc_lo, 0, v1, vcc_lo
	v_cmp_ge_i64_e32 vcc_lo, v[26:27], v[28:29]
	s_or_b32 s7, vcc_lo, s7
	s_waitcnt vmcnt(12)
	v_fma_f64 v[14:15], v[67:68], 0, v[14:15]
	v_fma_f64 v[48:49], v[67:68], 0, v[48:49]
	v_fma_f64 v[50:51], v[67:68], 0, v[50:51]
	v_fma_f64 v[52:53], v[67:68], 0, v[52:53]
	v_fma_f64 v[54:55], v[59:60], v[67:68], v[54:55]
	v_fma_f64 v[56:57], v[61:62], v[67:68], v[56:57]
	v_fma_f64 v[91:92], v[63:64], v[67:68], v[91:92]
	v_fma_f64 v[93:94], v[65:66], v[67:68], v[93:94]
	v_fma_f64 v[14:15], v[59:60], v[69:70], v[14:15]
	v_fma_f64 v[97:98], v[61:62], v[69:70], v[48:49]
	v_fma_f64 v[63:64], v[63:64], v[69:70], v[50:51]
	v_fma_f64 v[65:66], v[65:66], v[69:70], v[52:53]
	v_fma_f64 v[67:68], 0x80000000, v[69:70], v[54:55]
	v_fma_f64 v[56:57], 0x80000000, v[69:70], v[56:57]
	v_fma_f64 v[91:92], 0x80000000, v[69:70], v[91:92]
	v_fma_f64 v[93:94], 0x80000000, v[69:70], v[93:94]
	s_clause 0x1
	global_load_b128 v[48:51], v[107:108], off offset:2080
	global_load_b128 v[52:55], v[107:108], off offset:2096
	global_load_b128 v[59:62], v[95:96], off offset:16
	s_waitcnt vmcnt(12)
	v_fma_f64 v[14:15], v[79:80], 0, v[14:15]
	v_fma_f64 v[69:70], v[79:80], 0, v[97:98]
	v_fma_f64 v[63:64], v[79:80], 0, v[63:64]
	v_fma_f64 v[65:66], v[79:80], 0, v[65:66]
	v_fma_f64 v[67:68], v[71:72], v[79:80], v[67:68]
	v_fma_f64 v[56:57], v[73:74], v[79:80], v[56:57]
	v_fma_f64 v[91:92], v[75:76], v[79:80], v[91:92]
	v_fma_f64 v[93:94], v[77:78], v[79:80], v[93:94]
	v_fma_f64 v[14:15], v[71:72], v[81:82], v[14:15]
	v_fma_f64 v[97:98], v[73:74], v[81:82], v[69:70]
	v_fma_f64 v[75:76], v[75:76], v[81:82], v[63:64]
	v_fma_f64 v[77:78], v[77:78], v[81:82], v[65:66]
	v_fma_f64 v[79:80], 0x80000000, v[81:82], v[67:68]
	v_fma_f64 v[56:57], 0x80000000, v[81:82], v[56:57]
	v_fma_f64 v[91:92], 0x80000000, v[81:82], v[91:92]
	v_fma_f64 v[93:94], 0x80000000, v[81:82], v[93:94]
	s_clause 0x1
	global_load_b128 v[63:66], v[107:108], off offset:2128
	global_load_b128 v[67:70], v[107:108], off offset:2112
	global_load_b128 v[71:74], v[95:96], off offset:32
	;; [unrolled: 21-line block ×3, first 2 shown]
	s_waitcnt vmcnt(12)
	v_fma_f64 v[14:15], v[40:41], 0, v[14:15]
	v_fma_f64 v[75:76], v[40:41], 0, v[75:76]
	v_fma_f64 v[77:78], v[32:33], v[40:41], v[77:78]
	v_fma_f64 v[56:57], v[34:35], v[40:41], v[56:57]
	v_fma_f64 v[79:80], v[40:41], 0, v[79:80]
	v_fma_f64 v[81:82], v[36:37], v[40:41], v[81:82]
	v_fma_f64 v[91:92], v[38:39], v[40:41], v[91:92]
	v_fma_f64 v[40:41], v[40:41], 0, v[93:94]
	v_fma_f64 v[14:15], v[32:33], v[42:43], v[14:15]
	v_fma_f64 v[36:37], v[36:37], v[42:43], v[75:76]
	v_fma_f64 v[77:78], 0x80000000, v[42:43], v[77:78]
	v_fma_f64 v[32:33], 0x80000000, v[42:43], v[56:57]
	v_fma_f64 v[34:35], v[34:35], v[42:43], v[79:80]
	v_fma_f64 v[56:57], 0x80000000, v[42:43], v[81:82]
	v_fma_f64 v[75:76], 0x80000000, v[42:43], v[91:92]
	v_fma_f64 v[38:39], v[38:39], v[42:43], v[40:41]
	s_waitcnt vmcnt(9)
	v_fma_f64 v[14:15], v[44:45], 0, v[14:15]
	v_fma_f64 v[36:37], v[44:45], 0, v[36:37]
	v_fma_f64 v[40:41], v[87:88], v[44:45], v[77:78]
	v_fma_f64 v[32:33], v[89:90], v[44:45], v[32:33]
	v_fma_f64 v[34:35], v[44:45], 0, v[34:35]
	v_fma_f64 v[42:43], v[83:84], v[44:45], v[56:57]
	v_fma_f64 v[56:57], v[85:86], v[44:45], v[75:76]
	v_fma_f64 v[38:39], v[44:45], 0, v[38:39]
	v_fma_f64 v[14:15], v[87:88], v[46:47], v[14:15]
	v_fma_f64 v[36:37], v[83:84], v[46:47], v[36:37]
	v_fma_f64 v[40:41], 0x80000000, v[46:47], v[40:41]
	v_fma_f64 v[32:33], 0x80000000, v[46:47], v[32:33]
	v_fma_f64 v[34:35], v[89:90], v[46:47], v[34:35]
	v_fma_f64 v[42:43], 0x80000000, v[46:47], v[42:43]
	v_fma_f64 v[44:45], 0x80000000, v[46:47], v[56:57]
	v_fma_f64 v[38:39], v[85:86], v[46:47], v[38:39]
	;; [unrolled: 17-line block ×5, first 2 shown]
	s_and_not1_b32 exec_lo, exec_lo, s7
	s_cbranch_execnz .LBB147_37
; %bb.38:
	s_or_b32 exec_lo, exec_lo, s7
.LBB147_39:
	s_delay_alu instid0(SALU_CYCLE_1)
	s_or_b32 exec_lo, exec_lo, s6
.LBB147_40:
	s_delay_alu instid0(SALU_CYCLE_1)
	s_or_b32 exec_lo, exec_lo, s1
.LBB147_41:
	v_mbcnt_lo_u32_b32 v48, -1, 0
	s_delay_alu instid0(VALU_DEP_1) | instskip(SKIP_1) | instid1(VALU_DEP_2)
	v_xor_b32_e32 v0, 8, v48
	v_xor_b32_e32 v26, 4, v48
	v_cmp_gt_i32_e32 vcc_lo, 32, v0
	v_cndmask_b32_e32 v0, v48, v0, vcc_lo
	s_delay_alu instid0(VALU_DEP_3) | instskip(NEXT) | instid1(VALU_DEP_2)
	v_cmp_gt_i32_e32 vcc_lo, 32, v26
	v_dual_cndmask_b32 v26, v48, v26 :: v_dual_lshlrev_b32 v15, 2, v0
	ds_bpermute_b32 v0, v15, v42
	ds_bpermute_b32 v1, v15, v43
	;; [unrolled: 1-line block ×16, first 2 shown]
	s_waitcnt lgkmcnt(0)
	v_add_f64 v[0:1], v[42:43], v[0:1]
	v_add_f64 v[6:7], v[46:47], v[6:7]
	;; [unrolled: 1-line block ×7, first 2 shown]
	v_lshlrev_b32_e32 v41, 2, v26
	v_add_f64 v[14:15], v[34:35], v[14:15]
	ds_bpermute_b32 v26, v41, v0
	ds_bpermute_b32 v27, v41, v1
	;; [unrolled: 1-line block ×16, first 2 shown]
	s_waitcnt lgkmcnt(14)
	v_add_f64 v[0:1], v[0:1], v[26:27]
	s_waitcnt lgkmcnt(12)
	v_add_f64 v[6:7], v[6:7], v[32:33]
	s_waitcnt lgkmcnt(10)
	v_add_f64 v[12:13], v[12:13], v[38:39]
	s_waitcnt lgkmcnt(8)
	v_add_f64 v[2:3], v[2:3], v[28:29]
	s_waitcnt lgkmcnt(6)
	v_add_f64 v[4:5], v[4:5], v[30:31]
	s_waitcnt lgkmcnt(4)
	v_add_f64 v[8:9], v[8:9], v[34:35]
	s_waitcnt lgkmcnt(2)
	v_add_f64 v[10:11], v[10:11], v[36:37]
	s_waitcnt lgkmcnt(0)
	v_add_f64 v[26:27], v[14:15], v[40:41]
	v_xor_b32_e32 v14, 2, v48
	s_delay_alu instid0(VALU_DEP_1) | instskip(SKIP_1) | instid1(VALU_DEP_1)
	v_cmp_gt_i32_e32 vcc_lo, 32, v14
	v_cndmask_b32_e32 v14, v48, v14, vcc_lo
	v_lshlrev_b32_e32 v41, 2, v14
	ds_bpermute_b32 v14, v41, v0
	ds_bpermute_b32 v15, v41, v1
	;; [unrolled: 1-line block ×6, first 2 shown]
	s_waitcnt lgkmcnt(4)
	v_add_f64 v[0:1], v[0:1], v[14:15]
	s_waitcnt lgkmcnt(2)
	v_add_f64 v[14:15], v[6:7], v[32:33]
	;; [unrolled: 2-line block ×3, first 2 shown]
	v_xor_b32_e32 v12, 1, v48
	s_delay_alu instid0(VALU_DEP_1)
	v_cmp_gt_i32_e32 vcc_lo, 32, v12
	v_cndmask_b32_e32 v12, v48, v12, vcc_lo
	ds_bpermute_b32 v28, v41, v2
	ds_bpermute_b32 v29, v41, v3
	;; [unrolled: 1-line block ×10, first 2 shown]
	v_cmp_eq_u32_e32 vcc_lo, 15, v58
	s_waitcnt lgkmcnt(8)
	v_add_f64 v[28:29], v[2:3], v[28:29]
	s_waitcnt lgkmcnt(6)
	v_add_f64 v[2:3], v[4:5], v[30:31]
	;; [unrolled: 2-line block ×3, first 2 shown]
	v_lshlrev_b32_e32 v35, 2, v12
	s_waitcnt lgkmcnt(2)
	v_add_f64 v[10:11], v[10:11], v[36:37]
	s_waitcnt lgkmcnt(0)
	v_add_f64 v[8:9], v[26:27], v[40:41]
	ds_bpermute_b32 v12, v35, v0
	ds_bpermute_b32 v13, v35, v1
	;; [unrolled: 1-line block ×16, first 2 shown]
	s_and_b32 exec_lo, exec_lo, vcc_lo
	s_cbranch_execz .LBB147_12
; %bb.42:
	s_waitcnt lgkmcnt(8)
	v_add_f64 v[28:29], v[28:29], v[40:41]
	v_add_f64 v[14:15], v[14:15], v[38:39]
	s_waitcnt lgkmcnt(2)
	v_add_f64 v[10:11], v[10:11], v[36:37]
	s_waitcnt lgkmcnt(0)
	v_add_f64 v[8:9], v[8:9], v[34:35]
	v_add_f64 v[0:1], v[0:1], v[12:13]
	;; [unrolled: 1-line block ×5, first 2 shown]
	v_cmp_eq_f64_e32 vcc_lo, 0, v[16:17]
	v_cmp_eq_f64_e64 s0, 0, v[18:19]
	s_load_b64 s[2:3], s[2:3], 0x68
	v_mul_f64 v[4:5], v[28:29], -v[22:23]
	v_mul_f64 v[6:7], v[20:21], v[28:29]
	v_mul_f64 v[28:29], v[14:15], -v[22:23]
	v_mul_f64 v[32:33], v[20:21], v[14:15]
	;; [unrolled: 2-line block ×4, first 2 shown]
	s_and_b32 s0, vcc_lo, s0
	v_fma_f64 v[12:13], v[20:21], v[0:1], v[4:5]
	v_fma_f64 v[14:15], v[22:23], v[0:1], v[6:7]
	;; [unrolled: 1-line block ×8, first 2 shown]
	v_lshlrev_b64 v[20:21], 6, v[24:25]
	s_and_saveexec_b32 s1, s0
	s_delay_alu instid0(SALU_CYCLE_1)
	s_xor_b32 s0, exec_lo, s1
	s_cbranch_execz .LBB147_44
; %bb.43:
	s_waitcnt lgkmcnt(0)
	s_delay_alu instid0(VALU_DEP_1)
	v_add_co_u32 v16, vcc_lo, s2, v20
	v_add_co_ci_u32_e32 v17, vcc_lo, s3, v21, vcc_lo
                                        ; implicit-def: $vgpr18_vgpr19
                                        ; implicit-def: $vgpr20_vgpr21
	s_clause 0x3
	global_store_b128 v[16:17], v[12:15], off
	global_store_b128 v[16:17], v[8:11], off offset:16
	global_store_b128 v[16:17], v[4:7], off offset:32
	;; [unrolled: 1-line block ×3, first 2 shown]
                                        ; implicit-def: $vgpr16_vgpr17
                                        ; implicit-def: $vgpr12_vgpr13
                                        ; implicit-def: $vgpr8_vgpr9
                                        ; implicit-def: $vgpr4_vgpr5
                                        ; implicit-def: $vgpr0_vgpr1
.LBB147_44:
	s_and_not1_saveexec_b32 s0, s0
	s_cbranch_execz .LBB147_12
; %bb.45:
	s_waitcnt lgkmcnt(0)
	v_add_co_u32 v36, vcc_lo, s2, v20
	v_add_co_ci_u32_e32 v37, vcc_lo, s3, v21, vcc_lo
	s_clause 0x3
	global_load_b128 v[20:23], v[36:37], off
	global_load_b128 v[24:27], v[36:37], off offset:16
	global_load_b128 v[28:31], v[36:37], off offset:32
	;; [unrolled: 1-line block ×3, first 2 shown]
	s_waitcnt vmcnt(3)
	v_fma_f64 v[12:13], v[16:17], v[20:21], v[12:13]
	v_fma_f64 v[14:15], v[18:19], v[20:21], v[14:15]
	s_waitcnt vmcnt(2)
	v_fma_f64 v[8:9], v[16:17], v[24:25], v[8:9]
	v_fma_f64 v[10:11], v[18:19], v[24:25], v[10:11]
	;; [unrolled: 3-line block ×4, first 2 shown]
	v_fma_f64 v[0:1], -v[18:19], v[22:23], v[12:13]
	v_fma_f64 v[2:3], v[16:17], v[22:23], v[14:15]
	v_fma_f64 v[4:5], -v[18:19], v[26:27], v[8:9]
	v_fma_f64 v[6:7], v[16:17], v[26:27], v[10:11]
	;; [unrolled: 2-line block ×4, first 2 shown]
	s_clause 0x3
	global_store_b128 v[36:37], v[0:3], off
	global_store_b128 v[36:37], v[4:7], off offset:16
	global_store_b128 v[36:37], v[8:11], off offset:32
	;; [unrolled: 1-line block ×3, first 2 shown]
	s_nop 0
	s_sendmsg sendmsg(MSG_DEALLOC_VGPRS)
	s_endpgm
	.section	.rodata,"a",@progbits
	.p2align	6, 0x0
	.amdhsa_kernel _ZN9rocsparseL18bsrxmvn_4x4_kernelILj128ELj16E21rocsparse_complex_numIdElldS2_S2_EEvT3_20rocsparse_direction_NS_24const_host_device_scalarIT1_EES3_PKS3_PKT2_SC_S9_PKT4_PKT5_S7_PT6_21rocsparse_index_base_b
		.amdhsa_group_segment_fixed_size 2048
		.amdhsa_private_segment_fixed_size 0
		.amdhsa_kernarg_size 120
		.amdhsa_user_sgpr_count 15
		.amdhsa_user_sgpr_dispatch_ptr 1
		.amdhsa_user_sgpr_queue_ptr 0
		.amdhsa_user_sgpr_kernarg_segment_ptr 1
		.amdhsa_user_sgpr_dispatch_id 0
		.amdhsa_user_sgpr_private_segment_size 0
		.amdhsa_wavefront_size32 1
		.amdhsa_uses_dynamic_stack 0
		.amdhsa_enable_private_segment 0
		.amdhsa_system_sgpr_workgroup_id_x 1
		.amdhsa_system_sgpr_workgroup_id_y 0
		.amdhsa_system_sgpr_workgroup_id_z 0
		.amdhsa_system_sgpr_workgroup_info 0
		.amdhsa_system_vgpr_workitem_id 2
		.amdhsa_next_free_vgpr 121
		.amdhsa_next_free_sgpr 18
		.amdhsa_reserve_vcc 1
		.amdhsa_float_round_mode_32 0
		.amdhsa_float_round_mode_16_64 0
		.amdhsa_float_denorm_mode_32 3
		.amdhsa_float_denorm_mode_16_64 3
		.amdhsa_dx10_clamp 1
		.amdhsa_ieee_mode 1
		.amdhsa_fp16_overflow 0
		.amdhsa_workgroup_processor_mode 1
		.amdhsa_memory_ordered 1
		.amdhsa_forward_progress 0
		.amdhsa_shared_vgpr_count 0
		.amdhsa_exception_fp_ieee_invalid_op 0
		.amdhsa_exception_fp_denorm_src 0
		.amdhsa_exception_fp_ieee_div_zero 0
		.amdhsa_exception_fp_ieee_overflow 0
		.amdhsa_exception_fp_ieee_underflow 0
		.amdhsa_exception_fp_ieee_inexact 0
		.amdhsa_exception_int_div_zero 0
	.end_amdhsa_kernel
	.section	.text._ZN9rocsparseL18bsrxmvn_4x4_kernelILj128ELj16E21rocsparse_complex_numIdElldS2_S2_EEvT3_20rocsparse_direction_NS_24const_host_device_scalarIT1_EES3_PKS3_PKT2_SC_S9_PKT4_PKT5_S7_PT6_21rocsparse_index_base_b,"axG",@progbits,_ZN9rocsparseL18bsrxmvn_4x4_kernelILj128ELj16E21rocsparse_complex_numIdElldS2_S2_EEvT3_20rocsparse_direction_NS_24const_host_device_scalarIT1_EES3_PKS3_PKT2_SC_S9_PKT4_PKT5_S7_PT6_21rocsparse_index_base_b,comdat
.Lfunc_end147:
	.size	_ZN9rocsparseL18bsrxmvn_4x4_kernelILj128ELj16E21rocsparse_complex_numIdElldS2_S2_EEvT3_20rocsparse_direction_NS_24const_host_device_scalarIT1_EES3_PKS3_PKT2_SC_S9_PKT4_PKT5_S7_PT6_21rocsparse_index_base_b, .Lfunc_end147-_ZN9rocsparseL18bsrxmvn_4x4_kernelILj128ELj16E21rocsparse_complex_numIdElldS2_S2_EEvT3_20rocsparse_direction_NS_24const_host_device_scalarIT1_EES3_PKS3_PKT2_SC_S9_PKT4_PKT5_S7_PT6_21rocsparse_index_base_b
                                        ; -- End function
	.section	.AMDGPU.csdata,"",@progbits
; Kernel info:
; codeLenInByte = 11072
; NumSgprs: 20
; NumVgprs: 121
; ScratchSize: 0
; MemoryBound: 0
; FloatMode: 240
; IeeeMode: 1
; LDSByteSize: 2048 bytes/workgroup (compile time only)
; SGPRBlocks: 2
; VGPRBlocks: 15
; NumSGPRsForWavesPerEU: 20
; NumVGPRsForWavesPerEU: 121
; Occupancy: 10
; WaveLimiterHint : 1
; COMPUTE_PGM_RSRC2:SCRATCH_EN: 0
; COMPUTE_PGM_RSRC2:USER_SGPR: 15
; COMPUTE_PGM_RSRC2:TRAP_HANDLER: 0
; COMPUTE_PGM_RSRC2:TGID_X_EN: 1
; COMPUTE_PGM_RSRC2:TGID_Y_EN: 0
; COMPUTE_PGM_RSRC2:TGID_Z_EN: 0
; COMPUTE_PGM_RSRC2:TIDIG_COMP_CNT: 2
	.section	.text._ZN9rocsparseL18bsrxmvn_4x4_kernelILj128ELj32E21rocsparse_complex_numIdElldS2_S2_EEvT3_20rocsparse_direction_NS_24const_host_device_scalarIT1_EES3_PKS3_PKT2_SC_S9_PKT4_PKT5_S7_PT6_21rocsparse_index_base_b,"axG",@progbits,_ZN9rocsparseL18bsrxmvn_4x4_kernelILj128ELj32E21rocsparse_complex_numIdElldS2_S2_EEvT3_20rocsparse_direction_NS_24const_host_device_scalarIT1_EES3_PKS3_PKT2_SC_S9_PKT4_PKT5_S7_PT6_21rocsparse_index_base_b,comdat
	.globl	_ZN9rocsparseL18bsrxmvn_4x4_kernelILj128ELj32E21rocsparse_complex_numIdElldS2_S2_EEvT3_20rocsparse_direction_NS_24const_host_device_scalarIT1_EES3_PKS3_PKT2_SC_S9_PKT4_PKT5_S7_PT6_21rocsparse_index_base_b ; -- Begin function _ZN9rocsparseL18bsrxmvn_4x4_kernelILj128ELj32E21rocsparse_complex_numIdElldS2_S2_EEvT3_20rocsparse_direction_NS_24const_host_device_scalarIT1_EES3_PKS3_PKT2_SC_S9_PKT4_PKT5_S7_PT6_21rocsparse_index_base_b
	.p2align	8
	.type	_ZN9rocsparseL18bsrxmvn_4x4_kernelILj128ELj32E21rocsparse_complex_numIdElldS2_S2_EEvT3_20rocsparse_direction_NS_24const_host_device_scalarIT1_EES3_PKS3_PKT2_SC_S9_PKT4_PKT5_S7_PT6_21rocsparse_index_base_b,@function
_ZN9rocsparseL18bsrxmvn_4x4_kernelILj128ELj32E21rocsparse_complex_numIdElldS2_S2_EEvT3_20rocsparse_direction_NS_24const_host_device_scalarIT1_EES3_PKS3_PKT2_SC_S9_PKT4_PKT5_S7_PT6_21rocsparse_index_base_b: ; @_ZN9rocsparseL18bsrxmvn_4x4_kernelILj128ELj32E21rocsparse_complex_numIdElldS2_S2_EEvT3_20rocsparse_direction_NS_24const_host_device_scalarIT1_EES3_PKS3_PKT2_SC_S9_PKT4_PKT5_S7_PT6_21rocsparse_index_base_b
; %bb.0:
	s_load_b64 s[12:13], s[2:3], 0x70
	s_load_b64 s[16:17], s[0:1], 0x4
	s_load_b128 s[8:11], s[2:3], 0x10
	v_bfe_u32 v1, v0, 10, 10
	s_mov_b64 s[0:1], src_shared_base
	s_load_b128 s[4:7], s[2:3], 0x58
	v_and_b32_e32 v2, 0x3ff, v0
	v_bfe_u32 v0, v0, 20, 10
	s_waitcnt lgkmcnt(0)
	s_bitcmp1_b32 s13, 0
	v_mul_u32_u24_e32 v1, s17, v1
	v_mov_b32_e32 v3, s8
	s_cselect_b32 s0, -1, 0
	v_mov_b32_e32 v23, s11
	s_and_b32 vcc_lo, s0, exec_lo
	s_cselect_b32 s13, s1, s9
	s_lshr_b32 s14, s16, 16
	v_dual_mov_b32 v6, s5 :: v_dual_mov_b32 v5, s4
	s_mul_i32 s14, s14, s17
	v_mov_b32_e32 v8, s13
	v_mad_u32_u24 v1, s14, v2, v1
	v_mov_b32_e32 v22, s10
	s_xor_b32 s10, s0, -1
	v_mov_b32_e32 v4, s9
	s_delay_alu instid0(VALU_DEP_3) | instskip(NEXT) | instid1(VALU_DEP_1)
	v_add_lshl_u32 v0, v1, v0, 3
	v_add_nc_u32_e32 v1, 0x400, v0
	ds_store_2addr_stride64_b64 v0, v[5:6], v[3:4] offset1:2
	v_cndmask_b32_e64 v7, s8, v1, s0
	flat_load_b64 v[20:21], v[7:8]
	s_cbranch_vccnz .LBB148_2
; %bb.1:
	v_dual_mov_b32 v3, s8 :: v_dual_mov_b32 v4, s9
	flat_load_b64 v[22:23], v[3:4] offset:8
.LBB148_2:
	s_and_b32 s8, s0, exec_lo
	s_cselect_b32 s1, s1, s5
	v_cndmask_b32_e64 v0, s4, v0, s0
	v_mov_b32_e32 v1, s1
	v_dual_mov_b32 v19, s7 :: v_dual_mov_b32 v18, s6
	s_and_not1_b32 vcc_lo, exec_lo, s10
	flat_load_b64 v[16:17], v[0:1]
	s_cbranch_vccnz .LBB148_4
; %bb.3:
	v_dual_mov_b32 v0, s4 :: v_dual_mov_b32 v1, s5
	flat_load_b64 v[18:19], v[0:1] offset:8
.LBB148_4:
	s_waitcnt vmcnt(1) lgkmcnt(1)
	v_cmp_eq_f64_e32 vcc_lo, 0, v[20:21]
	v_cmp_eq_f64_e64 s0, 0, v[22:23]
	s_delay_alu instid0(VALU_DEP_1)
	s_and_b32 s4, vcc_lo, s0
	s_mov_b32 s0, -1
	s_and_saveexec_b32 s1, s4
	s_cbranch_execz .LBB148_6
; %bb.5:
	s_waitcnt vmcnt(0) lgkmcnt(0)
	v_cmp_neq_f64_e32 vcc_lo, 1.0, v[16:17]
	v_cmp_neq_f64_e64 s0, 0, v[18:19]
	s_delay_alu instid0(VALU_DEP_1) | instskip(NEXT) | instid1(SALU_CYCLE_1)
	s_or_b32 s0, vcc_lo, s0
	s_or_not1_b32 s0, s0, exec_lo
.LBB148_6:
	s_or_b32 exec_lo, exec_lo, s1
	s_and_saveexec_b32 s1, s0
	s_cbranch_execz .LBB148_12
; %bb.7:
	s_load_b64 s[0:1], s[2:3], 0x28
	v_lshrrev_b32_e32 v0, 5, v2
	v_mov_b32_e32 v1, 0
	s_mov_b32 s4, 0
	s_delay_alu instid0(VALU_DEP_2)
	v_lshl_or_b32 v0, s15, 2, v0
	s_waitcnt lgkmcnt(0)
	s_cmp_lg_u64 s[0:1], 0
	s_cbranch_scc0 .LBB148_13
; %bb.8:
	s_load_b64 s[4:5], s[2:3], 0x20
                                        ; implicit-def: $vgpr24_vgpr25
	s_waitcnt lgkmcnt(0)
	v_cmp_gt_i64_e32 vcc_lo, s[4:5], v[0:1]
	s_mov_b32 s5, 0
	s_mov_b32 s4, 0
	s_and_saveexec_b32 s6, vcc_lo
	s_delay_alu instid0(SALU_CYCLE_1)
	s_xor_b32 s6, exec_lo, s6
                                        ; implicit-def: $sgpr14_sgpr15
	s_cbranch_execz .LBB148_10
; %bb.9:
	v_lshlrev_b64 v[3:4], 3, v[0:1]
	s_mov_b32 s4, exec_lo
	s_mov_b32 s15, 0
	s_delay_alu instid0(VALU_DEP_1) | instskip(NEXT) | instid1(VALU_DEP_2)
	v_add_co_u32 v3, vcc_lo, s0, v3
	v_add_co_ci_u32_e32 v4, vcc_lo, s1, v4, vcc_lo
	global_load_b64 v[3:4], v[3:4], off
	s_waitcnt vmcnt(0)
	v_sub_co_u32 v24, vcc_lo, v3, s12
	v_subrev_co_ci_u32_e32 v25, vcc_lo, 0, v4, vcc_lo
.LBB148_10:
	s_or_b32 exec_lo, exec_lo, s6
	s_delay_alu instid0(SALU_CYCLE_1)
	s_and_b32 vcc_lo, exec_lo, s5
	s_cbranch_vccnz .LBB148_14
.LBB148_11:
	s_and_b32 exec_lo, exec_lo, s4
	s_cbranch_execnz .LBB148_17
.LBB148_12:
	s_nop 0
	s_sendmsg sendmsg(MSG_DEALLOC_VGPRS)
	s_endpgm
.LBB148_13:
                                        ; implicit-def: $vgpr24_vgpr25
                                        ; implicit-def: $sgpr14_sgpr15
	s_cbranch_execz .LBB148_11
.LBB148_14:
	s_load_b64 s[0:1], s[2:3], 0x0
                                        ; implicit-def: $vgpr24_vgpr25
	s_waitcnt lgkmcnt(0)
	v_cmp_gt_i64_e32 vcc_lo, s[0:1], v[0:1]
	s_and_saveexec_b32 s0, vcc_lo
                                        ; implicit-def: $sgpr14_sgpr15
; %bb.15:
	v_dual_mov_b32 v25, v1 :: v_dual_mov_b32 v24, v0
	s_mov_b32 s15, 0
	s_or_b32 s4, s4, exec_lo
; %bb.16:
	s_or_b32 exec_lo, exec_lo, s0
	s_delay_alu instid0(SALU_CYCLE_1)
	s_and_b32 exec_lo, exec_lo, s4
	s_cbranch_execz .LBB148_12
.LBB148_17:
	s_load_b256 s[4:11], s[2:3], 0x30
	v_lshlrev_b64 v[0:1], 3, v[24:25]
	v_and_b32_e32 v58, 31, v2
	s_load_b32 s1, s[2:3], 0x8
	s_waitcnt lgkmcnt(0)
	s_delay_alu instid0(VALU_DEP_2) | instskip(NEXT) | instid1(VALU_DEP_3)
	v_add_co_u32 v3, vcc_lo, s4, v0
	v_add_co_ci_u32_e32 v4, vcc_lo, s5, v1, vcc_lo
	v_add_co_u32 v0, vcc_lo, s6, v0
	v_add_co_ci_u32_e32 v1, vcc_lo, s7, v1, vcc_lo
	s_delay_alu instid0(VALU_DEP_4) | instskip(NEXT) | instid1(VALU_DEP_4)
	v_add_co_u32 v5, vcc_lo, v3, 8
	v_add_co_ci_u32_e32 v6, vcc_lo, 0, v4, vcc_lo
	global_load_b64 v[48:49], v[3:4], off
	s_cmp_eq_u64 s[6:7], 0
	s_load_b64 s[4:5], s[2:3], 0x50
	s_cselect_b32 vcc_lo, -1, 0
	s_cmp_eq_u32 s1, 1
	v_dual_cndmask_b32 v1, v1, v6 :: v_dual_cndmask_b32 v0, v0, v5
	global_load_b64 v[0:1], v[0:1], off
	s_waitcnt vmcnt(1)
	v_sub_co_u32 v2, vcc_lo, v48, s12
	v_subrev_co_ci_u32_e32 v3, vcc_lo, s15, v49, vcc_lo
	s_delay_alu instid0(VALU_DEP_2) | instskip(NEXT) | instid1(VALU_DEP_2)
	v_add_co_u32 v26, vcc_lo, v2, v58
	v_add_co_ci_u32_e32 v27, vcc_lo, 0, v3, vcc_lo
	s_waitcnt vmcnt(0)
	v_sub_co_u32 v28, vcc_lo, v0, s12
	v_subrev_co_ci_u32_e32 v29, vcc_lo, s15, v1, vcc_lo
	s_delay_alu instid0(VALU_DEP_3) | instskip(NEXT) | instid1(VALU_DEP_2)
	v_lshlrev_b64 v[0:1], 7, v[26:27]
	v_cmp_lt_i64_e64 s0, v[26:27], v[28:29]
	s_delay_alu instid0(VALU_DEP_2) | instskip(NEXT) | instid1(VALU_DEP_3)
	v_add_co_u32 v30, vcc_lo, s10, v0
	v_add_co_ci_u32_e32 v31, vcc_lo, s11, v1, vcc_lo
	s_cbranch_scc1 .LBB148_29
; %bb.18:
	v_mov_b32_e32 v36, 0
	v_mov_b32_e32 v37, 0
	s_delay_alu instid0(VALU_DEP_2) | instskip(NEXT) | instid1(VALU_DEP_2)
	v_mov_b32_e32 v34, v36
	v_dual_mov_b32 v32, v36 :: v_dual_mov_b32 v33, v37
	v_dual_mov_b32 v43, v37 :: v_dual_mov_b32 v42, v36
	;; [unrolled: 1-line block ×6, first 2 shown]
	v_mov_b32_e32 v35, v37
	s_and_saveexec_b32 s6, s0
	s_cbranch_execz .LBB148_28
; %bb.19:
	v_or_b32_e32 v0, 32, v58
	v_not_b32_e32 v3, v48
	v_not_b32_e32 v2, v49
	v_dual_mov_b32 v32, 0 :: v_dual_mov_b32 v51, v31
	s_delay_alu instid0(VALU_DEP_4) | instskip(NEXT) | instid1(VALU_DEP_1)
	v_sub_co_u32 v0, s1, v0, s12
	v_sub_co_ci_u32_e64 v1, null, 0, s15, s1
	v_sub_co_u32 v4, s1, s12, v58
	s_delay_alu instid0(VALU_DEP_3) | instskip(NEXT) | instid1(VALU_DEP_3)
	v_add_co_u32 v0, vcc_lo, v0, v48
	v_add_co_ci_u32_e32 v1, vcc_lo, v1, v49, vcc_lo
	v_sub_co_ci_u32_e64 v5, null, s15, 0, s1
	s_mov_b32 s10, 0
	s_delay_alu instid0(VALU_DEP_2)
	v_cmp_gt_i64_e32 vcc_lo, v[0:1], v[28:29]
	s_mov_b32 s7, exec_lo
	v_dual_mov_b32 v53, v27 :: v_dual_mov_b32 v52, v26
	v_dual_cndmask_b32 v1, v29, v1 :: v_dual_cndmask_b32 v0, v28, v0
	v_add_co_u32 v3, vcc_lo, v4, v3
	v_add_co_ci_u32_e32 v2, vcc_lo, v5, v2, vcc_lo
	s_delay_alu instid0(VALU_DEP_2) | instskip(NEXT) | instid1(VALU_DEP_2)
	v_add_co_u32 v0, vcc_lo, v3, v0
	v_add_co_ci_u32_e32 v1, vcc_lo, v2, v1, vcc_lo
	s_delay_alu instid0(VALU_DEP_2) | instskip(NEXT) | instid1(VALU_DEP_1)
	v_lshrrev_b32_e32 v2, 5, v0
	v_dual_mov_b32 v33, 0 :: v_dual_add_nc_u32 v2, 1, v2
	s_delay_alu instid0(VALU_DEP_1)
	v_dual_mov_b32 v50, v30 :: v_dual_mov_b32 v35, v33
	v_dual_mov_b32 v34, v32 :: v_dual_mov_b32 v39, v33
	;; [unrolled: 1-line block ×4, first 2 shown]
	v_dual_mov_b32 v47, v33 :: v_dual_and_b32 v2, 3, v2
	v_dual_mov_b32 v44, v32 :: v_dual_mov_b32 v43, v33
	v_dual_mov_b32 v46, v32 :: v_dual_mov_b32 v37, v33
	v_mov_b32_e32 v42, v32
	v_mov_b32_e32 v36, v32
	v_cmpx_ne_u32_e32 0, v2
	s_cbranch_execz .LBB148_23
; %bb.20:
	v_lshlrev_b64 v[4:5], 3, v[26:27]
	v_dual_mov_b32 v3, 0 :: v_dual_mov_b32 v36, 0
	v_dual_mov_b32 v37, 0 :: v_dual_lshlrev_b32 v2, 3, v2
	v_dual_mov_b32 v53, v27 :: v_dual_mov_b32 v52, v26
	s_delay_alu instid0(VALU_DEP_4)
	v_add_co_u32 v4, vcc_lo, s8, v4
	v_add_co_ci_u32_e32 v5, vcc_lo, s9, v5, vcc_lo
	v_dual_mov_b32 v51, v31 :: v_dual_mov_b32 v50, v30
	v_dual_mov_b32 v43, v37 :: v_dual_mov_b32 v42, v36
	v_dual_mov_b32 v47, v37 :: v_dual_mov_b32 v46, v36
	v_dual_mov_b32 v45, v37 :: v_dual_mov_b32 v44, v36
	v_dual_mov_b32 v41, v37 :: v_dual_mov_b32 v40, v36
	v_dual_mov_b32 v39, v37 :: v_dual_mov_b32 v38, v36
	v_dual_mov_b32 v34, v36 :: v_dual_mov_b32 v35, v37
	v_dual_mov_b32 v32, v36 :: v_dual_mov_b32 v33, v37
.LBB148_21:                             ; =>This Inner Loop Header: Depth=1
	global_load_b64 v[14:15], v[4:5], off
	s_clause 0x7
	global_load_b128 v[6:9], v[50:51], off offset:48
	global_load_b128 v[10:13], v[50:51], off offset:32
	;; [unrolled: 1-line block ×3, first 2 shown]
	global_load_b128 v[59:62], v[50:51], off
	global_load_b128 v[63:66], v[50:51], off offset:112
	global_load_b128 v[67:70], v[50:51], off offset:96
	;; [unrolled: 1-line block ×4, first 2 shown]
	v_add_co_u32 v4, s1, 0x100, v4
	s_delay_alu instid0(VALU_DEP_1) | instskip(SKIP_3) | instid1(VALU_DEP_1)
	v_add_co_ci_u32_e64 v5, s1, 0, v5, s1
	s_waitcnt vmcnt(8)
	v_sub_co_u32 v14, vcc_lo, v14, s12
	v_subrev_co_ci_u32_e32 v15, vcc_lo, s15, v15, vcc_lo
	v_lshlrev_b64 v[14:15], 6, v[14:15]
	s_waitcnt lgkmcnt(0)
	s_delay_alu instid0(VALU_DEP_1) | instskip(NEXT) | instid1(VALU_DEP_2)
	v_add_co_u32 v14, vcc_lo, s4, v14
	v_add_co_ci_u32_e32 v15, vcc_lo, s5, v15, vcc_lo
	v_add_co_u32 v50, vcc_lo, 0x1000, v50
	v_add_co_ci_u32_e32 v51, vcc_lo, 0, v51, vcc_lo
	s_clause 0x3
	global_load_b128 v[79:82], v[14:15], off
	global_load_b128 v[83:86], v[14:15], off offset:16
	global_load_b128 v[87:90], v[14:15], off offset:32
	;; [unrolled: 1-line block ×3, first 2 shown]
	v_add_co_u32 v2, vcc_lo, v2, -8
	v_add_co_ci_u32_e32 v3, vcc_lo, -1, v3, vcc_lo
	v_add_co_u32 v52, vcc_lo, v52, 32
	v_add_co_ci_u32_e32 v53, vcc_lo, 0, v53, vcc_lo
	s_delay_alu instid0(VALU_DEP_3)
	v_cmp_eq_u64_e32 vcc_lo, 0, v[2:3]
	s_or_b32 s10, vcc_lo, s10
	s_waitcnt vmcnt(3)
	v_fma_f64 v[14:15], v[59:60], v[79:80], v[42:43]
	v_fma_f64 v[36:37], v[79:80], 0, v[36:37]
	v_fma_f64 v[42:43], v[10:11], v[79:80], v[44:45]
	v_fma_f64 v[44:45], v[79:80], 0, v[46:47]
	v_fma_f64 v[38:39], v[75:76], v[79:80], v[38:39]
	v_fma_f64 v[40:41], v[79:80], 0, v[40:41]
	v_fma_f64 v[32:33], v[67:68], v[79:80], v[32:33]
	v_fma_f64 v[34:35], v[79:80], 0, v[34:35]
	v_fma_f64 v[14:15], 0x80000000, v[81:82], v[14:15]
	v_fma_f64 v[36:37], v[59:60], v[81:82], v[36:37]
	v_fma_f64 v[42:43], 0x80000000, v[81:82], v[42:43]
	v_fma_f64 v[10:11], v[10:11], v[81:82], v[44:45]
	v_fma_f64 v[38:39], 0x80000000, v[81:82], v[38:39]
	v_fma_f64 v[40:41], v[75:76], v[81:82], v[40:41]
	v_fma_f64 v[32:33], 0x80000000, v[81:82], v[32:33]
	v_fma_f64 v[34:35], v[67:68], v[81:82], v[34:35]
	s_waitcnt vmcnt(2)
	v_fma_f64 v[14:15], v[61:62], v[83:84], v[14:15]
	v_fma_f64 v[36:37], v[83:84], 0, v[36:37]
	v_fma_f64 v[42:43], v[12:13], v[83:84], v[42:43]
	v_fma_f64 v[10:11], v[83:84], 0, v[10:11]
	v_fma_f64 v[38:39], v[77:78], v[83:84], v[38:39]
	v_fma_f64 v[40:41], v[83:84], 0, v[40:41]
	v_fma_f64 v[32:33], v[69:70], v[83:84], v[32:33]
	v_fma_f64 v[34:35], v[83:84], 0, v[34:35]
	v_fma_f64 v[14:15], 0x80000000, v[85:86], v[14:15]
	v_fma_f64 v[36:37], v[61:62], v[85:86], v[36:37]
	v_fma_f64 v[42:43], 0x80000000, v[85:86], v[42:43]
	v_fma_f64 v[10:11], v[12:13], v[85:86], v[10:11]
	v_fma_f64 v[12:13], 0x80000000, v[85:86], v[38:39]
	v_fma_f64 v[38:39], v[77:78], v[85:86], v[40:41]
	v_fma_f64 v[32:33], 0x80000000, v[85:86], v[32:33]
	v_fma_f64 v[34:35], v[69:70], v[85:86], v[34:35]
	;; [unrolled: 17-line block ×4, first 2 shown]
	s_and_not1_b32 exec_lo, exec_lo, s10
	s_cbranch_execnz .LBB148_21
; %bb.22:
	s_or_b32 exec_lo, exec_lo, s10
.LBB148_23:
	s_delay_alu instid0(SALU_CYCLE_1) | instskip(NEXT) | instid1(SALU_CYCLE_1)
	s_or_b32 exec_lo, exec_lo, s7
	s_mov_b32 s7, exec_lo
	v_cmpx_lt_u64_e32 0x5f, v[0:1]
	s_cbranch_execz .LBB148_27
; %bb.24:
	v_lshlrev_b64 v[0:1], 3, v[52:53]
	s_mov_b32 s10, 0
	s_delay_alu instid0(VALU_DEP_1) | instskip(NEXT) | instid1(VALU_DEP_2)
	v_add_co_u32 v0, vcc_lo, v0, s8
	v_add_co_ci_u32_e32 v1, vcc_lo, s9, v1, vcc_lo
	s_delay_alu instid0(VALU_DEP_2) | instskip(NEXT) | instid1(VALU_DEP_2)
	v_add_co_u32 v54, vcc_lo, 0x200, v0
	v_add_co_ci_u32_e32 v55, vcc_lo, 0, v1, vcc_lo
.LBB148_25:                             ; =>This Inner Loop Header: Depth=1
	s_clause 0x1
	global_load_b64 v[56:57], v[54:55], off offset:-512
	global_load_b64 v[107:108], v[54:55], off offset:-256
	s_clause 0x3
	global_load_b128 v[4:7], v[50:51], off offset:32
	global_load_b128 v[8:11], v[50:51], off
	global_load_b128 v[0:3], v[50:51], off offset:96
	global_load_b128 v[12:15], v[50:51], off offset:64
	s_clause 0x1
	global_load_b64 v[111:112], v[54:55], off
	global_load_b64 v[113:114], v[54:55], off offset:256
	s_waitcnt vmcnt(7)
	v_sub_co_u32 v56, vcc_lo, v56, s12
	v_subrev_co_ci_u32_e32 v57, vcc_lo, s15, v57, vcc_lo
	s_delay_alu instid0(VALU_DEP_1) | instskip(SKIP_1) | instid1(VALU_DEP_1)
	v_lshlrev_b64 v[56:57], 6, v[56:57]
	s_waitcnt lgkmcnt(0)
	v_add_co_u32 v56, vcc_lo, s4, v56
	s_delay_alu instid0(VALU_DEP_2)
	v_add_co_ci_u32_e32 v57, vcc_lo, s5, v57, vcc_lo
	s_clause 0x1
	global_load_b128 v[59:62], v[56:57], off
	global_load_b128 v[63:66], v[56:57], off offset:16
	s_clause 0x3
	global_load_b128 v[67:70], v[50:51], off offset:48
	global_load_b128 v[71:74], v[50:51], off offset:16
	;; [unrolled: 1-line block ×4, first 2 shown]
	s_clause 0x1
	global_load_b128 v[83:86], v[56:57], off offset:32
	global_load_b128 v[87:90], v[56:57], off offset:48
	v_add_co_u32 v56, vcc_lo, v50, 0x2000
	v_add_co_ci_u32_e32 v57, vcc_lo, 0, v51, vcc_lo
	v_add_co_u32 v115, vcc_lo, 0x1000, v50
	v_add_co_ci_u32_e32 v116, vcc_lo, 0, v51, vcc_lo
	s_waitcnt vmcnt(14)
	v_sub_co_u32 v107, vcc_lo, v107, s12
	v_subrev_co_ci_u32_e32 v108, vcc_lo, s15, v108, vcc_lo
	s_clause 0x3
	global_load_b128 v[91:94], v[56:57], off offset:-4096
	global_load_b128 v[95:98], v[115:116], off offset:32
	global_load_b128 v[99:102], v[115:116], off offset:96
	;; [unrolled: 1-line block ×3, first 2 shown]
	v_lshlrev_b64 v[107:108], 6, v[107:108]
	s_delay_alu instid0(VALU_DEP_1) | instskip(NEXT) | instid1(VALU_DEP_2)
	v_add_co_u32 v117, vcc_lo, s4, v107
	v_add_co_ci_u32_e32 v118, vcc_lo, s5, v108, vcc_lo
	v_add_co_u32 v121, vcc_lo, 0x2000, v50
	v_add_co_ci_u32_e32 v122, vcc_lo, 0, v51, vcc_lo
	global_load_b128 v[107:110], v[117:118], off
	s_waitcnt vmcnt(12)
	v_fma_f64 v[36:37], v[59:60], 0, v[36:37]
	v_fma_f64 v[46:47], v[59:60], 0, v[46:47]
	v_fma_f64 v[40:41], v[59:60], 0, v[40:41]
	v_fma_f64 v[42:43], v[8:9], v[59:60], v[42:43]
	v_fma_f64 v[44:45], v[4:5], v[59:60], v[44:45]
	v_fma_f64 v[38:39], v[12:13], v[59:60], v[38:39]
	v_fma_f64 v[32:33], v[0:1], v[59:60], v[32:33]
	v_fma_f64 v[34:35], v[59:60], 0, v[34:35]
	v_fma_f64 v[8:9], v[8:9], v[61:62], v[36:37]
	v_fma_f64 v[4:5], v[4:5], v[61:62], v[46:47]
	v_fma_f64 v[12:13], v[12:13], v[61:62], v[40:41]
	v_fma_f64 v[36:37], 0x80000000, v[61:62], v[42:43]
	v_fma_f64 v[40:41], 0x80000000, v[61:62], v[44:45]
	v_fma_f64 v[38:39], 0x80000000, v[61:62], v[38:39]
	v_fma_f64 v[42:43], 0x80000000, v[61:62], v[32:33]
	v_fma_f64 v[0:1], v[0:1], v[61:62], v[34:35]
	global_load_b128 v[32:35], v[117:118], off offset:16
	s_waitcnt vmcnt(12)
	v_fma_f64 v[8:9], v[63:64], 0, v[8:9]
	v_fma_f64 v[4:5], v[63:64], 0, v[4:5]
	;; [unrolled: 1-line block ×16, first 2 shown]
	s_clause 0x3
	global_load_b128 v[0:3], v[115:116], off offset:48
	global_load_b128 v[4:7], v[115:116], off offset:16
	;; [unrolled: 1-line block ×5, first 2 shown]
	s_waitcnt vmcnt(12)
	v_fma_f64 v[44:45], v[83:84], 0, v[44:45]
	v_fma_f64 v[46:47], v[83:84], 0, v[46:47]
	;; [unrolled: 1-line block ×16, first 2 shown]
	global_load_b128 v[40:43], v[117:118], off offset:48
	s_waitcnt vmcnt(12)
	v_fma_f64 v[75:76], v[87:88], 0, v[44:45]
	v_fma_f64 v[79:80], v[87:88], 0, v[46:47]
	;; [unrolled: 1-line block ×8, first 2 shown]
	s_clause 0x3
	global_load_b128 v[44:47], v[56:57], off
	global_load_b128 v[59:62], v[121:122], off offset:32
	global_load_b128 v[63:66], v[121:122], off offset:96
	;; [unrolled: 1-line block ×3, first 2 shown]
	v_sub_co_u32 v56, vcc_lo, v111, s12
	v_subrev_co_ci_u32_e32 v57, vcc_lo, s15, v112, vcc_lo
	s_delay_alu instid0(VALU_DEP_1) | instskip(NEXT) | instid1(VALU_DEP_1)
	v_lshlrev_b64 v[56:57], 6, v[56:57]
	v_add_co_u32 v56, vcc_lo, s4, v56
	s_delay_alu instid0(VALU_DEP_2)
	v_add_co_ci_u32_e32 v57, vcc_lo, s5, v57, vcc_lo
	v_fma_f64 v[73:74], v[73:74], v[89:90], v[75:76]
	v_fma_f64 v[75:76], v[69:70], v[89:90], v[79:80]
	;; [unrolled: 1-line block ×8, first 2 shown]
	global_load_b128 v[67:70], v[56:57], off
	s_waitcnt vmcnt(12)
	v_fma_f64 v[73:74], v[107:108], 0, v[73:74]
	v_fma_f64 v[75:76], v[107:108], 0, v[75:76]
	;; [unrolled: 1-line block ×15, first 2 shown]
	global_load_b128 v[71:74], v[56:57], off offset:16
	v_fma_f64 v[77:78], v[99:100], v[109:110], v[77:78]
	s_waitcnt vmcnt(12)
	v_fma_f64 v[91:92], v[32:33], 0, v[91:92]
	v_fma_f64 v[75:76], v[32:33], 0, v[75:76]
	;; [unrolled: 1-line block ×16, first 2 shown]
	s_clause 0x3
	global_load_b128 v[32:35], v[121:122], off offset:48
	global_load_b128 v[75:78], v[121:122], off offset:16
	;; [unrolled: 1-line block ×5, first 2 shown]
	s_waitcnt vmcnt(12)
	v_fma_f64 v[99:100], v[36:37], 0, v[99:100]
	v_fma_f64 v[97:98], v[36:37], 0, v[97:98]
	;; [unrolled: 1-line block ×16, first 2 shown]
	global_load_b128 v[36:39], v[56:57], off offset:48
	s_waitcnt vmcnt(12)
	v_fma_f64 v[4:5], v[40:41], 0, v[4:5]
	v_fma_f64 v[0:1], v[40:41], 0, v[0:1]
	;; [unrolled: 1-line block ×8, first 2 shown]
	v_add_co_u32 v40, vcc_lo, 0x3000, v50
	v_add_co_ci_u32_e32 v41, vcc_lo, 0, v51, vcc_lo
	v_sub_co_u32 v113, vcc_lo, v113, s12
	v_subrev_co_ci_u32_e32 v114, vcc_lo, s15, v114, vcc_lo
	s_clause 0x3
	global_load_b128 v[95:98], v[40:41], off
	global_load_b128 v[99:102], v[40:41], off offset:32
	global_load_b128 v[103:106], v[40:41], off offset:96
	;; [unrolled: 1-line block ×3, first 2 shown]
	v_add_co_u32 v50, s1, 0x4000, v50
	s_delay_alu instid0(VALU_DEP_1)
	v_add_co_ci_u32_e64 v51, s1, 0, v51, s1
	v_fma_f64 v[4:5], v[6:7], v[42:43], v[4:5]
	v_fma_f64 v[6:7], v[2:3], v[42:43], v[0:1]
	;; [unrolled: 1-line block ×7, first 2 shown]
	v_lshlrev_b64 v[0:1], 6, v[113:114]
	v_fma_f64 v[8:9], v[10:11], v[42:43], v[8:9]
	s_delay_alu instid0(VALU_DEP_2) | instskip(NEXT) | instid1(VALU_DEP_3)
	v_add_co_u32 v113, vcc_lo, s4, v0
	v_add_co_ci_u32_e32 v114, vcc_lo, s5, v1, vcc_lo
	v_add_co_u32 v52, vcc_lo, 0x80, v52
	v_add_co_ci_u32_e32 v53, vcc_lo, 0, v53, vcc_lo
	global_load_b128 v[0:3], v[113:114], off
	v_add_co_u32 v54, vcc_lo, 0x400, v54
	v_add_co_ci_u32_e32 v55, vcc_lo, 0, v55, vcc_lo
	v_cmp_ge_i64_e32 vcc_lo, v[52:53], v[28:29]
	s_or_b32 s10, vcc_lo, s10
	s_waitcnt vmcnt(12)
	v_fma_f64 v[4:5], v[67:68], 0, v[4:5]
	v_fma_f64 v[6:7], v[67:68], 0, v[6:7]
	;; [unrolled: 1-line block ×10, first 2 shown]
	global_load_b128 v[4:7], v[113:114], off offset:16
	v_fma_f64 v[10:11], 0x80000000, v[69:70], v[10:11]
	v_fma_f64 v[14:15], 0x80000000, v[69:70], v[14:15]
	;; [unrolled: 1-line block ×6, first 2 shown]
	s_waitcnt vmcnt(12)
	v_fma_f64 v[44:45], v[71:72], 0, v[44:45]
	v_fma_f64 v[59:60], v[71:72], 0, v[59:60]
	;; [unrolled: 1-line block ×16, first 2 shown]
	s_clause 0x3
	global_load_b128 v[8:11], v[40:41], off offset:48
	global_load_b128 v[12:15], v[40:41], off offset:112
	;; [unrolled: 1-line block ×5, first 2 shown]
	s_waitcnt vmcnt(12)
	v_fma_f64 v[46:47], v[91:92], 0, v[46:47]
	v_fma_f64 v[40:41], v[75:76], v[91:92], v[67:68]
	;; [unrolled: 1-line block ×16, first 2 shown]
	global_load_b128 v[67:70], v[113:114], off offset:48
	s_waitcnt vmcnt(12)
	v_fma_f64 v[46:47], v[36:37], 0, v[46:47]
	v_fma_f64 v[40:41], v[77:78], v[36:37], v[40:41]
	v_fma_f64 v[75:76], v[34:35], v[36:37], v[75:76]
	v_fma_f64 v[32:33], v[36:37], 0, v[32:33]
	v_fma_f64 v[71:72], v[89:90], v[36:37], v[71:72]
	v_fma_f64 v[79:80], v[36:37], 0, v[83:84]
	v_fma_f64 v[56:57], v[81:82], v[36:37], v[56:57]
	v_fma_f64 v[36:37], v[36:37], 0, v[73:74]
	v_fma_f64 v[46:47], v[77:78], v[38:39], v[46:47]
	v_fma_f64 v[40:41], 0x80000000, v[38:39], v[40:41]
	v_fma_f64 v[73:74], 0x80000000, v[38:39], v[75:76]
	v_fma_f64 v[32:33], v[34:35], v[38:39], v[32:33]
	v_fma_f64 v[34:35], 0x80000000, v[38:39], v[71:72]
	v_fma_f64 v[71:72], v[89:90], v[38:39], v[79:80]
	v_fma_f64 v[56:57], 0x80000000, v[38:39], v[56:57]
	v_fma_f64 v[36:37], v[81:82], v[38:39], v[36:37]
	s_waitcnt vmcnt(7)
	v_fma_f64 v[38:39], v[95:96], v[0:1], v[40:41]
	v_fma_f64 v[40:41], v[0:1], 0, v[46:47]
	v_fma_f64 v[46:47], v[99:100], v[0:1], v[73:74]
	v_fma_f64 v[32:33], v[0:1], 0, v[32:33]
	v_fma_f64 v[34:35], v[107:108], v[0:1], v[34:35]
	v_fma_f64 v[71:72], v[0:1], 0, v[71:72]
	v_fma_f64 v[56:57], v[103:104], v[0:1], v[56:57]
	v_fma_f64 v[0:1], v[0:1], 0, v[36:37]
	v_fma_f64 v[36:37], 0x80000000, v[2:3], v[38:39]
	v_fma_f64 v[38:39], v[95:96], v[2:3], v[40:41]
	v_fma_f64 v[40:41], 0x80000000, v[2:3], v[46:47]
	v_fma_f64 v[32:33], v[99:100], v[2:3], v[32:33]
	v_fma_f64 v[34:35], 0x80000000, v[2:3], v[34:35]
	v_fma_f64 v[46:47], v[107:108], v[2:3], v[71:72]
	v_fma_f64 v[56:57], 0x80000000, v[2:3], v[56:57]
	v_fma_f64 v[0:1], v[103:104], v[2:3], v[0:1]
	;; [unrolled: 17-line block ×5, first 2 shown]
	s_and_not1_b32 exec_lo, exec_lo, s10
	s_cbranch_execnz .LBB148_25
; %bb.26:
	s_or_b32 exec_lo, exec_lo, s10
.LBB148_27:
	s_delay_alu instid0(SALU_CYCLE_1)
	s_or_b32 exec_lo, exec_lo, s7
.LBB148_28:
	s_delay_alu instid0(SALU_CYCLE_1)
	s_or_b32 exec_lo, exec_lo, s6
	s_cbranch_execz .LBB148_30
	s_branch .LBB148_41
.LBB148_29:
                                        ; implicit-def: $vgpr36_vgpr37
                                        ; implicit-def: $vgpr42_vgpr43
                                        ; implicit-def: $vgpr46_vgpr47
                                        ; implicit-def: $vgpr44_vgpr45
                                        ; implicit-def: $vgpr40_vgpr41
                                        ; implicit-def: $vgpr38_vgpr39
                                        ; implicit-def: $vgpr34_vgpr35
                                        ; implicit-def: $vgpr32_vgpr33
.LBB148_30:
	v_mov_b32_e32 v36, 0
	v_mov_b32_e32 v37, 0
	s_delay_alu instid0(VALU_DEP_2) | instskip(NEXT) | instid1(VALU_DEP_2)
	v_mov_b32_e32 v34, v36
	v_dual_mov_b32 v32, v36 :: v_dual_mov_b32 v33, v37
	v_dual_mov_b32 v43, v37 :: v_dual_mov_b32 v42, v36
	;; [unrolled: 1-line block ×6, first 2 shown]
	v_mov_b32_e32 v35, v37
	s_and_saveexec_b32 s1, s0
	s_cbranch_execz .LBB148_40
; %bb.31:
	v_or_b32_e32 v0, 32, v58
	v_not_b32_e32 v3, v48
	v_not_b32_e32 v2, v49
	v_mov_b32_e32 v32, 0
	s_mov_b32 s7, 0
	v_sub_co_u32 v0, s0, v0, s12
	s_delay_alu instid0(VALU_DEP_1) | instskip(SKIP_1) | instid1(VALU_DEP_3)
	v_sub_co_ci_u32_e64 v1, null, 0, s15, s0
	v_sub_co_u32 v4, s0, s12, v58
	v_add_co_u32 v0, vcc_lo, v0, v48
	s_delay_alu instid0(VALU_DEP_3) | instskip(SKIP_2) | instid1(VALU_DEP_2)
	v_add_co_ci_u32_e32 v1, vcc_lo, v1, v49, vcc_lo
	v_sub_co_ci_u32_e64 v5, null, s15, 0, s0
	s_mov_b32 s6, exec_lo
	v_cmp_gt_i64_e32 vcc_lo, v[0:1], v[28:29]
	v_dual_cndmask_b32 v1, v29, v1 :: v_dual_cndmask_b32 v0, v28, v0
	v_add_co_u32 v3, vcc_lo, v4, v3
	v_add_co_ci_u32_e32 v2, vcc_lo, v5, v2, vcc_lo
	s_delay_alu instid0(VALU_DEP_2) | instskip(NEXT) | instid1(VALU_DEP_2)
	v_add_co_u32 v0, vcc_lo, v3, v0
	v_add_co_ci_u32_e32 v1, vcc_lo, v2, v1, vcc_lo
	s_delay_alu instid0(VALU_DEP_2) | instskip(NEXT) | instid1(VALU_DEP_1)
	v_lshrrev_b32_e32 v2, 5, v0
	v_dual_mov_b32 v33, 0 :: v_dual_add_nc_u32 v2, 1, v2
	s_delay_alu instid0(VALU_DEP_1) | instskip(SKIP_1) | instid1(VALU_DEP_3)
	v_dual_mov_b32 v35, v33 :: v_dual_mov_b32 v34, v32
	v_dual_mov_b32 v41, v33 :: v_dual_mov_b32 v40, v32
	v_dual_mov_b32 v45, v33 :: v_dual_and_b32 v2, 3, v2
	v_dual_mov_b32 v44, v32 :: v_dual_mov_b32 v47, v33
	v_dual_mov_b32 v46, v32 :: v_dual_mov_b32 v43, v33
	;; [unrolled: 1-line block ×4, first 2 shown]
	v_mov_b32_e32 v36, v32
	v_cmpx_ne_u32_e32 0, v2
	s_cbranch_execz .LBB148_35
; %bb.32:
	v_lshlrev_b64 v[4:5], 3, v[26:27]
	v_dual_mov_b32 v3, 0 :: v_dual_mov_b32 v36, 0
	v_dual_mov_b32 v37, 0 :: v_dual_lshlrev_b32 v2, 3, v2
	s_delay_alu instid0(VALU_DEP_2) | instskip(NEXT) | instid1(VALU_DEP_4)
	v_mov_b32_e32 v34, v36
	v_add_co_u32 v4, vcc_lo, s8, v4
	s_delay_alu instid0(VALU_DEP_3)
	v_mov_b32_e32 v35, v37
	v_add_co_ci_u32_e32 v5, vcc_lo, s9, v5, vcc_lo
	v_dual_mov_b32 v43, v37 :: v_dual_mov_b32 v42, v36
	v_dual_mov_b32 v47, v37 :: v_dual_mov_b32 v46, v36
	;; [unrolled: 1-line block ×6, first 2 shown]
.LBB148_33:                             ; =>This Inner Loop Header: Depth=1
	global_load_b64 v[14:15], v[4:5], off
	s_clause 0x1
	global_load_b128 v[6:9], v[30:31], off offset:16
	global_load_b128 v[10:13], v[30:31], off
	v_add_co_u32 v4, s0, 0x100, v4
	s_delay_alu instid0(VALU_DEP_1) | instskip(SKIP_3) | instid1(VALU_DEP_1)
	v_add_co_ci_u32_e64 v5, s0, 0, v5, s0
	s_waitcnt vmcnt(2)
	v_sub_co_u32 v14, vcc_lo, v14, s12
	v_subrev_co_ci_u32_e32 v15, vcc_lo, s15, v15, vcc_lo
	v_lshlrev_b64 v[14:15], 6, v[14:15]
	s_waitcnt lgkmcnt(0)
	s_delay_alu instid0(VALU_DEP_1) | instskip(NEXT) | instid1(VALU_DEP_2)
	v_add_co_u32 v14, vcc_lo, s4, v14
	v_add_co_ci_u32_e32 v15, vcc_lo, s5, v15, vcc_lo
	s_clause 0x1
	global_load_b128 v[48:51], v[14:15], off
	global_load_b128 v[52:55], v[14:15], off offset:16
	s_clause 0x3
	global_load_b128 v[59:62], v[30:31], off offset:32
	global_load_b128 v[63:66], v[30:31], off offset:48
	global_load_b128 v[67:70], v[30:31], off offset:80
	global_load_b128 v[71:74], v[30:31], off offset:64
	s_clause 0x1
	global_load_b128 v[75:78], v[14:15], off offset:32
	global_load_b128 v[79:82], v[14:15], off offset:48
	s_clause 0x1
	global_load_b128 v[83:86], v[30:31], off offset:96
	global_load_b128 v[87:90], v[30:31], off offset:112
	v_add_co_u32 v30, vcc_lo, 0x1000, v30
	v_add_co_ci_u32_e32 v31, vcc_lo, 0, v31, vcc_lo
	v_add_co_u32 v2, vcc_lo, v2, -8
	v_add_co_ci_u32_e32 v3, vcc_lo, -1, v3, vcc_lo
	v_add_co_u32 v26, vcc_lo, v26, 32
	v_add_co_ci_u32_e32 v27, vcc_lo, 0, v27, vcc_lo
	s_delay_alu instid0(VALU_DEP_3)
	v_cmp_eq_u64_e32 vcc_lo, 0, v[2:3]
	s_or_b32 s7, vcc_lo, s7
	s_waitcnt vmcnt(9)
	v_fma_f64 v[14:15], v[10:11], v[48:49], v[42:43]
	v_fma_f64 v[36:37], v[48:49], 0, v[36:37]
	;; [unrolled: 1-line block ×16, first 2 shown]
	s_waitcnt vmcnt(7)
	v_fma_f64 v[14:15], v[59:60], v[52:53], v[14:15]
	v_fma_f64 v[10:11], v[52:53], 0, v[10:11]
	;; [unrolled: 1-line block ×4, first 2 shown]
	s_waitcnt vmcnt(6)
	v_fma_f64 v[36:37], v[63:64], v[52:53], v[38:39]
	v_fma_f64 v[6:7], v[52:53], 0, v[6:7]
	v_fma_f64 v[32:33], v[65:66], v[52:53], v[32:33]
	v_fma_f64 v[8:9], v[52:53], 0, v[8:9]
	v_fma_f64 v[14:15], 0x80000000, v[54:55], v[14:15]
	v_fma_f64 v[10:11], v[59:60], v[54:55], v[10:11]
	v_fma_f64 v[34:35], 0x80000000, v[54:55], v[34:35]
	v_fma_f64 v[12:13], v[61:62], v[54:55], v[12:13]
	v_fma_f64 v[36:37], 0x80000000, v[54:55], v[36:37]
	v_fma_f64 v[6:7], v[63:64], v[54:55], v[6:7]
	v_fma_f64 v[32:33], 0x80000000, v[54:55], v[32:33]
	v_fma_f64 v[8:9], v[65:66], v[54:55], v[8:9]
	s_waitcnt vmcnt(3)
	v_fma_f64 v[14:15], v[71:72], v[75:76], v[14:15]
	v_fma_f64 v[10:11], v[75:76], 0, v[10:11]
	;; [unrolled: 1-line block ×16, first 2 shown]
	s_waitcnt vmcnt(1)
	v_fma_f64 v[14:15], v[83:84], v[79:80], v[14:15]
	v_fma_f64 v[10:11], v[79:80], 0, v[10:11]
	;; [unrolled: 1-line block ×4, first 2 shown]
	s_waitcnt vmcnt(0)
	v_fma_f64 v[38:39], v[87:88], v[79:80], v[36:37]
	v_fma_f64 v[6:7], v[79:80], 0, v[6:7]
	;; [unrolled: 1-line block ×12, first 2 shown]
	s_and_not1_b32 exec_lo, exec_lo, s7
	s_cbranch_execnz .LBB148_33
; %bb.34:
	s_or_b32 exec_lo, exec_lo, s7
.LBB148_35:
	s_delay_alu instid0(SALU_CYCLE_1) | instskip(NEXT) | instid1(SALU_CYCLE_1)
	s_or_b32 exec_lo, exec_lo, s6
	s_mov_b32 s6, exec_lo
	v_cmpx_lt_u64_e32 0x5f, v[0:1]
	s_cbranch_execz .LBB148_39
; %bb.36:
	v_lshlrev_b64 v[0:1], 3, v[26:27]
	s_mov_b32 s7, 0
	s_delay_alu instid0(VALU_DEP_1) | instskip(NEXT) | instid1(VALU_DEP_2)
	v_add_co_u32 v0, vcc_lo, v0, s8
	v_add_co_ci_u32_e32 v1, vcc_lo, s9, v1, vcc_lo
	s_delay_alu instid0(VALU_DEP_2) | instskip(NEXT) | instid1(VALU_DEP_2)
	v_add_co_u32 v0, vcc_lo, 0x200, v0
	v_add_co_ci_u32_e32 v1, vcc_lo, 0, v1, vcc_lo
.LBB148_37:                             ; =>This Inner Loop Header: Depth=1
	s_clause 0x1
	global_load_b64 v[2:3], v[0:1], off offset:-512
	global_load_b64 v[56:57], v[0:1], off offset:-256
	s_clause 0x1
	global_load_b128 v[4:7], v[30:31], off offset:16
	global_load_b128 v[8:11], v[30:31], off
	s_clause 0x1
	global_load_b64 v[103:104], v[0:1], off
	global_load_b64 v[105:106], v[0:1], off offset:256
	s_waitcnt vmcnt(5)
	v_sub_co_u32 v2, vcc_lo, v2, s12
	v_subrev_co_ci_u32_e32 v3, vcc_lo, s15, v3, vcc_lo
	s_delay_alu instid0(VALU_DEP_1) | instskip(SKIP_1) | instid1(VALU_DEP_1)
	v_lshlrev_b64 v[2:3], 6, v[2:3]
	s_waitcnt lgkmcnt(0)
	v_add_co_u32 v2, vcc_lo, s4, v2
	s_delay_alu instid0(VALU_DEP_2)
	v_add_co_ci_u32_e32 v3, vcc_lo, s5, v3, vcc_lo
	v_add_co_u32 v107, vcc_lo, v30, 0x2000
	v_add_co_ci_u32_e32 v108, vcc_lo, 0, v31, vcc_lo
	global_load_b128 v[12:15], v[2:3], off
	s_clause 0x1
	global_load_b128 v[48:51], v[30:31], off offset:48
	global_load_b128 v[52:55], v[30:31], off offset:32
	global_load_b128 v[59:62], v[2:3], off offset:16
	s_clause 0x1
	global_load_b128 v[63:66], v[30:31], off offset:80
	global_load_b128 v[67:70], v[30:31], off offset:64
	global_load_b128 v[71:74], v[2:3], off offset:32
	;; [unrolled: 4-line block ×3, first 2 shown]
	v_add_co_u32 v109, vcc_lo, 0x1000, v30
	v_add_co_ci_u32_e32 v110, vcc_lo, 0, v31, vcc_lo
	s_waitcnt vmcnt(14)
	v_sub_co_u32 v2, vcc_lo, v56, s12
	v_subrev_co_ci_u32_e32 v3, vcc_lo, s15, v57, vcc_lo
	s_clause 0x2
	global_load_b128 v[87:90], v[107:108], off offset:-4096
	global_load_b128 v[91:94], v[109:110], off offset:32
	global_load_b128 v[95:98], v[109:110], off offset:16
	v_lshlrev_b64 v[2:3], 6, v[2:3]
	s_delay_alu instid0(VALU_DEP_1) | instskip(NEXT) | instid1(VALU_DEP_2)
	v_add_co_u32 v56, vcc_lo, s4, v2
	v_add_co_ci_u32_e32 v57, vcc_lo, s5, v3, vcc_lo
	v_add_co_u32 v111, vcc_lo, 0x2000, v30
	v_add_co_ci_u32_e32 v112, vcc_lo, 0, v31, vcc_lo
	global_load_b128 v[99:102], v[56:57], off
	s_waitcnt vmcnt(15)
	v_sub_co_u32 v103, vcc_lo, v103, s12
	v_subrev_co_ci_u32_e32 v104, vcc_lo, s15, v104, vcc_lo
	s_waitcnt vmcnt(13)
	v_fma_f64 v[2:3], v[12:13], 0, v[36:37]
	v_fma_f64 v[36:37], v[12:13], 0, v[46:47]
	;; [unrolled: 1-line block ×16, first 2 shown]
	global_load_b128 v[2:5], v[109:110], off offset:48
	global_load_b128 v[6:9], v[56:57], off offset:16
	s_waitcnt vmcnt(12)
	v_fma_f64 v[14:15], v[59:60], 0, v[32:33]
	v_fma_f64 v[10:11], v[59:60], 0, v[10:11]
	;; [unrolled: 1-line block ×16, first 2 shown]
	s_clause 0x2
	global_load_b128 v[10:13], v[109:110], off offset:96
	global_load_b128 v[32:35], v[109:110], off offset:80
	;; [unrolled: 1-line block ×4, first 2 shown]
	s_waitcnt vmcnt(13)
	v_fma_f64 v[14:15], v[71:72], 0, v[14:15]
	v_fma_f64 v[44:45], v[71:72], 0, v[44:45]
	;; [unrolled: 1-line block ×16, first 2 shown]
	global_load_b128 v[44:47], v[109:110], off offset:112
	global_load_b128 v[48:51], v[56:57], off offset:48
	s_waitcnt vmcnt(12)
	v_fma_f64 v[14:15], v[83:84], 0, v[14:15]
	v_fma_f64 v[56:57], v[83:84], 0, v[61:62]
	;; [unrolled: 1-line block ×8, first 2 shown]
	s_clause 0x2
	global_load_b128 v[52:55], v[107:108], off
	global_load_b128 v[59:62], v[111:112], off offset:32
	global_load_b128 v[63:66], v[111:112], off offset:16
	v_fma_f64 v[14:15], v[79:80], v[85:86], v[14:15]
	v_fma_f64 v[56:57], v[81:82], v[85:86], v[56:57]
	v_fma_f64 v[75:76], v[75:76], v[85:86], v[69:70]
	v_fma_f64 v[71:72], v[77:78], v[85:86], v[71:72]
	v_fma_f64 v[77:78], 0x80000000, v[85:86], v[67:68]
	v_fma_f64 v[73:74], 0x80000000, v[85:86], v[73:74]
	v_fma_f64 v[79:80], 0x80000000, v[85:86], v[109:110]
	v_fma_f64 v[81:82], 0x80000000, v[85:86], v[83:84]
	v_lshlrev_b64 v[67:68], 6, v[103:104]
	s_delay_alu instid0(VALU_DEP_1) | instskip(NEXT) | instid1(VALU_DEP_2)
	v_add_co_u32 v103, vcc_lo, s4, v67
	v_add_co_ci_u32_e32 v104, vcc_lo, s5, v68, vcc_lo
	global_load_b128 v[67:70], v[103:104], off
	s_waitcnt vmcnt(12)
	v_fma_f64 v[14:15], v[99:100], 0, v[14:15]
	v_fma_f64 v[56:57], v[99:100], 0, v[56:57]
	;; [unrolled: 1-line block ×16, first 2 shown]
	global_load_b128 v[71:74], v[111:112], off offset:48
	global_load_b128 v[75:78], v[103:104], off offset:16
	v_add_co_u32 v101, vcc_lo, 0x3000, v30
	v_add_co_ci_u32_e32 v102, vcc_lo, 0, v31, vcc_lo
	v_add_co_u32 v30, s0, 0x4000, v30
	s_delay_alu instid0(VALU_DEP_1)
	v_add_co_ci_u32_e64 v31, s0, 0, v31, s0
	s_waitcnt vmcnt(12)
	v_fma_f64 v[14:15], v[6:7], 0, v[14:15]
	v_fma_f64 v[56:57], v[6:7], 0, v[56:57]
	;; [unrolled: 1-line block ×16, first 2 shown]
	s_clause 0x2
	global_load_b128 v[2:5], v[111:112], off offset:96
	global_load_b128 v[6:9], v[111:112], off offset:80
	global_load_b128 v[79:82], v[111:112], off offset:64
	global_load_b128 v[83:86], v[103:104], off offset:32
	s_waitcnt vmcnt(12)
	v_fma_f64 v[14:15], v[40:41], 0, v[14:15]
	v_fma_f64 v[56:57], v[40:41], 0, v[56:57]
	;; [unrolled: 1-line block ×16, first 2 shown]
	global_load_b128 v[32:35], v[111:112], off offset:112
	global_load_b128 v[36:39], v[103:104], off offset:48
	v_sub_co_u32 v103, vcc_lo, v105, s12
	v_subrev_co_ci_u32_e32 v104, vcc_lo, s15, v106, vcc_lo
	s_waitcnt vmcnt(12)
	v_fma_f64 v[14:15], v[48:49], 0, v[14:15]
	v_fma_f64 v[56:57], v[48:49], 0, v[56:57]
	;; [unrolled: 1-line block ×8, first 2 shown]
	s_clause 0x1
	global_load_b128 v[40:43], v[101:102], off
	global_load_b128 v[87:90], v[101:102], off offset:16
	v_fma_f64 v[14:15], v[10:11], v[50:51], v[14:15]
	v_fma_f64 v[56:57], v[12:13], v[50:51], v[56:57]
	;; [unrolled: 1-line block ×8, first 2 shown]
	v_lshlrev_b64 v[10:11], 6, v[103:104]
	s_delay_alu instid0(VALU_DEP_1) | instskip(NEXT) | instid1(VALU_DEP_2)
	v_add_co_u32 v97, vcc_lo, s4, v10
	v_add_co_ci_u32_e32 v98, vcc_lo, s5, v11, vcc_lo
	v_add_co_u32 v26, vcc_lo, 0x80, v26
	v_add_co_ci_u32_e32 v27, vcc_lo, 0, v27, vcc_lo
	global_load_b128 v[10:13], v[97:98], off
	v_add_co_u32 v0, vcc_lo, 0x400, v0
	v_add_co_ci_u32_e32 v1, vcc_lo, 0, v1, vcc_lo
	v_cmp_ge_i64_e32 vcc_lo, v[26:27], v[28:29]
	s_or_b32 s7, vcc_lo, s7
	s_waitcnt vmcnt(11)
	v_fma_f64 v[14:15], v[67:68], 0, v[14:15]
	v_fma_f64 v[56:57], v[67:68], 0, v[56:57]
	v_fma_f64 v[44:45], v[67:68], 0, v[44:45]
	v_fma_f64 v[46:47], v[67:68], 0, v[46:47]
	v_fma_f64 v[50:51], v[52:53], v[67:68], v[91:92]
	v_fma_f64 v[91:92], v[54:55], v[67:68], v[93:94]
	v_fma_f64 v[93:94], v[63:64], v[67:68], v[95:96]
	v_fma_f64 v[48:49], v[65:66], v[67:68], v[48:49]
	v_fma_f64 v[14:15], v[52:53], v[69:70], v[14:15]
	v_fma_f64 v[56:57], v[54:55], v[69:70], v[56:57]
	v_fma_f64 v[63:64], v[63:64], v[69:70], v[44:45]
	v_fma_f64 v[65:66], v[65:66], v[69:70], v[46:47]
	v_fma_f64 v[67:68], 0x80000000, v[69:70], v[50:51]
	v_fma_f64 v[91:92], 0x80000000, v[69:70], v[91:92]
	v_fma_f64 v[93:94], 0x80000000, v[69:70], v[93:94]
	v_fma_f64 v[95:96], 0x80000000, v[69:70], v[48:49]
	s_clause 0x1
	global_load_b128 v[44:47], v[101:102], off offset:32
	global_load_b128 v[48:51], v[101:102], off offset:48
	global_load_b128 v[52:55], v[97:98], off offset:16
	s_waitcnt vmcnt(12)
	v_fma_f64 v[14:15], v[75:76], 0, v[14:15]
	v_fma_f64 v[56:57], v[75:76], 0, v[56:57]
	v_fma_f64 v[63:64], v[75:76], 0, v[63:64]
	v_fma_f64 v[65:66], v[75:76], 0, v[65:66]
	v_fma_f64 v[67:68], v[59:60], v[75:76], v[67:68]
	v_fma_f64 v[69:70], v[61:62], v[75:76], v[91:92]
	v_fma_f64 v[91:92], v[71:72], v[75:76], v[93:94]
	v_fma_f64 v[93:94], v[73:74], v[75:76], v[95:96]
	v_fma_f64 v[14:15], v[59:60], v[77:78], v[14:15]
	v_fma_f64 v[56:57], v[61:62], v[77:78], v[56:57]
	v_fma_f64 v[71:72], v[71:72], v[77:78], v[63:64]
	v_fma_f64 v[73:74], v[73:74], v[77:78], v[65:66]
	v_fma_f64 v[75:76], 0x80000000, v[77:78], v[67:68]
	v_fma_f64 v[95:96], 0x80000000, v[77:78], v[69:70]
	v_fma_f64 v[91:92], 0x80000000, v[77:78], v[91:92]
	v_fma_f64 v[93:94], 0x80000000, v[77:78], v[93:94]
	s_clause 0x1
	global_load_b128 v[59:62], v[101:102], off offset:80
	global_load_b128 v[63:66], v[101:102], off offset:64
	global_load_b128 v[67:70], v[97:98], off offset:32
	;; [unrolled: 21-line block ×3, first 2 shown]
	s_waitcnt vmcnt(12)
	v_fma_f64 v[14:15], v[36:37], 0, v[14:15]
	v_fma_f64 v[56:57], v[36:37], 0, v[56:57]
	v_fma_f64 v[83:84], v[2:3], v[36:37], v[83:84]
	v_fma_f64 v[79:80], v[4:5], v[36:37], v[79:80]
	v_fma_f64 v[81:82], v[32:33], v[36:37], v[81:82]
	v_fma_f64 v[91:92], v[36:37], 0, v[91:92]
	v_fma_f64 v[93:94], v[34:35], v[36:37], v[93:94]
	v_fma_f64 v[36:37], v[36:37], 0, v[85:86]
	v_fma_f64 v[2:3], v[2:3], v[38:39], v[14:15]
	v_fma_f64 v[4:5], v[4:5], v[38:39], v[56:57]
	v_fma_f64 v[83:84], 0x80000000, v[38:39], v[83:84]
	v_fma_f64 v[14:15], 0x80000000, v[38:39], v[79:80]
	v_fma_f64 v[56:57], 0x80000000, v[38:39], v[81:82]
	v_fma_f64 v[32:33], v[32:33], v[38:39], v[91:92]
	v_fma_f64 v[79:80], 0x80000000, v[38:39], v[93:94]
	v_fma_f64 v[34:35], v[34:35], v[38:39], v[36:37]
	s_waitcnt vmcnt(9)
	v_fma_f64 v[2:3], v[10:11], 0, v[2:3]
	v_fma_f64 v[4:5], v[10:11], 0, v[4:5]
	v_fma_f64 v[36:37], v[40:41], v[10:11], v[83:84]
	v_fma_f64 v[14:15], v[42:43], v[10:11], v[14:15]
	v_fma_f64 v[38:39], v[87:88], v[10:11], v[56:57]
	v_fma_f64 v[32:33], v[10:11], 0, v[32:33]
	v_fma_f64 v[56:57], v[89:90], v[10:11], v[79:80]
	v_fma_f64 v[10:11], v[10:11], 0, v[34:35]
	v_fma_f64 v[2:3], v[40:41], v[12:13], v[2:3]
	v_fma_f64 v[4:5], v[42:43], v[12:13], v[4:5]
	v_fma_f64 v[34:35], 0x80000000, v[12:13], v[36:37]
	v_fma_f64 v[14:15], 0x80000000, v[12:13], v[14:15]
	v_fma_f64 v[36:37], 0x80000000, v[12:13], v[38:39]
	v_fma_f64 v[32:33], v[87:88], v[12:13], v[32:33]
	v_fma_f64 v[38:39], 0x80000000, v[12:13], v[56:57]
	v_fma_f64 v[10:11], v[89:90], v[12:13], v[10:11]
	;; [unrolled: 17-line block ×5, first 2 shown]
	s_and_not1_b32 exec_lo, exec_lo, s7
	s_cbranch_execnz .LBB148_37
; %bb.38:
	s_or_b32 exec_lo, exec_lo, s7
.LBB148_39:
	s_delay_alu instid0(SALU_CYCLE_1)
	s_or_b32 exec_lo, exec_lo, s6
.LBB148_40:
	s_delay_alu instid0(SALU_CYCLE_1)
	s_or_b32 exec_lo, exec_lo, s1
.LBB148_41:
	v_mbcnt_lo_u32_b32 v48, -1, 0
	s_delay_alu instid0(VALU_DEP_1) | instskip(SKIP_1) | instid1(VALU_DEP_2)
	v_xor_b32_e32 v0, 16, v48
	v_xor_b32_e32 v26, 8, v48
	v_cmp_gt_i32_e32 vcc_lo, 32, v0
	v_cndmask_b32_e32 v0, v48, v0, vcc_lo
	s_delay_alu instid0(VALU_DEP_3) | instskip(NEXT) | instid1(VALU_DEP_2)
	v_cmp_gt_i32_e32 vcc_lo, 32, v26
	v_dual_cndmask_b32 v26, v48, v26 :: v_dual_lshlrev_b32 v15, 2, v0
	ds_bpermute_b32 v0, v15, v42
	ds_bpermute_b32 v1, v15, v43
	;; [unrolled: 1-line block ×16, first 2 shown]
	s_waitcnt lgkmcnt(0)
	v_add_f64 v[0:1], v[42:43], v[0:1]
	v_add_f64 v[2:3], v[36:37], v[2:3]
	v_add_f64 v[4:5], v[44:45], v[4:5]
	v_add_f64 v[6:7], v[46:47], v[6:7]
	v_add_f64 v[8:9], v[38:39], v[8:9]
	v_add_f64 v[10:11], v[40:41], v[10:11]
	v_lshlrev_b32_e32 v41, 2, v26
	v_add_f64 v[12:13], v[32:33], v[12:13]
	v_add_f64 v[14:15], v[34:35], v[14:15]
	ds_bpermute_b32 v26, v41, v0
	ds_bpermute_b32 v27, v41, v1
	ds_bpermute_b32 v28, v41, v2
	ds_bpermute_b32 v29, v41, v3
	ds_bpermute_b32 v30, v41, v4
	ds_bpermute_b32 v31, v41, v5
	ds_bpermute_b32 v32, v41, v6
	ds_bpermute_b32 v33, v41, v7
	ds_bpermute_b32 v34, v41, v8
	ds_bpermute_b32 v35, v41, v9
	ds_bpermute_b32 v36, v41, v10
	ds_bpermute_b32 v37, v41, v11
	ds_bpermute_b32 v38, v41, v12
	ds_bpermute_b32 v39, v41, v13
	ds_bpermute_b32 v40, v41, v14
	ds_bpermute_b32 v41, v41, v15
	s_waitcnt lgkmcnt(14)
	v_add_f64 v[0:1], v[0:1], v[26:27]
	v_xor_b32_e32 v26, 4, v48
	s_waitcnt lgkmcnt(12)
	v_add_f64 v[2:3], v[2:3], v[28:29]
	s_waitcnt lgkmcnt(10)
	v_add_f64 v[4:5], v[4:5], v[30:31]
	;; [unrolled: 2-line block ×3, first 2 shown]
	v_cmp_gt_i32_e32 vcc_lo, 32, v26
	s_waitcnt lgkmcnt(6)
	v_add_f64 v[8:9], v[8:9], v[34:35]
	s_waitcnt lgkmcnt(4)
	v_add_f64 v[10:11], v[10:11], v[36:37]
	;; [unrolled: 2-line block ×3, first 2 shown]
	v_cndmask_b32_e32 v26, v48, v26, vcc_lo
	s_waitcnt lgkmcnt(0)
	v_add_f64 v[14:15], v[14:15], v[40:41]
	s_delay_alu instid0(VALU_DEP_2)
	v_lshlrev_b32_e32 v41, 2, v26
	ds_bpermute_b32 v26, v41, v0
	ds_bpermute_b32 v27, v41, v1
	;; [unrolled: 1-line block ×16, first 2 shown]
	s_waitcnt lgkmcnt(14)
	v_add_f64 v[0:1], v[0:1], v[26:27]
	s_waitcnt lgkmcnt(12)
	v_add_f64 v[2:3], v[2:3], v[28:29]
	;; [unrolled: 2-line block ×8, first 2 shown]
	v_xor_b32_e32 v14, 2, v48
	s_delay_alu instid0(VALU_DEP_1) | instskip(SKIP_1) | instid1(VALU_DEP_1)
	v_cmp_gt_i32_e32 vcc_lo, 32, v14
	v_cndmask_b32_e32 v14, v48, v14, vcc_lo
	v_lshlrev_b32_e32 v41, 2, v14
	ds_bpermute_b32 v14, v41, v0
	ds_bpermute_b32 v15, v41, v1
	;; [unrolled: 1-line block ×16, first 2 shown]
	s_waitcnt lgkmcnt(14)
	v_add_f64 v[0:1], v[0:1], v[14:15]
	s_waitcnt lgkmcnt(12)
	v_add_f64 v[28:29], v[2:3], v[28:29]
	;; [unrolled: 2-line block ×7, first 2 shown]
	v_xor_b32_e32 v12, 1, v48
	s_waitcnt lgkmcnt(0)
	v_add_f64 v[8:9], v[26:27], v[40:41]
	s_delay_alu instid0(VALU_DEP_2) | instskip(SKIP_2) | instid1(VALU_DEP_2)
	v_cmp_gt_i32_e32 vcc_lo, 32, v12
	v_cndmask_b32_e32 v12, v48, v12, vcc_lo
	v_cmp_eq_u32_e32 vcc_lo, 31, v58
	v_lshlrev_b32_e32 v35, 2, v12
	ds_bpermute_b32 v12, v35, v0
	ds_bpermute_b32 v13, v35, v1
	ds_bpermute_b32 v40, v35, v28
	ds_bpermute_b32 v41, v35, v29
	ds_bpermute_b32 v26, v35, v2
	ds_bpermute_b32 v27, v35, v3
	ds_bpermute_b32 v38, v35, v14
	ds_bpermute_b32 v39, v35, v15
	ds_bpermute_b32 v30, v35, v4
	ds_bpermute_b32 v31, v35, v5
	ds_bpermute_b32 v36, v35, v10
	ds_bpermute_b32 v37, v35, v11
	ds_bpermute_b32 v32, v35, v6
	ds_bpermute_b32 v33, v35, v7
	ds_bpermute_b32 v34, v35, v8
	ds_bpermute_b32 v35, v35, v9
	s_and_b32 exec_lo, exec_lo, vcc_lo
	s_cbranch_execz .LBB148_12
; %bb.42:
	s_waitcnt lgkmcnt(12)
	v_add_f64 v[28:29], v[28:29], v[40:41]
	s_waitcnt lgkmcnt(8)
	v_add_f64 v[14:15], v[14:15], v[38:39]
	;; [unrolled: 2-line block ×4, first 2 shown]
	v_add_f64 v[0:1], v[0:1], v[12:13]
	v_add_f64 v[2:3], v[2:3], v[26:27]
	;; [unrolled: 1-line block ×4, first 2 shown]
	v_cmp_eq_f64_e32 vcc_lo, 0, v[16:17]
	v_cmp_eq_f64_e64 s0, 0, v[18:19]
	s_load_b64 s[2:3], s[2:3], 0x68
	v_mul_f64 v[4:5], v[28:29], -v[22:23]
	v_mul_f64 v[6:7], v[20:21], v[28:29]
	v_mul_f64 v[28:29], v[14:15], -v[22:23]
	v_mul_f64 v[32:33], v[20:21], v[14:15]
	;; [unrolled: 2-line block ×4, first 2 shown]
	s_and_b32 s0, vcc_lo, s0
	v_fma_f64 v[12:13], v[20:21], v[0:1], v[4:5]
	v_fma_f64 v[14:15], v[22:23], v[0:1], v[6:7]
	;; [unrolled: 1-line block ×8, first 2 shown]
	v_lshlrev_b64 v[20:21], 6, v[24:25]
	s_and_saveexec_b32 s1, s0
	s_delay_alu instid0(SALU_CYCLE_1)
	s_xor_b32 s0, exec_lo, s1
	s_cbranch_execz .LBB148_44
; %bb.43:
	s_waitcnt lgkmcnt(0)
	s_delay_alu instid0(VALU_DEP_1)
	v_add_co_u32 v16, vcc_lo, s2, v20
	v_add_co_ci_u32_e32 v17, vcc_lo, s3, v21, vcc_lo
                                        ; implicit-def: $vgpr18_vgpr19
                                        ; implicit-def: $vgpr20_vgpr21
	s_clause 0x3
	global_store_b128 v[16:17], v[12:15], off
	global_store_b128 v[16:17], v[8:11], off offset:16
	global_store_b128 v[16:17], v[4:7], off offset:32
	global_store_b128 v[16:17], v[0:3], off offset:48
                                        ; implicit-def: $vgpr16_vgpr17
                                        ; implicit-def: $vgpr12_vgpr13
                                        ; implicit-def: $vgpr8_vgpr9
                                        ; implicit-def: $vgpr4_vgpr5
                                        ; implicit-def: $vgpr0_vgpr1
.LBB148_44:
	s_and_not1_saveexec_b32 s0, s0
	s_cbranch_execz .LBB148_12
; %bb.45:
	s_waitcnt lgkmcnt(0)
	v_add_co_u32 v36, vcc_lo, s2, v20
	v_add_co_ci_u32_e32 v37, vcc_lo, s3, v21, vcc_lo
	s_clause 0x3
	global_load_b128 v[20:23], v[36:37], off
	global_load_b128 v[24:27], v[36:37], off offset:16
	global_load_b128 v[28:31], v[36:37], off offset:32
	;; [unrolled: 1-line block ×3, first 2 shown]
	s_waitcnt vmcnt(3)
	v_fma_f64 v[12:13], v[16:17], v[20:21], v[12:13]
	v_fma_f64 v[14:15], v[18:19], v[20:21], v[14:15]
	s_waitcnt vmcnt(2)
	v_fma_f64 v[8:9], v[16:17], v[24:25], v[8:9]
	v_fma_f64 v[10:11], v[18:19], v[24:25], v[10:11]
	;; [unrolled: 3-line block ×4, first 2 shown]
	v_fma_f64 v[0:1], -v[18:19], v[22:23], v[12:13]
	v_fma_f64 v[2:3], v[16:17], v[22:23], v[14:15]
	v_fma_f64 v[4:5], -v[18:19], v[26:27], v[8:9]
	v_fma_f64 v[6:7], v[16:17], v[26:27], v[10:11]
	;; [unrolled: 2-line block ×4, first 2 shown]
	s_clause 0x3
	global_store_b128 v[36:37], v[0:3], off
	global_store_b128 v[36:37], v[4:7], off offset:16
	global_store_b128 v[36:37], v[8:11], off offset:32
	;; [unrolled: 1-line block ×3, first 2 shown]
	s_nop 0
	s_sendmsg sendmsg(MSG_DEALLOC_VGPRS)
	s_endpgm
	.section	.rodata,"a",@progbits
	.p2align	6, 0x0
	.amdhsa_kernel _ZN9rocsparseL18bsrxmvn_4x4_kernelILj128ELj32E21rocsparse_complex_numIdElldS2_S2_EEvT3_20rocsparse_direction_NS_24const_host_device_scalarIT1_EES3_PKS3_PKT2_SC_S9_PKT4_PKT5_S7_PT6_21rocsparse_index_base_b
		.amdhsa_group_segment_fixed_size 2048
		.amdhsa_private_segment_fixed_size 0
		.amdhsa_kernarg_size 120
		.amdhsa_user_sgpr_count 15
		.amdhsa_user_sgpr_dispatch_ptr 1
		.amdhsa_user_sgpr_queue_ptr 0
		.amdhsa_user_sgpr_kernarg_segment_ptr 1
		.amdhsa_user_sgpr_dispatch_id 0
		.amdhsa_user_sgpr_private_segment_size 0
		.amdhsa_wavefront_size32 1
		.amdhsa_uses_dynamic_stack 0
		.amdhsa_enable_private_segment 0
		.amdhsa_system_sgpr_workgroup_id_x 1
		.amdhsa_system_sgpr_workgroup_id_y 0
		.amdhsa_system_sgpr_workgroup_id_z 0
		.amdhsa_system_sgpr_workgroup_info 0
		.amdhsa_system_vgpr_workitem_id 2
		.amdhsa_next_free_vgpr 123
		.amdhsa_next_free_sgpr 18
		.amdhsa_reserve_vcc 1
		.amdhsa_float_round_mode_32 0
		.amdhsa_float_round_mode_16_64 0
		.amdhsa_float_denorm_mode_32 3
		.amdhsa_float_denorm_mode_16_64 3
		.amdhsa_dx10_clamp 1
		.amdhsa_ieee_mode 1
		.amdhsa_fp16_overflow 0
		.amdhsa_workgroup_processor_mode 1
		.amdhsa_memory_ordered 1
		.amdhsa_forward_progress 0
		.amdhsa_shared_vgpr_count 0
		.amdhsa_exception_fp_ieee_invalid_op 0
		.amdhsa_exception_fp_denorm_src 0
		.amdhsa_exception_fp_ieee_div_zero 0
		.amdhsa_exception_fp_ieee_overflow 0
		.amdhsa_exception_fp_ieee_underflow 0
		.amdhsa_exception_fp_ieee_inexact 0
		.amdhsa_exception_int_div_zero 0
	.end_amdhsa_kernel
	.section	.text._ZN9rocsparseL18bsrxmvn_4x4_kernelILj128ELj32E21rocsparse_complex_numIdElldS2_S2_EEvT3_20rocsparse_direction_NS_24const_host_device_scalarIT1_EES3_PKS3_PKT2_SC_S9_PKT4_PKT5_S7_PT6_21rocsparse_index_base_b,"axG",@progbits,_ZN9rocsparseL18bsrxmvn_4x4_kernelILj128ELj32E21rocsparse_complex_numIdElldS2_S2_EEvT3_20rocsparse_direction_NS_24const_host_device_scalarIT1_EES3_PKS3_PKT2_SC_S9_PKT4_PKT5_S7_PT6_21rocsparse_index_base_b,comdat
.Lfunc_end148:
	.size	_ZN9rocsparseL18bsrxmvn_4x4_kernelILj128ELj32E21rocsparse_complex_numIdElldS2_S2_EEvT3_20rocsparse_direction_NS_24const_host_device_scalarIT1_EES3_PKS3_PKT2_SC_S9_PKT4_PKT5_S7_PT6_21rocsparse_index_base_b, .Lfunc_end148-_ZN9rocsparseL18bsrxmvn_4x4_kernelILj128ELj32E21rocsparse_complex_numIdElldS2_S2_EEvT3_20rocsparse_direction_NS_24const_host_device_scalarIT1_EES3_PKS3_PKT2_SC_S9_PKT4_PKT5_S7_PT6_21rocsparse_index_base_b
                                        ; -- End function
	.section	.AMDGPU.csdata,"",@progbits
; Kernel info:
; codeLenInByte = 11400
; NumSgprs: 20
; NumVgprs: 123
; ScratchSize: 0
; MemoryBound: 0
; FloatMode: 240
; IeeeMode: 1
; LDSByteSize: 2048 bytes/workgroup (compile time only)
; SGPRBlocks: 2
; VGPRBlocks: 15
; NumSGPRsForWavesPerEU: 20
; NumVGPRsForWavesPerEU: 123
; Occupancy: 10
; WaveLimiterHint : 1
; COMPUTE_PGM_RSRC2:SCRATCH_EN: 0
; COMPUTE_PGM_RSRC2:USER_SGPR: 15
; COMPUTE_PGM_RSRC2:TRAP_HANDLER: 0
; COMPUTE_PGM_RSRC2:TGID_X_EN: 1
; COMPUTE_PGM_RSRC2:TGID_Y_EN: 0
; COMPUTE_PGM_RSRC2:TGID_Z_EN: 0
; COMPUTE_PGM_RSRC2:TIDIG_COMP_CNT: 2
	.section	.text._ZN9rocsparseL18bsrxmvn_4x4_kernelILj128ELj64E21rocsparse_complex_numIdElldS2_S2_EEvT3_20rocsparse_direction_NS_24const_host_device_scalarIT1_EES3_PKS3_PKT2_SC_S9_PKT4_PKT5_S7_PT6_21rocsparse_index_base_b,"axG",@progbits,_ZN9rocsparseL18bsrxmvn_4x4_kernelILj128ELj64E21rocsparse_complex_numIdElldS2_S2_EEvT3_20rocsparse_direction_NS_24const_host_device_scalarIT1_EES3_PKS3_PKT2_SC_S9_PKT4_PKT5_S7_PT6_21rocsparse_index_base_b,comdat
	.globl	_ZN9rocsparseL18bsrxmvn_4x4_kernelILj128ELj64E21rocsparse_complex_numIdElldS2_S2_EEvT3_20rocsparse_direction_NS_24const_host_device_scalarIT1_EES3_PKS3_PKT2_SC_S9_PKT4_PKT5_S7_PT6_21rocsparse_index_base_b ; -- Begin function _ZN9rocsparseL18bsrxmvn_4x4_kernelILj128ELj64E21rocsparse_complex_numIdElldS2_S2_EEvT3_20rocsparse_direction_NS_24const_host_device_scalarIT1_EES3_PKS3_PKT2_SC_S9_PKT4_PKT5_S7_PT6_21rocsparse_index_base_b
	.p2align	8
	.type	_ZN9rocsparseL18bsrxmvn_4x4_kernelILj128ELj64E21rocsparse_complex_numIdElldS2_S2_EEvT3_20rocsparse_direction_NS_24const_host_device_scalarIT1_EES3_PKS3_PKT2_SC_S9_PKT4_PKT5_S7_PT6_21rocsparse_index_base_b,@function
_ZN9rocsparseL18bsrxmvn_4x4_kernelILj128ELj64E21rocsparse_complex_numIdElldS2_S2_EEvT3_20rocsparse_direction_NS_24const_host_device_scalarIT1_EES3_PKS3_PKT2_SC_S9_PKT4_PKT5_S7_PT6_21rocsparse_index_base_b: ; @_ZN9rocsparseL18bsrxmvn_4x4_kernelILj128ELj64E21rocsparse_complex_numIdElldS2_S2_EEvT3_20rocsparse_direction_NS_24const_host_device_scalarIT1_EES3_PKS3_PKT2_SC_S9_PKT4_PKT5_S7_PT6_21rocsparse_index_base_b
; %bb.0:
	s_load_b64 s[12:13], s[2:3], 0x70
	s_load_b64 s[16:17], s[0:1], 0x4
	s_load_b128 s[8:11], s[2:3], 0x10
	v_bfe_u32 v1, v0, 10, 10
	s_mov_b64 s[0:1], src_shared_base
	s_load_b128 s[4:7], s[2:3], 0x58
	v_and_b32_e32 v2, 0x3ff, v0
	v_bfe_u32 v0, v0, 20, 10
	s_waitcnt lgkmcnt(0)
	s_bitcmp1_b32 s13, 0
	v_mul_u32_u24_e32 v1, s17, v1
	v_mov_b32_e32 v3, s8
	s_cselect_b32 s0, -1, 0
	v_mov_b32_e32 v23, s11
	s_and_b32 vcc_lo, s0, exec_lo
	s_cselect_b32 s13, s1, s9
	s_lshr_b32 s14, s16, 16
	v_dual_mov_b32 v6, s5 :: v_dual_mov_b32 v5, s4
	s_mul_i32 s14, s14, s17
	v_mov_b32_e32 v8, s13
	v_mad_u32_u24 v1, s14, v2, v1
	v_mov_b32_e32 v22, s10
	s_xor_b32 s10, s0, -1
	v_mov_b32_e32 v4, s9
	s_delay_alu instid0(VALU_DEP_3) | instskip(NEXT) | instid1(VALU_DEP_1)
	v_add_lshl_u32 v0, v1, v0, 3
	v_add_nc_u32_e32 v1, 0x400, v0
	ds_store_2addr_stride64_b64 v0, v[5:6], v[3:4] offset1:2
	v_cndmask_b32_e64 v7, s8, v1, s0
	flat_load_b64 v[20:21], v[7:8]
	s_cbranch_vccnz .LBB149_2
; %bb.1:
	v_dual_mov_b32 v3, s8 :: v_dual_mov_b32 v4, s9
	flat_load_b64 v[22:23], v[3:4] offset:8
.LBB149_2:
	s_and_b32 s8, s0, exec_lo
	s_cselect_b32 s1, s1, s5
	v_cndmask_b32_e64 v0, s4, v0, s0
	v_mov_b32_e32 v1, s1
	v_dual_mov_b32 v19, s7 :: v_dual_mov_b32 v18, s6
	s_and_not1_b32 vcc_lo, exec_lo, s10
	flat_load_b64 v[16:17], v[0:1]
	s_cbranch_vccnz .LBB149_4
; %bb.3:
	v_dual_mov_b32 v0, s4 :: v_dual_mov_b32 v1, s5
	flat_load_b64 v[18:19], v[0:1] offset:8
.LBB149_4:
	s_waitcnt vmcnt(1) lgkmcnt(1)
	v_cmp_eq_f64_e32 vcc_lo, 0, v[20:21]
	v_cmp_eq_f64_e64 s0, 0, v[22:23]
	s_delay_alu instid0(VALU_DEP_1)
	s_and_b32 s4, vcc_lo, s0
	s_mov_b32 s0, -1
	s_and_saveexec_b32 s1, s4
	s_cbranch_execz .LBB149_6
; %bb.5:
	s_waitcnt vmcnt(0) lgkmcnt(0)
	v_cmp_neq_f64_e32 vcc_lo, 1.0, v[16:17]
	v_cmp_neq_f64_e64 s0, 0, v[18:19]
	s_delay_alu instid0(VALU_DEP_1) | instskip(NEXT) | instid1(SALU_CYCLE_1)
	s_or_b32 s0, vcc_lo, s0
	s_or_not1_b32 s0, s0, exec_lo
.LBB149_6:
	s_or_b32 exec_lo, exec_lo, s1
	s_and_saveexec_b32 s1, s0
	s_cbranch_execz .LBB149_12
; %bb.7:
	s_load_b64 s[0:1], s[2:3], 0x28
	v_lshrrev_b32_e32 v0, 6, v2
	v_mov_b32_e32 v1, 0
	s_mov_b32 s4, 0
	s_delay_alu instid0(VALU_DEP_2)
	v_lshl_or_b32 v0, s15, 1, v0
	s_waitcnt lgkmcnt(0)
	s_cmp_lg_u64 s[0:1], 0
	s_cbranch_scc0 .LBB149_13
; %bb.8:
	s_load_b64 s[4:5], s[2:3], 0x20
                                        ; implicit-def: $vgpr24_vgpr25
	s_waitcnt lgkmcnt(0)
	v_cmp_gt_i64_e32 vcc_lo, s[4:5], v[0:1]
	s_mov_b32 s5, 0
	s_mov_b32 s4, 0
	s_and_saveexec_b32 s6, vcc_lo
	s_delay_alu instid0(SALU_CYCLE_1)
	s_xor_b32 s6, exec_lo, s6
                                        ; implicit-def: $sgpr14_sgpr15
	s_cbranch_execz .LBB149_10
; %bb.9:
	v_lshlrev_b64 v[3:4], 3, v[0:1]
	s_mov_b32 s4, exec_lo
	s_mov_b32 s15, 0
	s_delay_alu instid0(VALU_DEP_1) | instskip(NEXT) | instid1(VALU_DEP_2)
	v_add_co_u32 v3, vcc_lo, s0, v3
	v_add_co_ci_u32_e32 v4, vcc_lo, s1, v4, vcc_lo
	global_load_b64 v[3:4], v[3:4], off
	s_waitcnt vmcnt(0)
	v_sub_co_u32 v24, vcc_lo, v3, s12
	v_subrev_co_ci_u32_e32 v25, vcc_lo, 0, v4, vcc_lo
.LBB149_10:
	s_or_b32 exec_lo, exec_lo, s6
	s_delay_alu instid0(SALU_CYCLE_1)
	s_and_b32 vcc_lo, exec_lo, s5
	s_cbranch_vccnz .LBB149_14
.LBB149_11:
	s_and_b32 exec_lo, exec_lo, s4
	s_cbranch_execnz .LBB149_17
.LBB149_12:
	s_nop 0
	s_sendmsg sendmsg(MSG_DEALLOC_VGPRS)
	s_endpgm
.LBB149_13:
                                        ; implicit-def: $vgpr24_vgpr25
                                        ; implicit-def: $sgpr14_sgpr15
	s_cbranch_execz .LBB149_11
.LBB149_14:
	s_load_b64 s[0:1], s[2:3], 0x0
                                        ; implicit-def: $vgpr24_vgpr25
	s_waitcnt lgkmcnt(0)
	v_cmp_gt_i64_e32 vcc_lo, s[0:1], v[0:1]
	s_and_saveexec_b32 s0, vcc_lo
                                        ; implicit-def: $sgpr14_sgpr15
; %bb.15:
	v_dual_mov_b32 v25, v1 :: v_dual_mov_b32 v24, v0
	s_mov_b32 s15, 0
	s_or_b32 s4, s4, exec_lo
; %bb.16:
	s_or_b32 exec_lo, exec_lo, s0
	s_delay_alu instid0(SALU_CYCLE_1)
	s_and_b32 exec_lo, exec_lo, s4
	s_cbranch_execz .LBB149_12
.LBB149_17:
	s_load_b256 s[4:11], s[2:3], 0x30
	v_lshlrev_b64 v[0:1], 3, v[24:25]
	v_and_b32_e32 v58, 63, v2
	s_load_b32 s1, s[2:3], 0x8
	s_waitcnt lgkmcnt(0)
	s_delay_alu instid0(VALU_DEP_2) | instskip(NEXT) | instid1(VALU_DEP_3)
	v_add_co_u32 v3, vcc_lo, s4, v0
	v_add_co_ci_u32_e32 v4, vcc_lo, s5, v1, vcc_lo
	v_add_co_u32 v0, vcc_lo, s6, v0
	v_add_co_ci_u32_e32 v1, vcc_lo, s7, v1, vcc_lo
	s_delay_alu instid0(VALU_DEP_4) | instskip(NEXT) | instid1(VALU_DEP_4)
	v_add_co_u32 v5, vcc_lo, v3, 8
	v_add_co_ci_u32_e32 v6, vcc_lo, 0, v4, vcc_lo
	global_load_b64 v[48:49], v[3:4], off
	s_cmp_eq_u64 s[6:7], 0
	s_load_b64 s[4:5], s[2:3], 0x50
	s_cselect_b32 vcc_lo, -1, 0
	s_cmp_eq_u32 s1, 1
	v_dual_cndmask_b32 v1, v1, v6 :: v_dual_cndmask_b32 v0, v0, v5
	global_load_b64 v[0:1], v[0:1], off
	s_waitcnt vmcnt(1)
	v_sub_co_u32 v2, vcc_lo, v48, s12
	v_subrev_co_ci_u32_e32 v3, vcc_lo, s15, v49, vcc_lo
	s_delay_alu instid0(VALU_DEP_2) | instskip(NEXT) | instid1(VALU_DEP_2)
	v_add_co_u32 v26, vcc_lo, v2, v58
	v_add_co_ci_u32_e32 v27, vcc_lo, 0, v3, vcc_lo
	s_waitcnt vmcnt(0)
	v_sub_co_u32 v28, vcc_lo, v0, s12
	v_subrev_co_ci_u32_e32 v29, vcc_lo, s15, v1, vcc_lo
	s_delay_alu instid0(VALU_DEP_3) | instskip(NEXT) | instid1(VALU_DEP_2)
	v_lshlrev_b64 v[0:1], 7, v[26:27]
	v_cmp_lt_i64_e64 s0, v[26:27], v[28:29]
	s_delay_alu instid0(VALU_DEP_2) | instskip(NEXT) | instid1(VALU_DEP_3)
	v_add_co_u32 v30, vcc_lo, s10, v0
	v_add_co_ci_u32_e32 v31, vcc_lo, s11, v1, vcc_lo
	s_cbranch_scc1 .LBB149_29
; %bb.18:
	v_mov_b32_e32 v36, 0
	v_mov_b32_e32 v37, 0
	s_delay_alu instid0(VALU_DEP_2) | instskip(NEXT) | instid1(VALU_DEP_2)
	v_mov_b32_e32 v34, v36
	v_dual_mov_b32 v32, v36 :: v_dual_mov_b32 v33, v37
	v_dual_mov_b32 v43, v37 :: v_dual_mov_b32 v42, v36
	;; [unrolled: 1-line block ×6, first 2 shown]
	v_mov_b32_e32 v35, v37
	s_and_saveexec_b32 s6, s0
	s_cbranch_execz .LBB149_28
; %bb.19:
	v_or_b32_e32 v0, 64, v58
	v_not_b32_e32 v3, v48
	v_not_b32_e32 v2, v49
	v_dual_mov_b32 v32, 0 :: v_dual_mov_b32 v51, v31
	s_delay_alu instid0(VALU_DEP_4) | instskip(NEXT) | instid1(VALU_DEP_1)
	v_sub_co_u32 v0, s1, v0, s12
	v_sub_co_ci_u32_e64 v1, null, 0, s15, s1
	v_sub_co_u32 v4, s1, s12, v58
	s_delay_alu instid0(VALU_DEP_3) | instskip(NEXT) | instid1(VALU_DEP_3)
	v_add_co_u32 v0, vcc_lo, v0, v48
	v_add_co_ci_u32_e32 v1, vcc_lo, v1, v49, vcc_lo
	v_sub_co_ci_u32_e64 v5, null, s15, 0, s1
	s_mov_b32 s10, 0
	s_delay_alu instid0(VALU_DEP_2)
	v_cmp_gt_i64_e32 vcc_lo, v[0:1], v[28:29]
	s_mov_b32 s7, exec_lo
	v_dual_mov_b32 v53, v27 :: v_dual_mov_b32 v52, v26
	v_dual_cndmask_b32 v1, v29, v1 :: v_dual_cndmask_b32 v0, v28, v0
	v_add_co_u32 v3, vcc_lo, v4, v3
	v_add_co_ci_u32_e32 v2, vcc_lo, v5, v2, vcc_lo
	s_delay_alu instid0(VALU_DEP_2) | instskip(NEXT) | instid1(VALU_DEP_2)
	v_add_co_u32 v0, vcc_lo, v3, v0
	v_add_co_ci_u32_e32 v1, vcc_lo, v2, v1, vcc_lo
	s_delay_alu instid0(VALU_DEP_2) | instskip(NEXT) | instid1(VALU_DEP_1)
	v_lshrrev_b32_e32 v2, 6, v0
	v_dual_mov_b32 v33, 0 :: v_dual_add_nc_u32 v2, 1, v2
	s_delay_alu instid0(VALU_DEP_1)
	v_dual_mov_b32 v50, v30 :: v_dual_mov_b32 v35, v33
	v_dual_mov_b32 v34, v32 :: v_dual_mov_b32 v39, v33
	;; [unrolled: 1-line block ×4, first 2 shown]
	v_dual_mov_b32 v47, v33 :: v_dual_and_b32 v2, 3, v2
	v_dual_mov_b32 v44, v32 :: v_dual_mov_b32 v43, v33
	v_dual_mov_b32 v46, v32 :: v_dual_mov_b32 v37, v33
	v_mov_b32_e32 v42, v32
	v_mov_b32_e32 v36, v32
	v_cmpx_ne_u32_e32 0, v2
	s_cbranch_execz .LBB149_23
; %bb.20:
	v_lshlrev_b64 v[4:5], 3, v[26:27]
	v_dual_mov_b32 v3, 0 :: v_dual_mov_b32 v36, 0
	v_dual_mov_b32 v37, 0 :: v_dual_lshlrev_b32 v2, 3, v2
	v_dual_mov_b32 v53, v27 :: v_dual_mov_b32 v52, v26
	s_delay_alu instid0(VALU_DEP_4)
	v_add_co_u32 v4, vcc_lo, s8, v4
	v_add_co_ci_u32_e32 v5, vcc_lo, s9, v5, vcc_lo
	v_dual_mov_b32 v51, v31 :: v_dual_mov_b32 v50, v30
	v_dual_mov_b32 v43, v37 :: v_dual_mov_b32 v42, v36
	;; [unrolled: 1-line block ×8, first 2 shown]
.LBB149_21:                             ; =>This Inner Loop Header: Depth=1
	global_load_b64 v[14:15], v[4:5], off
	s_clause 0x7
	global_load_b128 v[6:9], v[50:51], off offset:48
	global_load_b128 v[10:13], v[50:51], off offset:32
	;; [unrolled: 1-line block ×3, first 2 shown]
	global_load_b128 v[59:62], v[50:51], off
	global_load_b128 v[63:66], v[50:51], off offset:112
	global_load_b128 v[67:70], v[50:51], off offset:96
	;; [unrolled: 1-line block ×4, first 2 shown]
	v_add_co_u32 v4, s1, 0x200, v4
	s_delay_alu instid0(VALU_DEP_1) | instskip(SKIP_3) | instid1(VALU_DEP_1)
	v_add_co_ci_u32_e64 v5, s1, 0, v5, s1
	s_waitcnt vmcnt(8)
	v_sub_co_u32 v14, vcc_lo, v14, s12
	v_subrev_co_ci_u32_e32 v15, vcc_lo, s15, v15, vcc_lo
	v_lshlrev_b64 v[14:15], 6, v[14:15]
	s_waitcnt lgkmcnt(0)
	s_delay_alu instid0(VALU_DEP_1) | instskip(NEXT) | instid1(VALU_DEP_2)
	v_add_co_u32 v14, vcc_lo, s4, v14
	v_add_co_ci_u32_e32 v15, vcc_lo, s5, v15, vcc_lo
	v_add_co_u32 v50, vcc_lo, 0x2000, v50
	v_add_co_ci_u32_e32 v51, vcc_lo, 0, v51, vcc_lo
	s_clause 0x3
	global_load_b128 v[79:82], v[14:15], off
	global_load_b128 v[83:86], v[14:15], off offset:16
	global_load_b128 v[87:90], v[14:15], off offset:32
	;; [unrolled: 1-line block ×3, first 2 shown]
	v_add_co_u32 v2, vcc_lo, v2, -8
	v_add_co_ci_u32_e32 v3, vcc_lo, -1, v3, vcc_lo
	v_add_co_u32 v52, vcc_lo, v52, 64
	v_add_co_ci_u32_e32 v53, vcc_lo, 0, v53, vcc_lo
	s_delay_alu instid0(VALU_DEP_3)
	v_cmp_eq_u64_e32 vcc_lo, 0, v[2:3]
	s_or_b32 s10, vcc_lo, s10
	s_waitcnt vmcnt(3)
	v_fma_f64 v[14:15], v[59:60], v[79:80], v[42:43]
	v_fma_f64 v[36:37], v[79:80], 0, v[36:37]
	v_fma_f64 v[42:43], v[10:11], v[79:80], v[44:45]
	v_fma_f64 v[44:45], v[79:80], 0, v[46:47]
	v_fma_f64 v[38:39], v[75:76], v[79:80], v[38:39]
	v_fma_f64 v[40:41], v[79:80], 0, v[40:41]
	v_fma_f64 v[32:33], v[67:68], v[79:80], v[32:33]
	v_fma_f64 v[34:35], v[79:80], 0, v[34:35]
	v_fma_f64 v[14:15], 0x80000000, v[81:82], v[14:15]
	v_fma_f64 v[36:37], v[59:60], v[81:82], v[36:37]
	v_fma_f64 v[42:43], 0x80000000, v[81:82], v[42:43]
	v_fma_f64 v[10:11], v[10:11], v[81:82], v[44:45]
	v_fma_f64 v[38:39], 0x80000000, v[81:82], v[38:39]
	v_fma_f64 v[40:41], v[75:76], v[81:82], v[40:41]
	v_fma_f64 v[32:33], 0x80000000, v[81:82], v[32:33]
	v_fma_f64 v[34:35], v[67:68], v[81:82], v[34:35]
	s_waitcnt vmcnt(2)
	v_fma_f64 v[14:15], v[61:62], v[83:84], v[14:15]
	v_fma_f64 v[36:37], v[83:84], 0, v[36:37]
	v_fma_f64 v[42:43], v[12:13], v[83:84], v[42:43]
	v_fma_f64 v[10:11], v[83:84], 0, v[10:11]
	v_fma_f64 v[38:39], v[77:78], v[83:84], v[38:39]
	v_fma_f64 v[40:41], v[83:84], 0, v[40:41]
	v_fma_f64 v[32:33], v[69:70], v[83:84], v[32:33]
	v_fma_f64 v[34:35], v[83:84], 0, v[34:35]
	v_fma_f64 v[14:15], 0x80000000, v[85:86], v[14:15]
	v_fma_f64 v[36:37], v[61:62], v[85:86], v[36:37]
	v_fma_f64 v[42:43], 0x80000000, v[85:86], v[42:43]
	v_fma_f64 v[10:11], v[12:13], v[85:86], v[10:11]
	v_fma_f64 v[12:13], 0x80000000, v[85:86], v[38:39]
	v_fma_f64 v[38:39], v[77:78], v[85:86], v[40:41]
	v_fma_f64 v[32:33], 0x80000000, v[85:86], v[32:33]
	v_fma_f64 v[34:35], v[69:70], v[85:86], v[34:35]
	;; [unrolled: 17-line block ×4, first 2 shown]
	s_and_not1_b32 exec_lo, exec_lo, s10
	s_cbranch_execnz .LBB149_21
; %bb.22:
	s_or_b32 exec_lo, exec_lo, s10
.LBB149_23:
	s_delay_alu instid0(SALU_CYCLE_1) | instskip(NEXT) | instid1(SALU_CYCLE_1)
	s_or_b32 exec_lo, exec_lo, s7
	s_mov_b32 s7, exec_lo
	v_cmpx_lt_u64_e32 0xbf, v[0:1]
	s_cbranch_execz .LBB149_27
; %bb.24:
	v_lshlrev_b64 v[0:1], 3, v[52:53]
	s_mov_b32 s10, 0
	s_delay_alu instid0(VALU_DEP_1) | instskip(NEXT) | instid1(VALU_DEP_2)
	v_add_co_u32 v0, vcc_lo, v0, s8
	v_add_co_ci_u32_e32 v1, vcc_lo, s9, v1, vcc_lo
	s_delay_alu instid0(VALU_DEP_2) | instskip(NEXT) | instid1(VALU_DEP_2)
	v_add_co_u32 v54, vcc_lo, 0x400, v0
	v_add_co_ci_u32_e32 v55, vcc_lo, 0, v1, vcc_lo
.LBB149_25:                             ; =>This Inner Loop Header: Depth=1
	s_clause 0x1
	global_load_b64 v[56:57], v[54:55], off offset:-1024
	global_load_b64 v[107:108], v[54:55], off offset:-512
	s_clause 0x3
	global_load_b128 v[4:7], v[50:51], off offset:32
	global_load_b128 v[8:11], v[50:51], off
	global_load_b128 v[0:3], v[50:51], off offset:96
	global_load_b128 v[12:15], v[50:51], off offset:64
	s_clause 0x1
	global_load_b64 v[111:112], v[54:55], off
	global_load_b64 v[113:114], v[54:55], off offset:512
	s_waitcnt vmcnt(7)
	v_sub_co_u32 v56, vcc_lo, v56, s12
	v_subrev_co_ci_u32_e32 v57, vcc_lo, s15, v57, vcc_lo
	s_delay_alu instid0(VALU_DEP_1) | instskip(SKIP_1) | instid1(VALU_DEP_1)
	v_lshlrev_b64 v[56:57], 6, v[56:57]
	s_waitcnt lgkmcnt(0)
	v_add_co_u32 v56, vcc_lo, s4, v56
	s_delay_alu instid0(VALU_DEP_2)
	v_add_co_ci_u32_e32 v57, vcc_lo, s5, v57, vcc_lo
	s_clause 0x1
	global_load_b128 v[59:62], v[56:57], off
	global_load_b128 v[63:66], v[56:57], off offset:16
	s_clause 0x3
	global_load_b128 v[67:70], v[50:51], off offset:48
	global_load_b128 v[71:74], v[50:51], off offset:16
	;; [unrolled: 1-line block ×4, first 2 shown]
	s_clause 0x1
	global_load_b128 v[83:86], v[56:57], off offset:32
	global_load_b128 v[87:90], v[56:57], off offset:48
	v_add_co_u32 v56, vcc_lo, 0x2000, v50
	v_add_co_ci_u32_e32 v57, vcc_lo, 0, v51, vcc_lo
	s_waitcnt vmcnt(14)
	v_sub_co_u32 v107, vcc_lo, v107, s12
	v_subrev_co_ci_u32_e32 v108, vcc_lo, s15, v108, vcc_lo
	s_clause 0x3
	global_load_b128 v[91:94], v[56:57], off
	global_load_b128 v[95:98], v[56:57], off offset:32
	global_load_b128 v[99:102], v[56:57], off offset:96
	;; [unrolled: 1-line block ×3, first 2 shown]
	v_lshlrev_b64 v[107:108], 6, v[107:108]
	s_delay_alu instid0(VALU_DEP_1) | instskip(NEXT) | instid1(VALU_DEP_2)
	v_add_co_u32 v115, vcc_lo, s4, v107
	v_add_co_ci_u32_e32 v116, vcc_lo, s5, v108, vcc_lo
	v_add_co_u32 v119, vcc_lo, 0x4000, v50
	v_add_co_ci_u32_e32 v120, vcc_lo, 0, v51, vcc_lo
	global_load_b128 v[107:110], v[115:116], off
	s_waitcnt vmcnt(14)
	v_sub_co_u32 v111, vcc_lo, v111, s12
	v_subrev_co_ci_u32_e32 v112, vcc_lo, s15, v112, vcc_lo
	s_waitcnt vmcnt(12)
	v_fma_f64 v[36:37], v[59:60], 0, v[36:37]
	v_fma_f64 v[46:47], v[59:60], 0, v[46:47]
	;; [unrolled: 1-line block ×16, first 2 shown]
	global_load_b128 v[32:35], v[115:116], off offset:16
	s_waitcnt vmcnt(12)
	v_fma_f64 v[8:9], v[63:64], 0, v[8:9]
	v_fma_f64 v[4:5], v[63:64], 0, v[4:5]
	;; [unrolled: 1-line block ×16, first 2 shown]
	s_clause 0x3
	global_load_b128 v[0:3], v[56:57], off offset:48
	global_load_b128 v[4:7], v[56:57], off offset:112
	;; [unrolled: 1-line block ×5, first 2 shown]
	s_waitcnt vmcnt(12)
	v_fma_f64 v[44:45], v[83:84], 0, v[44:45]
	v_fma_f64 v[46:47], v[83:84], 0, v[46:47]
	;; [unrolled: 1-line block ×16, first 2 shown]
	global_load_b128 v[40:43], v[115:116], off offset:48
	s_waitcnt vmcnt(12)
	v_fma_f64 v[71:72], v[87:88], 0, v[44:45]
	v_fma_f64 v[75:76], v[87:88], 0, v[46:47]
	v_fma_f64 v[56:57], v[87:88], 0, v[56:57]
	v_fma_f64 v[79:80], v[73:74], v[87:88], v[59:60]
	v_fma_f64 v[115:116], v[69:70], v[87:88], v[65:66]
	v_fma_f64 v[117:118], v[81:82], v[87:88], v[61:62]
	v_fma_f64 v[67:68], v[77:78], v[87:88], v[67:68]
	v_fma_f64 v[87:88], v[87:88], 0, v[63:64]
	s_clause 0x3
	global_load_b128 v[44:47], v[119:120], off
	global_load_b128 v[59:62], v[119:120], off offset:32
	global_load_b128 v[63:66], v[119:120], off offset:96
	;; [unrolled: 1-line block ×3, first 2 shown]
	v_fma_f64 v[71:72], v[73:74], v[89:90], v[71:72]
	v_fma_f64 v[73:74], v[69:70], v[89:90], v[75:76]
	v_fma_f64 v[56:57], v[81:82], v[89:90], v[56:57]
	v_fma_f64 v[75:76], 0x80000000, v[89:90], v[79:80]
	v_fma_f64 v[79:80], 0x80000000, v[89:90], v[115:116]
	v_fma_f64 v[81:82], 0x80000000, v[89:90], v[117:118]
	v_fma_f64 v[115:116], 0x80000000, v[89:90], v[67:68]
	v_fma_f64 v[77:78], v[77:78], v[89:90], v[87:88]
	v_lshlrev_b64 v[67:68], 6, v[111:112]
	s_delay_alu instid0(VALU_DEP_1) | instskip(NEXT) | instid1(VALU_DEP_2)
	v_add_co_u32 v111, vcc_lo, s4, v67
	v_add_co_ci_u32_e32 v112, vcc_lo, s5, v68, vcc_lo
	global_load_b128 v[67:70], v[111:112], off
	s_waitcnt vmcnt(12)
	v_fma_f64 v[71:72], v[107:108], 0, v[71:72]
	v_fma_f64 v[73:74], v[107:108], 0, v[73:74]
	;; [unrolled: 1-line block ×10, first 2 shown]
	global_load_b128 v[71:74], v[111:112], off offset:16
	v_fma_f64 v[56:57], v[103:104], v[109:110], v[56:57]
	v_fma_f64 v[75:76], 0x80000000, v[109:110], v[75:76]
	;; [unrolled: 1-line block ×6, first 2 shown]
	s_waitcnt vmcnt(12)
	v_fma_f64 v[89:90], v[32:33], 0, v[89:90]
	v_fma_f64 v[91:92], v[32:33], 0, v[91:92]
	;; [unrolled: 1-line block ×16, first 2 shown]
	s_clause 0x3
	global_load_b128 v[32:35], v[119:120], off offset:48
	global_load_b128 v[75:78], v[119:120], off offset:112
	;; [unrolled: 1-line block ×5, first 2 shown]
	s_waitcnt vmcnt(12)
	v_fma_f64 v[95:96], v[36:37], 0, v[95:96]
	v_fma_f64 v[97:98], v[36:37], 0, v[97:98]
	;; [unrolled: 1-line block ×16, first 2 shown]
	global_load_b128 v[36:39], v[111:112], off offset:48
	s_waitcnt vmcnt(12)
	v_fma_f64 v[12:13], v[40:41], 0, v[12:13]
	v_fma_f64 v[0:1], v[40:41], 0, v[0:1]
	;; [unrolled: 1-line block ×8, first 2 shown]
	v_add_co_u32 v40, vcc_lo, 0x6000, v50
	v_add_co_ci_u32_e32 v41, vcc_lo, 0, v51, vcc_lo
	v_sub_co_u32 v113, vcc_lo, v113, s12
	v_subrev_co_ci_u32_e32 v114, vcc_lo, s15, v114, vcc_lo
	s_clause 0x3
	global_load_b128 v[95:98], v[40:41], off
	global_load_b128 v[99:102], v[40:41], off offset:32
	global_load_b128 v[103:106], v[40:41], off offset:96
	;; [unrolled: 1-line block ×3, first 2 shown]
	v_add_co_u32 v50, s1, 0x8000, v50
	s_delay_alu instid0(VALU_DEP_1)
	v_add_co_ci_u32_e64 v51, s1, 0, v51, s1
	v_fma_f64 v[12:13], v[14:15], v[42:43], v[12:13]
	v_fma_f64 v[14:15], v[2:3], v[42:43], v[0:1]
	v_lshlrev_b64 v[0:1], 6, v[113:114]
	v_fma_f64 v[8:9], v[10:11], v[42:43], v[8:9]
	v_fma_f64 v[10:11], 0x80000000, v[42:43], v[56:57]
	;; [unrolled: 1-line block ×6, first 2 shown]
	v_add_co_u32 v113, vcc_lo, s4, v0
	v_add_co_ci_u32_e32 v114, vcc_lo, s5, v1, vcc_lo
	v_add_co_u32 v52, vcc_lo, 0x100, v52
	v_add_co_ci_u32_e32 v53, vcc_lo, 0, v53, vcc_lo
	global_load_b128 v[0:3], v[113:114], off
	v_add_co_u32 v54, vcc_lo, 0x800, v54
	v_add_co_ci_u32_e32 v55, vcc_lo, 0, v55, vcc_lo
	v_cmp_ge_i64_e32 vcc_lo, v[52:53], v[28:29]
	s_or_b32 s10, vcc_lo, s10
	s_waitcnt vmcnt(12)
	v_fma_f64 v[14:15], v[67:68], 0, v[14:15]
	v_fma_f64 v[8:9], v[67:68], 0, v[8:9]
	;; [unrolled: 1-line block ×16, first 2 shown]
	global_load_b128 v[4:7], v[113:114], off offset:16
	s_waitcnt vmcnt(12)
	v_fma_f64 v[14:15], v[71:72], 0, v[14:15]
	v_fma_f64 v[8:9], v[71:72], 0, v[8:9]
	;; [unrolled: 1-line block ×16, first 2 shown]
	s_clause 0x3
	global_load_b128 v[8:11], v[40:41], off offset:48
	global_load_b128 v[12:15], v[40:41], off offset:112
	;; [unrolled: 1-line block ×5, first 2 shown]
	s_waitcnt vmcnt(12)
	v_fma_f64 v[73:74], v[91:92], 0, v[85:86]
	v_fma_f64 v[40:41], v[87:88], v[91:92], v[67:68]
	;; [unrolled: 1-line block ×16, first 2 shown]
	global_load_b128 v[67:70], v[113:114], off offset:48
	s_waitcnt vmcnt(12)
	v_fma_f64 v[73:74], v[36:37], 0, v[73:74]
	v_fma_f64 v[40:41], v[89:90], v[36:37], v[40:41]
	v_fma_f64 v[46:47], v[36:37], 0, v[46:47]
	v_fma_f64 v[75:76], v[34:35], v[36:37], v[85:86]
	v_fma_f64 v[32:33], v[36:37], 0, v[32:33]
	v_fma_f64 v[71:72], v[81:82], v[36:37], v[71:72]
	v_fma_f64 v[79:80], v[77:78], v[36:37], v[79:80]
	v_fma_f64 v[36:37], v[36:37], 0, v[56:57]
	v_fma_f64 v[40:41], 0x80000000, v[38:39], v[40:41]
	v_fma_f64 v[46:47], v[89:90], v[38:39], v[46:47]
	v_fma_f64 v[56:57], 0x80000000, v[38:39], v[75:76]
	v_fma_f64 v[32:33], v[34:35], v[38:39], v[32:33]
	v_fma_f64 v[34:35], 0x80000000, v[38:39], v[71:72]
	v_fma_f64 v[71:72], v[81:82], v[38:39], v[73:74]
	v_fma_f64 v[73:74], 0x80000000, v[38:39], v[79:80]
	v_fma_f64 v[36:37], v[77:78], v[38:39], v[36:37]
	s_waitcnt vmcnt(7)
	v_fma_f64 v[38:39], v[95:96], v[0:1], v[40:41]
	v_fma_f64 v[40:41], v[0:1], 0, v[46:47]
	v_fma_f64 v[46:47], v[99:100], v[0:1], v[56:57]
	v_fma_f64 v[32:33], v[0:1], 0, v[32:33]
	v_fma_f64 v[34:35], v[107:108], v[0:1], v[34:35]
	v_fma_f64 v[56:57], v[0:1], 0, v[71:72]
	v_fma_f64 v[71:72], v[103:104], v[0:1], v[73:74]
	v_fma_f64 v[0:1], v[0:1], 0, v[36:37]
	v_fma_f64 v[36:37], 0x80000000, v[2:3], v[38:39]
	v_fma_f64 v[38:39], v[95:96], v[2:3], v[40:41]
	v_fma_f64 v[40:41], 0x80000000, v[2:3], v[46:47]
	v_fma_f64 v[32:33], v[99:100], v[2:3], v[32:33]
	v_fma_f64 v[34:35], 0x80000000, v[2:3], v[34:35]
	v_fma_f64 v[46:47], v[107:108], v[2:3], v[56:57]
	v_fma_f64 v[56:57], 0x80000000, v[2:3], v[71:72]
	v_fma_f64 v[0:1], v[103:104], v[2:3], v[0:1]
	;; [unrolled: 17-line block ×5, first 2 shown]
	s_and_not1_b32 exec_lo, exec_lo, s10
	s_cbranch_execnz .LBB149_25
; %bb.26:
	s_or_b32 exec_lo, exec_lo, s10
.LBB149_27:
	s_delay_alu instid0(SALU_CYCLE_1)
	s_or_b32 exec_lo, exec_lo, s7
.LBB149_28:
	s_delay_alu instid0(SALU_CYCLE_1)
	s_or_b32 exec_lo, exec_lo, s6
	s_cbranch_execz .LBB149_30
	s_branch .LBB149_41
.LBB149_29:
                                        ; implicit-def: $vgpr36_vgpr37
                                        ; implicit-def: $vgpr42_vgpr43
                                        ; implicit-def: $vgpr46_vgpr47
                                        ; implicit-def: $vgpr44_vgpr45
                                        ; implicit-def: $vgpr40_vgpr41
                                        ; implicit-def: $vgpr38_vgpr39
                                        ; implicit-def: $vgpr34_vgpr35
                                        ; implicit-def: $vgpr32_vgpr33
.LBB149_30:
	v_mov_b32_e32 v36, 0
	v_mov_b32_e32 v37, 0
	s_delay_alu instid0(VALU_DEP_2) | instskip(NEXT) | instid1(VALU_DEP_2)
	v_mov_b32_e32 v34, v36
	v_dual_mov_b32 v32, v36 :: v_dual_mov_b32 v33, v37
	v_dual_mov_b32 v43, v37 :: v_dual_mov_b32 v42, v36
	;; [unrolled: 1-line block ×6, first 2 shown]
	v_mov_b32_e32 v35, v37
	s_and_saveexec_b32 s1, s0
	s_cbranch_execz .LBB149_40
; %bb.31:
	v_or_b32_e32 v0, 64, v58
	v_not_b32_e32 v3, v48
	v_not_b32_e32 v2, v49
	v_mov_b32_e32 v32, 0
	s_mov_b32 s7, 0
	v_sub_co_u32 v0, s0, v0, s12
	s_delay_alu instid0(VALU_DEP_1) | instskip(SKIP_1) | instid1(VALU_DEP_3)
	v_sub_co_ci_u32_e64 v1, null, 0, s15, s0
	v_sub_co_u32 v4, s0, s12, v58
	v_add_co_u32 v0, vcc_lo, v0, v48
	s_delay_alu instid0(VALU_DEP_3) | instskip(SKIP_2) | instid1(VALU_DEP_2)
	v_add_co_ci_u32_e32 v1, vcc_lo, v1, v49, vcc_lo
	v_sub_co_ci_u32_e64 v5, null, s15, 0, s0
	s_mov_b32 s6, exec_lo
	v_cmp_gt_i64_e32 vcc_lo, v[0:1], v[28:29]
	v_dual_cndmask_b32 v1, v29, v1 :: v_dual_cndmask_b32 v0, v28, v0
	v_add_co_u32 v3, vcc_lo, v4, v3
	v_add_co_ci_u32_e32 v2, vcc_lo, v5, v2, vcc_lo
	s_delay_alu instid0(VALU_DEP_2) | instskip(NEXT) | instid1(VALU_DEP_2)
	v_add_co_u32 v0, vcc_lo, v3, v0
	v_add_co_ci_u32_e32 v1, vcc_lo, v2, v1, vcc_lo
	s_delay_alu instid0(VALU_DEP_2) | instskip(NEXT) | instid1(VALU_DEP_1)
	v_lshrrev_b32_e32 v2, 6, v0
	v_dual_mov_b32 v33, 0 :: v_dual_add_nc_u32 v2, 1, v2
	s_delay_alu instid0(VALU_DEP_1) | instskip(SKIP_1) | instid1(VALU_DEP_3)
	v_dual_mov_b32 v35, v33 :: v_dual_mov_b32 v34, v32
	v_dual_mov_b32 v41, v33 :: v_dual_mov_b32 v40, v32
	v_dual_mov_b32 v45, v33 :: v_dual_and_b32 v2, 3, v2
	v_dual_mov_b32 v44, v32 :: v_dual_mov_b32 v47, v33
	v_dual_mov_b32 v46, v32 :: v_dual_mov_b32 v43, v33
	;; [unrolled: 1-line block ×4, first 2 shown]
	v_mov_b32_e32 v36, v32
	v_cmpx_ne_u32_e32 0, v2
	s_cbranch_execz .LBB149_35
; %bb.32:
	v_lshlrev_b64 v[4:5], 3, v[26:27]
	v_dual_mov_b32 v3, 0 :: v_dual_mov_b32 v36, 0
	v_dual_mov_b32 v37, 0 :: v_dual_lshlrev_b32 v2, 3, v2
	s_delay_alu instid0(VALU_DEP_2) | instskip(NEXT) | instid1(VALU_DEP_4)
	v_mov_b32_e32 v34, v36
	v_add_co_u32 v4, vcc_lo, s8, v4
	s_delay_alu instid0(VALU_DEP_3)
	v_mov_b32_e32 v35, v37
	v_add_co_ci_u32_e32 v5, vcc_lo, s9, v5, vcc_lo
	v_dual_mov_b32 v43, v37 :: v_dual_mov_b32 v42, v36
	v_dual_mov_b32 v47, v37 :: v_dual_mov_b32 v46, v36
	;; [unrolled: 1-line block ×6, first 2 shown]
.LBB149_33:                             ; =>This Inner Loop Header: Depth=1
	global_load_b64 v[14:15], v[4:5], off
	s_clause 0x1
	global_load_b128 v[6:9], v[30:31], off offset:16
	global_load_b128 v[10:13], v[30:31], off
	v_add_co_u32 v4, s0, 0x200, v4
	s_delay_alu instid0(VALU_DEP_1) | instskip(SKIP_3) | instid1(VALU_DEP_1)
	v_add_co_ci_u32_e64 v5, s0, 0, v5, s0
	s_waitcnt vmcnt(2)
	v_sub_co_u32 v14, vcc_lo, v14, s12
	v_subrev_co_ci_u32_e32 v15, vcc_lo, s15, v15, vcc_lo
	v_lshlrev_b64 v[14:15], 6, v[14:15]
	s_waitcnt lgkmcnt(0)
	s_delay_alu instid0(VALU_DEP_1) | instskip(NEXT) | instid1(VALU_DEP_2)
	v_add_co_u32 v14, vcc_lo, s4, v14
	v_add_co_ci_u32_e32 v15, vcc_lo, s5, v15, vcc_lo
	s_clause 0x1
	global_load_b128 v[48:51], v[14:15], off
	global_load_b128 v[52:55], v[14:15], off offset:16
	s_clause 0x3
	global_load_b128 v[59:62], v[30:31], off offset:32
	global_load_b128 v[63:66], v[30:31], off offset:48
	;; [unrolled: 1-line block ×4, first 2 shown]
	s_clause 0x1
	global_load_b128 v[75:78], v[14:15], off offset:32
	global_load_b128 v[79:82], v[14:15], off offset:48
	s_clause 0x1
	global_load_b128 v[83:86], v[30:31], off offset:96
	global_load_b128 v[87:90], v[30:31], off offset:112
	v_add_co_u32 v30, vcc_lo, 0x2000, v30
	v_add_co_ci_u32_e32 v31, vcc_lo, 0, v31, vcc_lo
	v_add_co_u32 v2, vcc_lo, v2, -8
	v_add_co_ci_u32_e32 v3, vcc_lo, -1, v3, vcc_lo
	v_add_co_u32 v26, vcc_lo, v26, 64
	v_add_co_ci_u32_e32 v27, vcc_lo, 0, v27, vcc_lo
	s_delay_alu instid0(VALU_DEP_3)
	v_cmp_eq_u64_e32 vcc_lo, 0, v[2:3]
	s_or_b32 s7, vcc_lo, s7
	s_waitcnt vmcnt(9)
	v_fma_f64 v[14:15], v[10:11], v[48:49], v[42:43]
	v_fma_f64 v[36:37], v[48:49], 0, v[36:37]
	;; [unrolled: 1-line block ×16, first 2 shown]
	s_waitcnt vmcnt(7)
	v_fma_f64 v[14:15], v[59:60], v[52:53], v[14:15]
	v_fma_f64 v[10:11], v[52:53], 0, v[10:11]
	;; [unrolled: 1-line block ×4, first 2 shown]
	s_waitcnt vmcnt(6)
	v_fma_f64 v[36:37], v[63:64], v[52:53], v[38:39]
	v_fma_f64 v[6:7], v[52:53], 0, v[6:7]
	;; [unrolled: 1-line block ×12, first 2 shown]
	s_waitcnt vmcnt(3)
	v_fma_f64 v[14:15], v[71:72], v[75:76], v[14:15]
	v_fma_f64 v[10:11], v[75:76], 0, v[10:11]
	;; [unrolled: 1-line block ×16, first 2 shown]
	s_waitcnt vmcnt(1)
	v_fma_f64 v[14:15], v[83:84], v[79:80], v[14:15]
	v_fma_f64 v[10:11], v[79:80], 0, v[10:11]
	;; [unrolled: 1-line block ×4, first 2 shown]
	s_waitcnt vmcnt(0)
	v_fma_f64 v[38:39], v[87:88], v[79:80], v[36:37]
	v_fma_f64 v[6:7], v[79:80], 0, v[6:7]
	;; [unrolled: 1-line block ×12, first 2 shown]
	s_and_not1_b32 exec_lo, exec_lo, s7
	s_cbranch_execnz .LBB149_33
; %bb.34:
	s_or_b32 exec_lo, exec_lo, s7
.LBB149_35:
	s_delay_alu instid0(SALU_CYCLE_1) | instskip(NEXT) | instid1(SALU_CYCLE_1)
	s_or_b32 exec_lo, exec_lo, s6
	s_mov_b32 s6, exec_lo
	v_cmpx_lt_u64_e32 0xbf, v[0:1]
	s_cbranch_execz .LBB149_39
; %bb.36:
	v_lshlrev_b64 v[0:1], 3, v[26:27]
	s_mov_b32 s7, 0
	s_delay_alu instid0(VALU_DEP_1) | instskip(NEXT) | instid1(VALU_DEP_2)
	v_add_co_u32 v0, vcc_lo, v0, s8
	v_add_co_ci_u32_e32 v1, vcc_lo, s9, v1, vcc_lo
	s_delay_alu instid0(VALU_DEP_2) | instskip(NEXT) | instid1(VALU_DEP_2)
	v_add_co_u32 v0, vcc_lo, 0x400, v0
	v_add_co_ci_u32_e32 v1, vcc_lo, 0, v1, vcc_lo
.LBB149_37:                             ; =>This Inner Loop Header: Depth=1
	s_clause 0x1
	global_load_b64 v[2:3], v[0:1], off offset:-1024
	global_load_b64 v[56:57], v[0:1], off offset:-512
	s_clause 0x1
	global_load_b128 v[4:7], v[30:31], off offset:16
	global_load_b128 v[8:11], v[30:31], off
	s_clause 0x1
	global_load_b64 v[99:100], v[0:1], off
	global_load_b64 v[101:102], v[0:1], off offset:512
	s_waitcnt vmcnt(5)
	v_sub_co_u32 v2, vcc_lo, v2, s12
	v_subrev_co_ci_u32_e32 v3, vcc_lo, s15, v3, vcc_lo
	s_delay_alu instid0(VALU_DEP_1) | instskip(SKIP_1) | instid1(VALU_DEP_1)
	v_lshlrev_b64 v[2:3], 6, v[2:3]
	s_waitcnt lgkmcnt(0)
	v_add_co_u32 v2, vcc_lo, s4, v2
	s_delay_alu instid0(VALU_DEP_2)
	v_add_co_ci_u32_e32 v3, vcc_lo, s5, v3, vcc_lo
	v_add_co_u32 v103, vcc_lo, 0x2000, v30
	v_add_co_ci_u32_e32 v104, vcc_lo, 0, v31, vcc_lo
	global_load_b128 v[12:15], v[2:3], off
	s_clause 0x1
	global_load_b128 v[48:51], v[30:31], off offset:32
	global_load_b128 v[52:55], v[30:31], off offset:48
	global_load_b128 v[59:62], v[2:3], off offset:16
	s_clause 0x1
	global_load_b128 v[63:66], v[30:31], off offset:80
	global_load_b128 v[67:70], v[30:31], off offset:64
	global_load_b128 v[71:74], v[2:3], off offset:32
	;; [unrolled: 4-line block ×3, first 2 shown]
	s_waitcnt vmcnt(14)
	v_sub_co_u32 v2, vcc_lo, v56, s12
	v_subrev_co_ci_u32_e32 v3, vcc_lo, s15, v57, vcc_lo
	s_clause 0x1
	global_load_b128 v[87:90], v[103:104], off
	global_load_b128 v[91:94], v[103:104], off offset:16
	v_lshlrev_b64 v[2:3], 6, v[2:3]
	s_delay_alu instid0(VALU_DEP_1) | instskip(NEXT) | instid1(VALU_DEP_2)
	v_add_co_u32 v56, vcc_lo, s4, v2
	v_add_co_ci_u32_e32 v57, vcc_lo, s5, v3, vcc_lo
	global_load_b128 v[95:98], v[56:57], off
	s_waitcnt vmcnt(12)
	v_fma_f64 v[2:3], v[12:13], 0, v[36:37]
	v_fma_f64 v[36:37], v[12:13], 0, v[46:47]
	;; [unrolled: 1-line block ×16, first 2 shown]
	s_clause 0x1
	global_load_b128 v[2:5], v[103:104], off offset:48
	global_load_b128 v[6:9], v[103:104], off offset:32
	;; [unrolled: 1-line block ×3, first 2 shown]
	s_waitcnt vmcnt(12)
	v_fma_f64 v[32:33], v[59:60], 0, v[32:33]
	v_fma_f64 v[36:37], v[59:60], 0, v[36:37]
	;; [unrolled: 1-line block ×16, first 2 shown]
	s_clause 0x1
	global_load_b128 v[32:35], v[103:104], off offset:80
	global_load_b128 v[36:39], v[103:104], off offset:64
	s_clause 0x1
	global_load_b128 v[40:43], v[56:57], off offset:32
	global_load_b128 v[44:47], v[56:57], off offset:48
	s_waitcnt vmcnt(13)
	v_fma_f64 v[48:49], v[71:72], 0, v[48:49]
	v_fma_f64 v[50:51], v[71:72], 0, v[50:51]
	v_fma_f64 v[52:53], v[71:72], 0, v[52:53]
	v_fma_f64 v[54:55], v[71:72], 0, v[54:55]
	v_fma_f64 v[56:57], v[67:68], v[71:72], v[59:60]
	v_fma_f64 v[59:60], v[69:70], v[71:72], v[105:106]
	v_fma_f64 v[61:62], v[63:64], v[71:72], v[107:108]
	v_fma_f64 v[14:15], v[65:66], v[71:72], v[14:15]
	v_fma_f64 v[67:68], v[67:68], v[73:74], v[48:49]
	v_fma_f64 v[69:70], v[69:70], v[73:74], v[50:51]
	v_fma_f64 v[63:64], v[63:64], v[73:74], v[52:53]
	v_fma_f64 v[65:66], v[65:66], v[73:74], v[54:55]
	v_fma_f64 v[56:57], 0x80000000, v[73:74], v[56:57]
	v_fma_f64 v[59:60], 0x80000000, v[73:74], v[59:60]
	v_fma_f64 v[61:62], 0x80000000, v[73:74], v[61:62]
	v_fma_f64 v[14:15], 0x80000000, v[73:74], v[14:15]
	s_clause 0x1
	global_load_b128 v[48:51], v[103:104], off offset:96
	global_load_b128 v[52:55], v[103:104], off offset:112
	s_waitcnt vmcnt(12)
	v_fma_f64 v[67:68], v[83:84], 0, v[67:68]
	v_fma_f64 v[69:70], v[83:84], 0, v[69:70]
	;; [unrolled: 1-line block ×8, first 2 shown]
	v_add_co_u32 v83, vcc_lo, 0x4000, v30
	v_add_co_ci_u32_e32 v84, vcc_lo, 0, v31, vcc_lo
	v_sub_co_u32 v99, vcc_lo, v99, s12
	v_subrev_co_ci_u32_e32 v100, vcc_lo, s15, v100, vcc_lo
	s_clause 0x1
	global_load_b128 v[59:62], v[83:84], off
	global_load_b128 v[63:66], v[83:84], off offset:16
	v_fma_f64 v[79:80], v[79:80], v[85:86], v[67:68]
	v_fma_f64 v[81:82], v[81:82], v[85:86], v[69:70]
	;; [unrolled: 1-line block ×8, first 2 shown]
	v_lshlrev_b64 v[67:68], 6, v[99:100]
	s_delay_alu instid0(VALU_DEP_1) | instskip(NEXT) | instid1(VALU_DEP_2)
	v_add_co_u32 v85, vcc_lo, s4, v67
	v_add_co_ci_u32_e32 v86, vcc_lo, s5, v68, vcc_lo
	global_load_b128 v[67:70], v[85:86], off
	s_waitcnt vmcnt(12)
	v_fma_f64 v[79:80], v[95:96], 0, v[79:80]
	v_fma_f64 v[81:82], v[95:96], 0, v[81:82]
	v_fma_f64 v[71:72], v[95:96], 0, v[71:72]
	v_fma_f64 v[73:74], v[95:96], 0, v[73:74]
	v_fma_f64 v[56:57], v[87:88], v[95:96], v[56:57]
	v_fma_f64 v[75:76], v[89:90], v[95:96], v[75:76]
	v_fma_f64 v[77:78], v[91:92], v[95:96], v[77:78]
	v_fma_f64 v[14:15], v[93:94], v[95:96], v[14:15]
	v_fma_f64 v[87:88], v[87:88], v[97:98], v[79:80]
	v_fma_f64 v[89:90], v[89:90], v[97:98], v[81:82]
	v_fma_f64 v[91:92], v[91:92], v[97:98], v[71:72]
	v_fma_f64 v[93:94], v[93:94], v[97:98], v[73:74]
	v_fma_f64 v[56:57], 0x80000000, v[97:98], v[56:57]
	v_fma_f64 v[95:96], 0x80000000, v[97:98], v[75:76]
	v_fma_f64 v[99:100], 0x80000000, v[97:98], v[77:78]
	v_fma_f64 v[14:15], 0x80000000, v[97:98], v[14:15]
	s_clause 0x1
	global_load_b128 v[71:74], v[83:84], off offset:32
	global_load_b128 v[75:78], v[83:84], off offset:48
	global_load_b128 v[79:82], v[85:86], off offset:16
	s_waitcnt vmcnt(12)
	v_fma_f64 v[87:88], v[10:11], 0, v[87:88]
	v_fma_f64 v[89:90], v[10:11], 0, v[89:90]
	v_fma_f64 v[91:92], v[10:11], 0, v[91:92]
	v_fma_f64 v[93:94], v[10:11], 0, v[93:94]
	v_fma_f64 v[56:57], v[6:7], v[10:11], v[56:57]
	v_fma_f64 v[95:96], v[8:9], v[10:11], v[95:96]
	v_fma_f64 v[97:98], v[2:3], v[10:11], v[99:100]
	v_fma_f64 v[10:11], v[4:5], v[10:11], v[14:15]
	v_fma_f64 v[14:15], v[6:7], v[12:13], v[87:88]
	v_fma_f64 v[87:88], v[8:9], v[12:13], v[89:90]
	v_fma_f64 v[89:90], v[2:3], v[12:13], v[91:92]
	v_fma_f64 v[91:92], v[4:5], v[12:13], v[93:94]
	v_fma_f64 v[56:57], 0x80000000, v[12:13], v[56:57]
	v_fma_f64 v[93:94], 0x80000000, v[12:13], v[95:96]
	v_fma_f64 v[95:96], 0x80000000, v[12:13], v[97:98]
	v_fma_f64 v[97:98], 0x80000000, v[12:13], v[10:11]
	s_clause 0x1
	global_load_b128 v[2:5], v[83:84], off offset:80
	global_load_b128 v[6:9], v[83:84], off offset:64
	global_load_b128 v[10:13], v[85:86], off offset:32
	;; [unrolled: 21-line block ×3, first 2 shown]
	s_waitcnt vmcnt(14)
	v_fma_f64 v[14:15], v[44:45], 0, v[14:15]
	v_fma_f64 v[99:100], v[44:45], 0, v[87:88]
	;; [unrolled: 1-line block ×4, first 2 shown]
	s_waitcnt vmcnt(13)
	v_fma_f64 v[56:57], v[48:49], v[44:45], v[56:57]
	v_fma_f64 v[93:94], v[50:51], v[44:45], v[93:94]
	s_waitcnt vmcnt(12)
	v_fma_f64 v[95:96], v[52:53], v[44:45], v[95:96]
	v_fma_f64 v[44:45], v[54:55], v[44:45], v[97:98]
	v_add_co_u32 v97, vcc_lo, 0x6000, v30
	v_add_co_ci_u32_e32 v98, vcc_lo, 0, v31, vcc_lo
	v_sub_co_u32 v101, vcc_lo, v101, s12
	v_subrev_co_ci_u32_e32 v102, vcc_lo, s15, v102, vcc_lo
	s_clause 0x1
	global_load_b128 v[83:86], v[97:98], off
	global_load_b128 v[87:90], v[97:98], off offset:16
	v_add_co_u32 v30, s0, 0x8000, v30
	s_delay_alu instid0(VALU_DEP_1)
	v_add_co_ci_u32_e64 v31, s0, 0, v31, s0
	v_fma_f64 v[14:15], v[48:49], v[46:47], v[14:15]
	v_fma_f64 v[48:49], v[50:51], v[46:47], v[99:100]
	;; [unrolled: 1-line block ×8, first 2 shown]
	v_lshlrev_b64 v[44:45], 6, v[101:102]
	s_delay_alu instid0(VALU_DEP_1) | instskip(NEXT) | instid1(VALU_DEP_2)
	v_add_co_u32 v95, vcc_lo, s4, v44
	v_add_co_ci_u32_e32 v96, vcc_lo, s5, v45, vcc_lo
	v_add_co_u32 v26, vcc_lo, 0x100, v26
	v_add_co_ci_u32_e32 v27, vcc_lo, 0, v27, vcc_lo
	global_load_b128 v[44:47], v[95:96], off
	v_add_co_u32 v0, vcc_lo, 0x800, v0
	v_add_co_ci_u32_e32 v1, vcc_lo, 0, v1, vcc_lo
	v_cmp_ge_i64_e32 vcc_lo, v[26:27], v[28:29]
	s_or_b32 s7, vcc_lo, s7
	s_waitcnt vmcnt(12)
	v_fma_f64 v[14:15], v[67:68], 0, v[14:15]
	v_fma_f64 v[48:49], v[67:68], 0, v[48:49]
	v_fma_f64 v[50:51], v[67:68], 0, v[50:51]
	v_fma_f64 v[52:53], v[67:68], 0, v[52:53]
	v_fma_f64 v[54:55], v[59:60], v[67:68], v[54:55]
	v_fma_f64 v[56:57], v[61:62], v[67:68], v[56:57]
	v_fma_f64 v[91:92], v[63:64], v[67:68], v[91:92]
	v_fma_f64 v[93:94], v[65:66], v[67:68], v[93:94]
	v_fma_f64 v[14:15], v[59:60], v[69:70], v[14:15]
	v_fma_f64 v[99:100], v[61:62], v[69:70], v[48:49]
	v_fma_f64 v[63:64], v[63:64], v[69:70], v[50:51]
	v_fma_f64 v[65:66], v[65:66], v[69:70], v[52:53]
	v_fma_f64 v[67:68], 0x80000000, v[69:70], v[54:55]
	v_fma_f64 v[56:57], 0x80000000, v[69:70], v[56:57]
	v_fma_f64 v[91:92], 0x80000000, v[69:70], v[91:92]
	v_fma_f64 v[93:94], 0x80000000, v[69:70], v[93:94]
	s_clause 0x1
	global_load_b128 v[48:51], v[97:98], off offset:32
	global_load_b128 v[52:55], v[97:98], off offset:48
	global_load_b128 v[59:62], v[95:96], off offset:16
	s_waitcnt vmcnt(12)
	v_fma_f64 v[14:15], v[79:80], 0, v[14:15]
	v_fma_f64 v[69:70], v[79:80], 0, v[99:100]
	v_fma_f64 v[63:64], v[79:80], 0, v[63:64]
	v_fma_f64 v[65:66], v[79:80], 0, v[65:66]
	v_fma_f64 v[67:68], v[71:72], v[79:80], v[67:68]
	v_fma_f64 v[56:57], v[73:74], v[79:80], v[56:57]
	v_fma_f64 v[91:92], v[75:76], v[79:80], v[91:92]
	v_fma_f64 v[93:94], v[77:78], v[79:80], v[93:94]
	v_fma_f64 v[14:15], v[71:72], v[81:82], v[14:15]
	v_fma_f64 v[99:100], v[73:74], v[81:82], v[69:70]
	v_fma_f64 v[75:76], v[75:76], v[81:82], v[63:64]
	v_fma_f64 v[77:78], v[77:78], v[81:82], v[65:66]
	v_fma_f64 v[79:80], 0x80000000, v[81:82], v[67:68]
	v_fma_f64 v[56:57], 0x80000000, v[81:82], v[56:57]
	v_fma_f64 v[91:92], 0x80000000, v[81:82], v[91:92]
	v_fma_f64 v[93:94], 0x80000000, v[81:82], v[93:94]
	s_clause 0x1
	global_load_b128 v[63:66], v[97:98], off offset:80
	global_load_b128 v[67:70], v[97:98], off offset:64
	global_load_b128 v[71:74], v[95:96], off offset:32
	;; [unrolled: 21-line block ×3, first 2 shown]
	s_waitcnt vmcnt(12)
	v_fma_f64 v[14:15], v[40:41], 0, v[14:15]
	v_fma_f64 v[75:76], v[40:41], 0, v[75:76]
	v_fma_f64 v[77:78], v[32:33], v[40:41], v[77:78]
	v_fma_f64 v[56:57], v[34:35], v[40:41], v[56:57]
	v_fma_f64 v[79:80], v[40:41], 0, v[79:80]
	v_fma_f64 v[81:82], v[36:37], v[40:41], v[81:82]
	v_fma_f64 v[91:92], v[38:39], v[40:41], v[91:92]
	v_fma_f64 v[40:41], v[40:41], 0, v[93:94]
	v_fma_f64 v[14:15], v[32:33], v[42:43], v[14:15]
	v_fma_f64 v[36:37], v[36:37], v[42:43], v[75:76]
	v_fma_f64 v[77:78], 0x80000000, v[42:43], v[77:78]
	v_fma_f64 v[32:33], 0x80000000, v[42:43], v[56:57]
	v_fma_f64 v[34:35], v[34:35], v[42:43], v[79:80]
	v_fma_f64 v[56:57], 0x80000000, v[42:43], v[81:82]
	v_fma_f64 v[75:76], 0x80000000, v[42:43], v[91:92]
	v_fma_f64 v[38:39], v[38:39], v[42:43], v[40:41]
	s_waitcnt vmcnt(9)
	v_fma_f64 v[14:15], v[44:45], 0, v[14:15]
	v_fma_f64 v[36:37], v[44:45], 0, v[36:37]
	v_fma_f64 v[40:41], v[83:84], v[44:45], v[77:78]
	v_fma_f64 v[32:33], v[85:86], v[44:45], v[32:33]
	v_fma_f64 v[34:35], v[44:45], 0, v[34:35]
	v_fma_f64 v[42:43], v[87:88], v[44:45], v[56:57]
	v_fma_f64 v[56:57], v[89:90], v[44:45], v[75:76]
	v_fma_f64 v[38:39], v[44:45], 0, v[38:39]
	v_fma_f64 v[14:15], v[83:84], v[46:47], v[14:15]
	v_fma_f64 v[36:37], v[87:88], v[46:47], v[36:37]
	v_fma_f64 v[40:41], 0x80000000, v[46:47], v[40:41]
	v_fma_f64 v[32:33], 0x80000000, v[46:47], v[32:33]
	v_fma_f64 v[34:35], v[85:86], v[46:47], v[34:35]
	v_fma_f64 v[42:43], 0x80000000, v[46:47], v[42:43]
	v_fma_f64 v[44:45], 0x80000000, v[46:47], v[56:57]
	v_fma_f64 v[38:39], v[89:90], v[46:47], v[38:39]
	;; [unrolled: 17-line block ×5, first 2 shown]
	s_and_not1_b32 exec_lo, exec_lo, s7
	s_cbranch_execnz .LBB149_37
; %bb.38:
	s_or_b32 exec_lo, exec_lo, s7
.LBB149_39:
	s_delay_alu instid0(SALU_CYCLE_1)
	s_or_b32 exec_lo, exec_lo, s6
.LBB149_40:
	s_delay_alu instid0(SALU_CYCLE_1)
	s_or_b32 exec_lo, exec_lo, s1
.LBB149_41:
	v_mbcnt_lo_u32_b32 v48, -1, 0
	s_delay_alu instid0(VALU_DEP_1) | instskip(SKIP_1) | instid1(VALU_DEP_2)
	v_or_b32_e32 v0, 32, v48
	v_xor_b32_e32 v26, 16, v48
	v_cmp_gt_i32_e32 vcc_lo, 32, v0
	v_cndmask_b32_e32 v0, v48, v0, vcc_lo
	s_delay_alu instid0(VALU_DEP_3) | instskip(NEXT) | instid1(VALU_DEP_2)
	v_cmp_gt_i32_e32 vcc_lo, 32, v26
	v_dual_cndmask_b32 v26, v48, v26 :: v_dual_lshlrev_b32 v15, 2, v0
	ds_bpermute_b32 v0, v15, v42
	ds_bpermute_b32 v1, v15, v43
	;; [unrolled: 1-line block ×16, first 2 shown]
	s_waitcnt lgkmcnt(0)
	v_add_f64 v[0:1], v[42:43], v[0:1]
	v_add_f64 v[2:3], v[36:37], v[2:3]
	;; [unrolled: 1-line block ×6, first 2 shown]
	v_lshlrev_b32_e32 v41, 2, v26
	v_add_f64 v[12:13], v[32:33], v[12:13]
	v_add_f64 v[14:15], v[34:35], v[14:15]
	ds_bpermute_b32 v26, v41, v0
	ds_bpermute_b32 v27, v41, v1
	;; [unrolled: 1-line block ×16, first 2 shown]
	s_waitcnt lgkmcnt(14)
	v_add_f64 v[0:1], v[0:1], v[26:27]
	v_xor_b32_e32 v26, 8, v48
	s_waitcnt lgkmcnt(12)
	v_add_f64 v[2:3], v[2:3], v[28:29]
	s_waitcnt lgkmcnt(10)
	v_add_f64 v[4:5], v[4:5], v[30:31]
	;; [unrolled: 2-line block ×3, first 2 shown]
	v_cmp_gt_i32_e32 vcc_lo, 32, v26
	s_waitcnt lgkmcnt(6)
	v_add_f64 v[8:9], v[8:9], v[34:35]
	s_waitcnt lgkmcnt(4)
	v_add_f64 v[10:11], v[10:11], v[36:37]
	;; [unrolled: 2-line block ×3, first 2 shown]
	v_cndmask_b32_e32 v26, v48, v26, vcc_lo
	s_waitcnt lgkmcnt(0)
	v_add_f64 v[14:15], v[14:15], v[40:41]
	s_delay_alu instid0(VALU_DEP_2)
	v_lshlrev_b32_e32 v41, 2, v26
	ds_bpermute_b32 v26, v41, v0
	ds_bpermute_b32 v27, v41, v1
	;; [unrolled: 1-line block ×16, first 2 shown]
	s_waitcnt lgkmcnt(14)
	v_add_f64 v[0:1], v[0:1], v[26:27]
	v_xor_b32_e32 v26, 4, v48
	s_waitcnt lgkmcnt(12)
	v_add_f64 v[2:3], v[2:3], v[28:29]
	s_waitcnt lgkmcnt(10)
	v_add_f64 v[4:5], v[4:5], v[30:31]
	;; [unrolled: 2-line block ×3, first 2 shown]
	v_cmp_gt_i32_e32 vcc_lo, 32, v26
	s_waitcnt lgkmcnt(6)
	v_add_f64 v[8:9], v[8:9], v[34:35]
	s_waitcnt lgkmcnt(4)
	v_add_f64 v[10:11], v[10:11], v[36:37]
	s_waitcnt lgkmcnt(2)
	v_add_f64 v[12:13], v[12:13], v[38:39]
	v_cndmask_b32_e32 v26, v48, v26, vcc_lo
	s_waitcnt lgkmcnt(0)
	v_add_f64 v[14:15], v[14:15], v[40:41]
	s_delay_alu instid0(VALU_DEP_2)
	v_lshlrev_b32_e32 v41, 2, v26
	ds_bpermute_b32 v26, v41, v0
	ds_bpermute_b32 v27, v41, v1
	;; [unrolled: 1-line block ×16, first 2 shown]
	s_waitcnt lgkmcnt(14)
	v_add_f64 v[0:1], v[0:1], v[26:27]
	s_waitcnt lgkmcnt(12)
	v_add_f64 v[2:3], v[2:3], v[28:29]
	;; [unrolled: 2-line block ×8, first 2 shown]
	v_xor_b32_e32 v14, 2, v48
	s_delay_alu instid0(VALU_DEP_1) | instskip(SKIP_1) | instid1(VALU_DEP_1)
	v_cmp_gt_i32_e32 vcc_lo, 32, v14
	v_cndmask_b32_e32 v14, v48, v14, vcc_lo
	v_lshlrev_b32_e32 v41, 2, v14
	ds_bpermute_b32 v14, v41, v0
	ds_bpermute_b32 v15, v41, v1
	;; [unrolled: 1-line block ×16, first 2 shown]
	s_waitcnt lgkmcnt(14)
	v_add_f64 v[0:1], v[0:1], v[14:15]
	s_waitcnt lgkmcnt(12)
	v_add_f64 v[28:29], v[2:3], v[28:29]
	;; [unrolled: 2-line block ×7, first 2 shown]
	v_xor_b32_e32 v12, 1, v48
	s_waitcnt lgkmcnt(0)
	v_add_f64 v[8:9], v[26:27], v[40:41]
	s_delay_alu instid0(VALU_DEP_2) | instskip(SKIP_2) | instid1(VALU_DEP_2)
	v_cmp_gt_i32_e32 vcc_lo, 32, v12
	v_cndmask_b32_e32 v12, v48, v12, vcc_lo
	v_cmp_eq_u32_e32 vcc_lo, 63, v58
	v_lshlrev_b32_e32 v35, 2, v12
	ds_bpermute_b32 v12, v35, v0
	ds_bpermute_b32 v13, v35, v1
	ds_bpermute_b32 v40, v35, v28
	ds_bpermute_b32 v41, v35, v29
	ds_bpermute_b32 v26, v35, v2
	ds_bpermute_b32 v27, v35, v3
	ds_bpermute_b32 v38, v35, v14
	ds_bpermute_b32 v39, v35, v15
	ds_bpermute_b32 v30, v35, v4
	ds_bpermute_b32 v31, v35, v5
	ds_bpermute_b32 v36, v35, v10
	ds_bpermute_b32 v37, v35, v11
	ds_bpermute_b32 v32, v35, v6
	ds_bpermute_b32 v33, v35, v7
	ds_bpermute_b32 v34, v35, v8
	ds_bpermute_b32 v35, v35, v9
	s_and_b32 exec_lo, exec_lo, vcc_lo
	s_cbranch_execz .LBB149_12
; %bb.42:
	s_waitcnt lgkmcnt(12)
	v_add_f64 v[28:29], v[28:29], v[40:41]
	s_waitcnt lgkmcnt(8)
	v_add_f64 v[14:15], v[14:15], v[38:39]
	s_waitcnt lgkmcnt(4)
	v_add_f64 v[10:11], v[10:11], v[36:37]
	s_waitcnt lgkmcnt(0)
	v_add_f64 v[8:9], v[8:9], v[34:35]
	v_add_f64 v[0:1], v[0:1], v[12:13]
	v_add_f64 v[2:3], v[2:3], v[26:27]
	v_add_f64 v[26:27], v[4:5], v[30:31]
	v_add_f64 v[30:31], v[6:7], v[32:33]
	v_cmp_eq_f64_e32 vcc_lo, 0, v[16:17]
	v_cmp_eq_f64_e64 s0, 0, v[18:19]
	s_load_b64 s[2:3], s[2:3], 0x68
	v_mul_f64 v[4:5], v[28:29], -v[22:23]
	v_mul_f64 v[6:7], v[20:21], v[28:29]
	v_mul_f64 v[28:29], v[14:15], -v[22:23]
	v_mul_f64 v[32:33], v[20:21], v[14:15]
	;; [unrolled: 2-line block ×4, first 2 shown]
	s_and_b32 s0, vcc_lo, s0
	v_fma_f64 v[12:13], v[20:21], v[0:1], v[4:5]
	v_fma_f64 v[14:15], v[22:23], v[0:1], v[6:7]
	;; [unrolled: 1-line block ×8, first 2 shown]
	v_lshlrev_b64 v[20:21], 6, v[24:25]
	s_and_saveexec_b32 s1, s0
	s_delay_alu instid0(SALU_CYCLE_1)
	s_xor_b32 s0, exec_lo, s1
	s_cbranch_execz .LBB149_44
; %bb.43:
	s_waitcnt lgkmcnt(0)
	s_delay_alu instid0(VALU_DEP_1)
	v_add_co_u32 v16, vcc_lo, s2, v20
	v_add_co_ci_u32_e32 v17, vcc_lo, s3, v21, vcc_lo
                                        ; implicit-def: $vgpr18_vgpr19
                                        ; implicit-def: $vgpr20_vgpr21
	s_clause 0x3
	global_store_b128 v[16:17], v[12:15], off
	global_store_b128 v[16:17], v[8:11], off offset:16
	global_store_b128 v[16:17], v[4:7], off offset:32
	;; [unrolled: 1-line block ×3, first 2 shown]
                                        ; implicit-def: $vgpr16_vgpr17
                                        ; implicit-def: $vgpr12_vgpr13
                                        ; implicit-def: $vgpr8_vgpr9
                                        ; implicit-def: $vgpr4_vgpr5
                                        ; implicit-def: $vgpr0_vgpr1
.LBB149_44:
	s_and_not1_saveexec_b32 s0, s0
	s_cbranch_execz .LBB149_12
; %bb.45:
	s_waitcnt lgkmcnt(0)
	v_add_co_u32 v36, vcc_lo, s2, v20
	v_add_co_ci_u32_e32 v37, vcc_lo, s3, v21, vcc_lo
	s_clause 0x3
	global_load_b128 v[20:23], v[36:37], off
	global_load_b128 v[24:27], v[36:37], off offset:16
	global_load_b128 v[28:31], v[36:37], off offset:32
	;; [unrolled: 1-line block ×3, first 2 shown]
	s_waitcnt vmcnt(3)
	v_fma_f64 v[12:13], v[16:17], v[20:21], v[12:13]
	v_fma_f64 v[14:15], v[18:19], v[20:21], v[14:15]
	s_waitcnt vmcnt(2)
	v_fma_f64 v[8:9], v[16:17], v[24:25], v[8:9]
	v_fma_f64 v[10:11], v[18:19], v[24:25], v[10:11]
	;; [unrolled: 3-line block ×4, first 2 shown]
	v_fma_f64 v[0:1], -v[18:19], v[22:23], v[12:13]
	v_fma_f64 v[2:3], v[16:17], v[22:23], v[14:15]
	v_fma_f64 v[4:5], -v[18:19], v[26:27], v[8:9]
	v_fma_f64 v[6:7], v[16:17], v[26:27], v[10:11]
	;; [unrolled: 2-line block ×4, first 2 shown]
	s_clause 0x3
	global_store_b128 v[36:37], v[0:3], off
	global_store_b128 v[36:37], v[4:7], off offset:16
	global_store_b128 v[36:37], v[8:11], off offset:32
	;; [unrolled: 1-line block ×3, first 2 shown]
	s_nop 0
	s_sendmsg sendmsg(MSG_DEALLOC_VGPRS)
	s_endpgm
	.section	.rodata,"a",@progbits
	.p2align	6, 0x0
	.amdhsa_kernel _ZN9rocsparseL18bsrxmvn_4x4_kernelILj128ELj64E21rocsparse_complex_numIdElldS2_S2_EEvT3_20rocsparse_direction_NS_24const_host_device_scalarIT1_EES3_PKS3_PKT2_SC_S9_PKT4_PKT5_S7_PT6_21rocsparse_index_base_b
		.amdhsa_group_segment_fixed_size 2048
		.amdhsa_private_segment_fixed_size 0
		.amdhsa_kernarg_size 120
		.amdhsa_user_sgpr_count 15
		.amdhsa_user_sgpr_dispatch_ptr 1
		.amdhsa_user_sgpr_queue_ptr 0
		.amdhsa_user_sgpr_kernarg_segment_ptr 1
		.amdhsa_user_sgpr_dispatch_id 0
		.amdhsa_user_sgpr_private_segment_size 0
		.amdhsa_wavefront_size32 1
		.amdhsa_uses_dynamic_stack 0
		.amdhsa_enable_private_segment 0
		.amdhsa_system_sgpr_workgroup_id_x 1
		.amdhsa_system_sgpr_workgroup_id_y 0
		.amdhsa_system_sgpr_workgroup_id_z 0
		.amdhsa_system_sgpr_workgroup_info 0
		.amdhsa_system_vgpr_workitem_id 2
		.amdhsa_next_free_vgpr 121
		.amdhsa_next_free_sgpr 18
		.amdhsa_reserve_vcc 1
		.amdhsa_float_round_mode_32 0
		.amdhsa_float_round_mode_16_64 0
		.amdhsa_float_denorm_mode_32 3
		.amdhsa_float_denorm_mode_16_64 3
		.amdhsa_dx10_clamp 1
		.amdhsa_ieee_mode 1
		.amdhsa_fp16_overflow 0
		.amdhsa_workgroup_processor_mode 1
		.amdhsa_memory_ordered 1
		.amdhsa_forward_progress 0
		.amdhsa_shared_vgpr_count 0
		.amdhsa_exception_fp_ieee_invalid_op 0
		.amdhsa_exception_fp_denorm_src 0
		.amdhsa_exception_fp_ieee_div_zero 0
		.amdhsa_exception_fp_ieee_overflow 0
		.amdhsa_exception_fp_ieee_underflow 0
		.amdhsa_exception_fp_ieee_inexact 0
		.amdhsa_exception_int_div_zero 0
	.end_amdhsa_kernel
	.section	.text._ZN9rocsparseL18bsrxmvn_4x4_kernelILj128ELj64E21rocsparse_complex_numIdElldS2_S2_EEvT3_20rocsparse_direction_NS_24const_host_device_scalarIT1_EES3_PKS3_PKT2_SC_S9_PKT4_PKT5_S7_PT6_21rocsparse_index_base_b,"axG",@progbits,_ZN9rocsparseL18bsrxmvn_4x4_kernelILj128ELj64E21rocsparse_complex_numIdElldS2_S2_EEvT3_20rocsparse_direction_NS_24const_host_device_scalarIT1_EES3_PKS3_PKT2_SC_S9_PKT4_PKT5_S7_PT6_21rocsparse_index_base_b,comdat
.Lfunc_end149:
	.size	_ZN9rocsparseL18bsrxmvn_4x4_kernelILj128ELj64E21rocsparse_complex_numIdElldS2_S2_EEvT3_20rocsparse_direction_NS_24const_host_device_scalarIT1_EES3_PKS3_PKT2_SC_S9_PKT4_PKT5_S7_PT6_21rocsparse_index_base_b, .Lfunc_end149-_ZN9rocsparseL18bsrxmvn_4x4_kernelILj128ELj64E21rocsparse_complex_numIdElldS2_S2_EEvT3_20rocsparse_direction_NS_24const_host_device_scalarIT1_EES3_PKS3_PKT2_SC_S9_PKT4_PKT5_S7_PT6_21rocsparse_index_base_b
                                        ; -- End function
	.section	.AMDGPU.csdata,"",@progbits
; Kernel info:
; codeLenInByte = 11632
; NumSgprs: 20
; NumVgprs: 121
; ScratchSize: 0
; MemoryBound: 0
; FloatMode: 240
; IeeeMode: 1
; LDSByteSize: 2048 bytes/workgroup (compile time only)
; SGPRBlocks: 2
; VGPRBlocks: 15
; NumSGPRsForWavesPerEU: 20
; NumVGPRsForWavesPerEU: 121
; Occupancy: 10
; WaveLimiterHint : 1
; COMPUTE_PGM_RSRC2:SCRATCH_EN: 0
; COMPUTE_PGM_RSRC2:USER_SGPR: 15
; COMPUTE_PGM_RSRC2:TRAP_HANDLER: 0
; COMPUTE_PGM_RSRC2:TGID_X_EN: 1
; COMPUTE_PGM_RSRC2:TGID_Y_EN: 0
; COMPUTE_PGM_RSRC2:TGID_Z_EN: 0
; COMPUTE_PGM_RSRC2:TIDIG_COMP_CNT: 2
	.section	.text._ZN9rocsparseL18bsrxmvn_4x4_kernelILj128ELj4EdiifddEEvT3_20rocsparse_direction_NS_24const_host_device_scalarIT1_EES1_PKS1_PKT2_SA_S7_PKT4_PKT5_S5_PT6_21rocsparse_index_base_b,"axG",@progbits,_ZN9rocsparseL18bsrxmvn_4x4_kernelILj128ELj4EdiifddEEvT3_20rocsparse_direction_NS_24const_host_device_scalarIT1_EES1_PKS1_PKT2_SA_S7_PKT4_PKT5_S5_PT6_21rocsparse_index_base_b,comdat
	.globl	_ZN9rocsparseL18bsrxmvn_4x4_kernelILj128ELj4EdiifddEEvT3_20rocsparse_direction_NS_24const_host_device_scalarIT1_EES1_PKS1_PKT2_SA_S7_PKT4_PKT5_S5_PT6_21rocsparse_index_base_b ; -- Begin function _ZN9rocsparseL18bsrxmvn_4x4_kernelILj128ELj4EdiifddEEvT3_20rocsparse_direction_NS_24const_host_device_scalarIT1_EES1_PKS1_PKT2_SA_S7_PKT4_PKT5_S5_PT6_21rocsparse_index_base_b
	.p2align	8
	.type	_ZN9rocsparseL18bsrxmvn_4x4_kernelILj128ELj4EdiifddEEvT3_20rocsparse_direction_NS_24const_host_device_scalarIT1_EES1_PKS1_PKT2_SA_S7_PKT4_PKT5_S5_PT6_21rocsparse_index_base_b,@function
_ZN9rocsparseL18bsrxmvn_4x4_kernelILj128ELj4EdiifddEEvT3_20rocsparse_direction_NS_24const_host_device_scalarIT1_EES1_PKS1_PKT2_SA_S7_PKT4_PKT5_S5_PT6_21rocsparse_index_base_b: ; @_ZN9rocsparseL18bsrxmvn_4x4_kernelILj128ELj4EdiifddEEvT3_20rocsparse_direction_NS_24const_host_device_scalarIT1_EES1_PKS1_PKT2_SA_S7_PKT4_PKT5_S5_PT6_21rocsparse_index_base_b
; %bb.0:
	s_clause 0x2
	s_load_b64 s[12:13], s[0:1], 0x58
	s_load_b64 s[4:5], s[0:1], 0x8
	;; [unrolled: 1-line block ×3, first 2 shown]
	s_waitcnt lgkmcnt(0)
	s_bitcmp1_b32 s13, 0
	v_dual_mov_b32 v2, s4 :: v_dual_mov_b32 v3, s5
	s_cselect_b32 s6, -1, 0
	s_delay_alu instid0(SALU_CYCLE_1)
	s_and_b32 vcc_lo, exec_lo, s6
	s_xor_b32 s6, s6, -1
	s_cbranch_vccnz .LBB150_2
; %bb.1:
	v_dual_mov_b32 v1, s4 :: v_dual_mov_b32 v2, s5
	flat_load_b64 v[2:3], v[1:2]
.LBB150_2:
	v_dual_mov_b32 v9, s3 :: v_dual_mov_b32 v8, s2
	s_and_not1_b32 vcc_lo, exec_lo, s6
	s_cbranch_vccnz .LBB150_4
; %bb.3:
	v_dual_mov_b32 v5, s3 :: v_dual_mov_b32 v4, s2
	flat_load_b64 v[8:9], v[4:5]
.LBB150_4:
	s_waitcnt vmcnt(0) lgkmcnt(0)
	v_cmp_neq_f64_e32 vcc_lo, 0, v[2:3]
	v_cmp_neq_f64_e64 s2, 1.0, v[8:9]
	s_delay_alu instid0(VALU_DEP_1) | instskip(NEXT) | instid1(SALU_CYCLE_1)
	s_or_b32 s2, vcc_lo, s2
	s_and_saveexec_b32 s3, s2
	s_cbranch_execz .LBB150_10
; %bb.5:
	s_clause 0x1
	s_load_b64 s[4:5], s[0:1], 0x18
	s_load_b64 s[2:3], s[0:1], 0x0
	v_lshrrev_b32_e32 v1, 2, v0
	s_delay_alu instid0(VALU_DEP_1)
	v_lshl_or_b32 v10, s15, 5, v1
	s_waitcnt lgkmcnt(0)
	s_cmp_lg_u64 s[4:5], 0
	s_cbranch_scc0 .LBB150_11
; %bb.6:
	s_load_b32 s6, s[0:1], 0x10
	s_mov_b32 s7, 0
                                        ; implicit-def: $vgpr1
	s_waitcnt lgkmcnt(0)
	v_cmp_gt_i32_e32 vcc_lo, s6, v10
	s_mov_b32 s6, 0
	s_and_saveexec_b32 s8, vcc_lo
	s_delay_alu instid0(SALU_CYCLE_1)
	s_xor_b32 s8, exec_lo, s8
	s_cbranch_execz .LBB150_8
; %bb.7:
	v_ashrrev_i32_e32 v11, 31, v10
	s_mov_b32 s6, exec_lo
	s_delay_alu instid0(VALU_DEP_1) | instskip(NEXT) | instid1(VALU_DEP_1)
	v_lshlrev_b64 v[4:5], 2, v[10:11]
	v_add_co_u32 v4, vcc_lo, s4, v4
	s_delay_alu instid0(VALU_DEP_2)
	v_add_co_ci_u32_e32 v5, vcc_lo, s5, v5, vcc_lo
	global_load_b32 v1, v[4:5], off
	s_waitcnt vmcnt(0)
	v_subrev_nc_u32_e32 v1, s12, v1
.LBB150_8:
	s_or_b32 exec_lo, exec_lo, s8
	s_delay_alu instid0(SALU_CYCLE_1)
	s_and_b32 vcc_lo, exec_lo, s7
	s_cbranch_vccz .LBB150_12
.LBB150_9:
	v_cmp_gt_i32_e32 vcc_lo, s2, v10
	s_and_not1_b32 s2, s6, exec_lo
	s_and_b32 s4, vcc_lo, exec_lo
	s_delay_alu instid0(SALU_CYCLE_1) | instskip(NEXT) | instid1(SALU_CYCLE_1)
	s_or_b32 s6, s2, s4
	s_and_b32 exec_lo, exec_lo, s6
	s_cbranch_execnz .LBB150_13
.LBB150_10:
	s_nop 0
	s_sendmsg sendmsg(MSG_DEALLOC_VGPRS)
	s_endpgm
.LBB150_11:
	s_mov_b32 s6, 0
                                        ; implicit-def: $vgpr1
	s_cbranch_execnz .LBB150_9
.LBB150_12:
	s_delay_alu instid0(VALU_DEP_1)
	v_mov_b32_e32 v10, v1
	s_and_b32 exec_lo, exec_lo, s6
	s_cbranch_execz .LBB150_10
.LBB150_13:
	s_load_b256 s[4:11], s[0:1], 0x20
	s_delay_alu instid0(VALU_DEP_1) | instskip(SKIP_1) | instid1(VALU_DEP_2)
	v_ashrrev_i32_e32 v11, 31, v10
	v_and_b32_e32 v21, 3, v0
	v_lshlrev_b64 v[4:5], 2, v[10:11]
	s_waitcnt lgkmcnt(0)
	s_delay_alu instid0(VALU_DEP_1) | instskip(NEXT) | instid1(VALU_DEP_2)
	v_add_co_u32 v6, vcc_lo, s4, v4
	v_add_co_ci_u32_e32 v7, vcc_lo, s5, v5, vcc_lo
	v_add_co_u32 v1, vcc_lo, s6, v4
	v_add_co_ci_u32_e32 v4, vcc_lo, s7, v5, vcc_lo
	global_load_b32 v23, v[6:7], off
	v_add_co_u32 v6, vcc_lo, v6, 4
	v_add_co_ci_u32_e32 v5, vcc_lo, 0, v7, vcc_lo
	s_cmp_eq_u64 s[6:7], 0
	s_load_b64 s[4:5], s[0:1], 0x40
	s_cselect_b32 vcc_lo, -1, 0
	s_cmp_eq_u32 s3, 1
	v_dual_cndmask_b32 v5, v4, v5 :: v_dual_cndmask_b32 v4, v1, v6
	global_load_b32 v6, v[4:5], off
	s_waitcnt vmcnt(1)
	v_subrev_nc_u32_e32 v0, s12, v23
	s_delay_alu instid0(VALU_DEP_1) | instskip(NEXT) | instid1(VALU_DEP_1)
	v_add_nc_u32_e32 v0, v0, v21
	v_ashrrev_i32_e32 v1, 31, v0
	s_waitcnt vmcnt(0)
	v_subrev_nc_u32_e32 v22, s12, v6
	s_delay_alu instid0(VALU_DEP_2) | instskip(NEXT) | instid1(VALU_DEP_2)
	v_lshlrev_b64 v[4:5], 6, v[0:1]
	v_cmp_lt_i32_e64 s2, v0, v22
	s_delay_alu instid0(VALU_DEP_2) | instskip(NEXT) | instid1(VALU_DEP_3)
	v_add_co_u32 v4, vcc_lo, s10, v4
	v_add_co_ci_u32_e32 v5, vcc_lo, s11, v5, vcc_lo
	s_cbranch_scc1 .LBB150_25
; %bb.14:
	v_mov_b32_e32 v6, 0
	v_mov_b32_e32 v7, 0
	s_delay_alu instid0(VALU_DEP_1)
	v_dual_mov_b32 v14, v7 :: v_dual_mov_b32 v13, v6
	v_dual_mov_b32 v16, v7 :: v_dual_mov_b32 v15, v6
	;; [unrolled: 1-line block ×3, first 2 shown]
	s_and_saveexec_b32 s6, s2
	s_cbranch_execz .LBB150_24
; %bb.15:
	v_add_nc_u32_e32 v1, v23, v21
	v_mov_b32_e32 v11, 0
	v_mov_b32_e32 v12, 0
	v_not_b32_e32 v6, v23
	s_mov_b32 s10, 0
	v_subrev_nc_u32_e32 v1, s12, v1
	s_mov_b32 s7, exec_lo
	v_dual_mov_b32 v16, v12 :: v_dual_mov_b32 v15, v11
	s_delay_alu instid0(VALU_DEP_2) | instskip(SKIP_3) | instid1(VALU_DEP_4)
	v_dual_mov_b32 v14, v12 :: v_dual_add_nc_u32 v1, 4, v1
	v_dual_mov_b32 v13, v11 :: v_dual_mov_b32 v20, v5
	v_mov_b32_e32 v19, v4
	v_mov_b32_e32 v17, v0
	v_max_i32_e32 v1, v1, v22
	s_delay_alu instid0(VALU_DEP_1) | instskip(NEXT) | instid1(VALU_DEP_1)
	v_add3_u32 v1, v1, s12, v6
	v_sub_nc_u32_e32 v1, v1, v21
	s_delay_alu instid0(VALU_DEP_1) | instskip(NEXT) | instid1(VALU_DEP_1)
	v_lshrrev_b32_e32 v6, 2, v1
	v_add_nc_u32_e32 v6, 1, v6
	s_delay_alu instid0(VALU_DEP_1) | instskip(SKIP_1) | instid1(VALU_DEP_2)
	v_and_b32_e32 v18, 3, v6
	v_dual_mov_b32 v6, v11 :: v_dual_mov_b32 v7, v12
	v_cmpx_ne_u32_e32 0, v18
	s_cbranch_execz .LBB150_19
; %bb.16:
	v_mov_b32_e32 v6, 0
	v_dual_mov_b32 v7, 0 :: v_dual_lshlrev_b32 v24, 6, v18
	v_dual_mov_b32 v20, v5 :: v_dual_mov_b32 v17, v0
	s_delay_alu instid0(VALU_DEP_2) | instskip(NEXT) | instid1(VALU_DEP_4)
	v_dual_mov_b32 v19, v4 :: v_dual_mov_b32 v14, v7
	v_dual_mov_b32 v13, v6 :: v_dual_mov_b32 v16, v7
	;; [unrolled: 1-line block ×3, first 2 shown]
	v_mov_b32_e32 v11, v6
.LBB150_17:                             ; =>This Inner Loop Header: Depth=1
	v_ashrrev_i32_e32 v18, 31, v17
	v_subrev_nc_u32_e32 v24, 64, v24
	s_delay_alu instid0(VALU_DEP_2) | instskip(NEXT) | instid1(VALU_DEP_2)
	v_lshlrev_b64 v[25:26], 2, v[17:18]
	v_cmp_eq_u32_e64 s3, 0, v24
	v_add_nc_u32_e32 v17, 4, v17
	s_delay_alu instid0(VALU_DEP_2) | instskip(NEXT) | instid1(VALU_DEP_3)
	s_or_b32 s10, s3, s10
	v_add_co_u32 v25, vcc_lo, s8, v25
	s_delay_alu instid0(VALU_DEP_4)
	v_add_co_ci_u32_e32 v26, vcc_lo, s9, v26, vcc_lo
	global_load_b32 v18, v[25:26], off
	s_clause 0x3
	global_load_b128 v[25:28], v[19:20], off
	global_load_b128 v[29:32], v[19:20], off offset:16
	global_load_b128 v[33:36], v[19:20], off offset:32
	;; [unrolled: 1-line block ×3, first 2 shown]
	s_waitcnt vmcnt(4)
	v_subrev_nc_u32_e32 v18, s12, v18
	s_waitcnt vmcnt(3)
	v_cvt_f64_f32_e32 v[49:50], v25
	s_waitcnt vmcnt(2)
	v_cvt_f64_f32_e32 v[51:52], v29
	;; [unrolled: 2-line block ×4, first 2 shown]
	v_lshlrev_b32_e32 v41, 2, v18
	v_cvt_f64_f32_e32 v[25:26], v26
	v_cvt_f64_f32_e32 v[29:30], v30
	;; [unrolled: 1-line block ×4, first 2 shown]
	v_ashrrev_i32_e32 v42, 31, v41
	s_delay_alu instid0(VALU_DEP_1) | instskip(SKIP_1) | instid1(VALU_DEP_1)
	v_lshlrev_b64 v[41:42], 3, v[41:42]
	s_waitcnt lgkmcnt(0)
	v_add_co_u32 v45, vcc_lo, s4, v41
	s_delay_alu instid0(VALU_DEP_2)
	v_add_co_ci_u32_e32 v46, vcc_lo, s5, v42, vcc_lo
	v_add_co_u32 v19, vcc_lo, 0x100, v19
	s_clause 0x1
	global_load_b128 v[41:44], v[45:46], off
	global_load_b128 v[45:48], v[45:46], off offset:16
	v_add_co_ci_u32_e32 v20, vcc_lo, 0, v20, vcc_lo
	s_waitcnt vmcnt(1)
	v_fma_f64 v[11:12], v[49:50], v[41:42], v[11:12]
	v_fma_f64 v[15:16], v[51:52], v[41:42], v[15:16]
	;; [unrolled: 1-line block ×4, first 2 shown]
	v_cvt_f64_f32_e32 v[41:42], v27
	v_cvt_f64_f32_e32 v[49:50], v31
	;; [unrolled: 1-line block ×4, first 2 shown]
	v_fma_f64 v[11:12], v[25:26], v[43:44], v[11:12]
	v_fma_f64 v[15:16], v[29:30], v[43:44], v[15:16]
	;; [unrolled: 1-line block ×4, first 2 shown]
	v_cvt_f64_f32_e32 v[25:26], v28
	v_cvt_f64_f32_e32 v[27:28], v32
	;; [unrolled: 1-line block ×4, first 2 shown]
	s_waitcnt vmcnt(0)
	v_fma_f64 v[11:12], v[41:42], v[45:46], v[11:12]
	v_fma_f64 v[15:16], v[49:50], v[45:46], v[15:16]
	;; [unrolled: 1-line block ×4, first 2 shown]
	s_delay_alu instid0(VALU_DEP_4) | instskip(NEXT) | instid1(VALU_DEP_4)
	v_fma_f64 v[11:12], v[25:26], v[47:48], v[11:12]
	v_fma_f64 v[15:16], v[27:28], v[47:48], v[15:16]
	s_delay_alu instid0(VALU_DEP_4) | instskip(NEXT) | instid1(VALU_DEP_4)
	v_fma_f64 v[13:14], v[29:30], v[47:48], v[13:14]
	v_fma_f64 v[6:7], v[31:32], v[47:48], v[6:7]
	s_and_not1_b32 exec_lo, exec_lo, s10
	s_cbranch_execnz .LBB150_17
; %bb.18:
	s_or_b32 exec_lo, exec_lo, s10
.LBB150_19:
	s_delay_alu instid0(SALU_CYCLE_1) | instskip(NEXT) | instid1(SALU_CYCLE_1)
	s_or_b32 exec_lo, exec_lo, s7
	s_mov_b32 s7, exec_lo
	v_cmpx_lt_u32_e32 11, v1
	s_cbranch_execz .LBB150_23
; %bb.20:
	s_mov_b32 s10, 0
.LBB150_21:                             ; =>This Inner Loop Header: Depth=1
	v_ashrrev_i32_e32 v18, 31, v17
	s_delay_alu instid0(VALU_DEP_1) | instskip(SKIP_1) | instid1(VALU_DEP_2)
	v_lshlrev_b64 v[24:25], 2, v[17:18]
	v_add_nc_u32_e32 v17, 16, v17
	v_add_co_u32 v40, vcc_lo, s8, v24
	s_delay_alu instid0(VALU_DEP_3)
	v_add_co_ci_u32_e32 v41, vcc_lo, s9, v25, vcc_lo
	s_clause 0x1
	global_load_b32 v1, v[40:41], off
	global_load_b32 v18, v[40:41], off offset:16
	s_clause 0x3
	global_load_b128 v[24:27], v[19:20], off
	global_load_b128 v[28:31], v[19:20], off offset:16
	global_load_b128 v[32:35], v[19:20], off offset:32
	;; [unrolled: 1-line block ×3, first 2 shown]
	s_clause 0x1
	global_load_b32 v90, v[40:41], off offset:32
	global_load_b32 v104, v[40:41], off offset:48
	s_waitcnt vmcnt(7)
	v_subrev_nc_u32_e32 v1, s12, v1
	s_waitcnt vmcnt(5)
	v_cvt_f64_f32_e32 v[88:89], v24
	s_waitcnt vmcnt(4)
	v_cvt_f64_f32_e32 v[92:93], v28
	;; [unrolled: 2-line block ×3, first 2 shown]
	v_lshlrev_b32_e32 v40, 2, v1
	v_subrev_nc_u32_e32 v1, s12, v18
	s_waitcnt vmcnt(2)
	v_cvt_f64_f32_e32 v[96:97], v36
	v_cvt_f64_f32_e32 v[24:25], v25
	;; [unrolled: 1-line block ×3, first 2 shown]
	v_ashrrev_i32_e32 v41, 31, v40
	v_lshlrev_b32_e32 v64, 2, v1
	s_waitcnt vmcnt(1)
	v_subrev_nc_u32_e32 v1, s12, v90
	v_cvt_f64_f32_e32 v[32:33], v33
	v_cvt_f64_f32_e32 v[36:37], v37
	v_lshlrev_b64 v[40:41], 3, v[40:41]
	v_ashrrev_i32_e32 v65, 31, v64
	v_lshlrev_b32_e32 v90, 2, v1
	v_cvt_f64_f32_e32 v[100:101], v39
	s_waitcnt vmcnt(0)
	v_subrev_nc_u32_e32 v1, s12, v104
	v_lshlrev_b64 v[64:65], 3, v[64:65]
	s_waitcnt lgkmcnt(0)
	v_add_co_u32 v44, vcc_lo, s4, v40
	v_add_co_ci_u32_e32 v45, vcc_lo, s5, v41, vcc_lo
	v_ashrrev_i32_e32 v91, 31, v90
	s_delay_alu instid0(VALU_DEP_4)
	v_add_co_u32 v68, vcc_lo, s4, v64
	s_clause 0x1
	global_load_b128 v[40:43], v[44:45], off
	global_load_b128 v[44:47], v[44:45], off offset:16
	s_clause 0x3
	global_load_b128 v[48:51], v[19:20], off offset:256
	global_load_b128 v[52:55], v[19:20], off offset:272
	;; [unrolled: 1-line block ×4, first 2 shown]
	v_add_co_ci_u32_e32 v69, vcc_lo, s5, v65, vcc_lo
	v_lshlrev_b64 v[90:91], 3, v[90:91]
	s_clause 0x1
	global_load_b128 v[64:67], v[68:69], off
	global_load_b128 v[68:71], v[68:69], off offset:16
	s_clause 0x3
	global_load_b128 v[72:75], v[19:20], off offset:528
	global_load_b128 v[76:79], v[19:20], off offset:512
	;; [unrolled: 1-line block ×4, first 2 shown]
	v_add_co_u32 v98, vcc_lo, s4, v90
	v_add_co_ci_u32_e32 v99, vcc_lo, s5, v91, vcc_lo
	s_waitcnt vmcnt(11)
	v_fma_f64 v[11:12], v[88:89], v[40:41], v[11:12]
	global_load_b128 v[88:91], v[98:99], off
	v_fma_f64 v[15:16], v[92:93], v[40:41], v[15:16]
	v_fma_f64 v[13:14], v[94:95], v[40:41], v[13:14]
	;; [unrolled: 1-line block ×3, first 2 shown]
	v_cvt_f64_f32_e32 v[40:41], v26
	v_cvt_f64_f32_e32 v[92:93], v34
	;; [unrolled: 1-line block ×4, first 2 shown]
	s_waitcnt vmcnt(9)
	v_cvt_f64_f32_e32 v[102:103], v52
	v_cvt_f64_f32_e32 v[52:53], v53
	v_fma_f64 v[24:25], v[24:25], v[42:43], v[11:12]
	v_fma_f64 v[15:16], v[28:29], v[42:43], v[15:16]
	v_cvt_f64_f32_e32 v[28:29], v30
	v_fma_f64 v[32:33], v[32:33], v[42:43], v[13:14]
	global_load_b128 v[11:14], v[98:99], off offset:16
	v_fma_f64 v[6:7], v[36:37], v[42:43], v[6:7]
	v_cvt_f64_f32_e32 v[36:37], v38
	v_cvt_f64_f32_e32 v[42:43], v27
	v_fma_f64 v[40:41], v[40:41], v[44:45], v[24:25]
	v_fma_f64 v[15:16], v[28:29], v[44:45], v[15:16]
	;; [unrolled: 1-line block ×4, first 2 shown]
	s_clause 0x3
	global_load_b128 v[24:27], v[19:20], off offset:768
	global_load_b128 v[28:31], v[19:20], off offset:784
	global_load_b128 v[32:35], v[19:20], off offset:800
	global_load_b128 v[36:39], v[19:20], off offset:816
	v_cvt_f64_f32_e32 v[44:45], v48
	v_cvt_f64_f32_e32 v[48:49], v49
	v_add_co_u32 v19, s3, 0x400, v19
	s_delay_alu instid0(VALU_DEP_1)
	v_add_co_ci_u32_e64 v20, s3, 0, v20, s3
	v_fma_f64 v[98:99], v[42:43], v[46:47], v[40:41]
	v_lshlrev_b32_e32 v40, 2, v1
	v_fma_f64 v[15:16], v[94:95], v[46:47], v[15:16]
	s_waitcnt vmcnt(13)
	v_cvt_f64_f32_e32 v[94:95], v56
	v_fma_f64 v[92:93], v[96:97], v[46:47], v[92:93]
	s_waitcnt vmcnt(12)
	v_cvt_f64_f32_e32 v[96:97], v60
	v_fma_f64 v[6:7], v[100:101], v[46:47], v[6:7]
	v_ashrrev_i32_e32 v41, 31, v40
	v_cvt_f64_f32_e32 v[56:57], v57
	v_cvt_f64_f32_e32 v[60:61], v61
	s_delay_alu instid0(VALU_DEP_3) | instskip(NEXT) | instid1(VALU_DEP_1)
	v_lshlrev_b64 v[40:41], 3, v[40:41]
	v_add_co_u32 v46, vcc_lo, s4, v40
	s_delay_alu instid0(VALU_DEP_2)
	v_add_co_ci_u32_e32 v47, vcc_lo, s5, v41, vcc_lo
	v_cmp_ge_i32_e32 vcc_lo, v17, v22
	global_load_b128 v[40:43], v[46:47], off
	s_or_b32 s10, vcc_lo, s10
	s_waitcnt vmcnt(12)
	v_fma_f64 v[44:45], v[44:45], v[64:65], v[98:99]
	v_fma_f64 v[15:16], v[102:103], v[64:65], v[15:16]
	;; [unrolled: 1-line block ×4, first 2 shown]
	v_cvt_f64_f32_e32 v[64:65], v50
	v_cvt_f64_f32_e32 v[50:51], v51
	v_fma_f64 v[48:49], v[48:49], v[66:67], v[44:45]
	global_load_b128 v[44:47], v[46:47], off offset:16
	v_fma_f64 v[15:16], v[52:53], v[66:67], v[15:16]
	v_cvt_f64_f32_e32 v[52:53], v54
	v_fma_f64 v[56:57], v[56:57], v[66:67], v[92:93]
	v_cvt_f64_f32_e32 v[92:93], v58
	;; [unrolled: 2-line block ×3, first 2 shown]
	v_cvt_f64_f32_e32 v[54:55], v55
	v_cvt_f64_f32_e32 v[58:59], v59
	;; [unrolled: 1-line block ×3, first 2 shown]
	s_waitcnt vmcnt(9)
	v_cvt_f64_f32_e32 v[66:67], v80
	v_fma_f64 v[48:49], v[64:65], v[68:69], v[48:49]
	s_waitcnt vmcnt(8)
	v_cvt_f64_f32_e32 v[64:65], v84
	v_fma_f64 v[15:16], v[52:53], v[68:69], v[15:16]
	v_fma_f64 v[52:53], v[92:93], v[68:69], v[56:57]
	v_cvt_f64_f32_e32 v[56:57], v76
	v_fma_f64 v[6:7], v[60:61], v[68:69], v[6:7]
	v_cvt_f64_f32_e32 v[60:61], v72
	v_fma_f64 v[48:49], v[50:51], v[70:71], v[48:49]
	v_fma_f64 v[15:16], v[54:55], v[70:71], v[15:16]
	v_cvt_f64_f32_e32 v[54:55], v73
	v_fma_f64 v[50:51], v[58:59], v[70:71], v[52:53]
	v_cvt_f64_f32_e32 v[52:53], v77
	;; [unrolled: 2-line block ×3, first 2 shown]
	v_cvt_f64_f32_e32 v[62:63], v81
	s_waitcnt vmcnt(7)
	v_fma_f64 v[48:49], v[56:57], v[88:89], v[48:49]
	v_fma_f64 v[15:16], v[60:61], v[88:89], v[15:16]
	;; [unrolled: 1-line block ×4, first 2 shown]
	v_cvt_f64_f32_e32 v[56:57], v78
	v_cvt_f64_f32_e32 v[60:61], v74
	;; [unrolled: 1-line block ×4, first 2 shown]
	v_fma_f64 v[48:49], v[52:53], v[90:91], v[48:49]
	v_fma_f64 v[15:16], v[54:55], v[90:91], v[15:16]
	;; [unrolled: 1-line block ×4, first 2 shown]
	v_cvt_f64_f32_e32 v[52:53], v79
	v_cvt_f64_f32_e32 v[54:55], v75
	;; [unrolled: 1-line block ×4, first 2 shown]
	s_waitcnt vmcnt(6)
	v_fma_f64 v[48:49], v[56:57], v[11:12], v[48:49]
	v_fma_f64 v[15:16], v[60:61], v[11:12], v[15:16]
	;; [unrolled: 1-line block ×4, first 2 shown]
	s_waitcnt vmcnt(5)
	v_cvt_f64_f32_e32 v[11:12], v24
	s_waitcnt vmcnt(4)
	v_cvt_f64_f32_e32 v[56:57], v28
	s_waitcnt vmcnt(3)
	v_cvt_f64_f32_e32 v[60:61], v32
	s_waitcnt vmcnt(2)
	v_cvt_f64_f32_e32 v[64:65], v36
	v_fma_f64 v[48:49], v[52:53], v[13:14], v[48:49]
	v_fma_f64 v[15:16], v[54:55], v[13:14], v[15:16]
	;; [unrolled: 1-line block ×4, first 2 shown]
	v_cvt_f64_f32_e32 v[13:14], v25
	v_cvt_f64_f32_e32 v[24:25], v29
	;; [unrolled: 1-line block ×5, first 2 shown]
	s_waitcnt vmcnt(1)
	v_fma_f64 v[11:12], v[11:12], v[40:41], v[48:49]
	v_fma_f64 v[15:16], v[56:57], v[40:41], v[15:16]
	v_fma_f64 v[36:37], v[60:61], v[40:41], v[50:51]
	v_fma_f64 v[6:7], v[64:65], v[40:41], v[6:7]
	v_cvt_f64_f32_e32 v[40:41], v26
	v_cvt_f64_f32_e32 v[48:49], v30
	v_cvt_f64_f32_e32 v[50:51], v34
	v_fma_f64 v[11:12], v[13:14], v[42:43], v[11:12]
	v_fma_f64 v[13:14], v[24:25], v[42:43], v[15:16]
	;; [unrolled: 1-line block ×4, first 2 shown]
	v_cvt_f64_f32_e32 v[24:25], v27
	v_cvt_f64_f32_e32 v[26:27], v31
	;; [unrolled: 1-line block ×4, first 2 shown]
	s_waitcnt vmcnt(0)
	v_fma_f64 v[11:12], v[40:41], v[44:45], v[11:12]
	v_fma_f64 v[13:14], v[48:49], v[44:45], v[13:14]
	;; [unrolled: 1-line block ×4, first 2 shown]
	s_delay_alu instid0(VALU_DEP_4) | instskip(NEXT) | instid1(VALU_DEP_4)
	v_fma_f64 v[11:12], v[24:25], v[46:47], v[11:12]
	v_fma_f64 v[15:16], v[26:27], v[46:47], v[13:14]
	s_delay_alu instid0(VALU_DEP_4) | instskip(NEXT) | instid1(VALU_DEP_4)
	v_fma_f64 v[13:14], v[28:29], v[46:47], v[32:33]
	v_fma_f64 v[6:7], v[30:31], v[46:47], v[6:7]
	s_and_not1_b32 exec_lo, exec_lo, s10
	s_cbranch_execnz .LBB150_21
; %bb.22:
	s_or_b32 exec_lo, exec_lo, s10
.LBB150_23:
	s_delay_alu instid0(SALU_CYCLE_1)
	s_or_b32 exec_lo, exec_lo, s7
.LBB150_24:
	s_delay_alu instid0(SALU_CYCLE_1)
	s_or_b32 exec_lo, exec_lo, s6
	s_cbranch_execz .LBB150_26
	s_branch .LBB150_37
.LBB150_25:
                                        ; implicit-def: $vgpr6_vgpr7
                                        ; implicit-def: $vgpr13_vgpr14
                                        ; implicit-def: $vgpr15_vgpr16
                                        ; implicit-def: $vgpr11_vgpr12
.LBB150_26:
	v_mov_b32_e32 v6, 0
	v_mov_b32_e32 v7, 0
	s_delay_alu instid0(VALU_DEP_1)
	v_dual_mov_b32 v14, v7 :: v_dual_mov_b32 v13, v6
	v_dual_mov_b32 v16, v7 :: v_dual_mov_b32 v15, v6
	v_dual_mov_b32 v12, v7 :: v_dual_mov_b32 v11, v6
	s_and_saveexec_b32 s3, s2
	s_cbranch_execz .LBB150_36
; %bb.27:
	v_add_nc_u32_e32 v1, v23, v21
	v_mov_b32_e32 v11, 0
	v_mov_b32_e32 v12, 0
	v_not_b32_e32 v6, v23
	s_mov_b32 s7, 0
	v_subrev_nc_u32_e32 v1, s12, v1
	s_mov_b32 s6, exec_lo
	v_dual_mov_b32 v16, v12 :: v_dual_mov_b32 v15, v11
	s_delay_alu instid0(VALU_DEP_2) | instskip(SKIP_1) | instid1(VALU_DEP_2)
	v_dual_mov_b32 v14, v12 :: v_dual_add_nc_u32 v1, 4, v1
	v_mov_b32_e32 v13, v11
	v_max_i32_e32 v1, v1, v22
	s_delay_alu instid0(VALU_DEP_1) | instskip(SKIP_1) | instid1(VALU_DEP_2)
	v_add3_u32 v1, v1, s12, v6
	v_dual_mov_b32 v6, v11 :: v_dual_mov_b32 v7, v12
	v_sub_nc_u32_e32 v17, v1, v21
	s_delay_alu instid0(VALU_DEP_1) | instskip(NEXT) | instid1(VALU_DEP_1)
	v_lshrrev_b32_e32 v1, 2, v17
	v_add_nc_u32_e32 v1, 1, v1
	s_delay_alu instid0(VALU_DEP_1) | instskip(NEXT) | instid1(VALU_DEP_1)
	v_and_b32_e32 v1, 3, v1
	v_cmpx_ne_u32_e32 0, v1
	s_cbranch_execz .LBB150_31
; %bb.28:
	v_mov_b32_e32 v6, 0
	v_dual_mov_b32 v7, 0 :: v_dual_lshlrev_b32 v18, 6, v1
	s_delay_alu instid0(VALU_DEP_1)
	v_dual_mov_b32 v14, v7 :: v_dual_mov_b32 v13, v6
	v_dual_mov_b32 v16, v7 :: v_dual_mov_b32 v15, v6
	;; [unrolled: 1-line block ×3, first 2 shown]
.LBB150_29:                             ; =>This Inner Loop Header: Depth=1
	v_ashrrev_i32_e32 v1, 31, v0
	v_subrev_nc_u32_e32 v18, 64, v18
	s_delay_alu instid0(VALU_DEP_2) | instskip(NEXT) | instid1(VALU_DEP_2)
	v_lshlrev_b64 v[19:20], 2, v[0:1]
	v_cmp_eq_u32_e64 s2, 0, v18
	v_add_nc_u32_e32 v0, 4, v0
	s_delay_alu instid0(VALU_DEP_2) | instskip(NEXT) | instid1(VALU_DEP_3)
	s_or_b32 s7, s2, s7
	v_add_co_u32 v19, vcc_lo, s8, v19
	s_delay_alu instid0(VALU_DEP_4)
	v_add_co_ci_u32_e32 v20, vcc_lo, s9, v20, vcc_lo
	global_load_b32 v1, v[19:20], off
	s_clause 0x1
	global_load_b128 v[23:26], v[4:5], off
	global_load_b128 v[27:30], v[4:5], off offset:16
	s_waitcnt vmcnt(2)
	v_subrev_nc_u32_e32 v1, s12, v1
	s_waitcnt vmcnt(1)
	v_cvt_f64_f32_e32 v[47:48], v25
	v_cvt_f64_f32_e32 v[25:26], v26
	s_waitcnt vmcnt(0)
	v_cvt_f64_f32_e32 v[49:50], v27
	v_cvt_f64_f32_e32 v[27:28], v28
	v_lshlrev_b32_e32 v19, 2, v1
	v_cvt_f64_f32_e32 v[51:52], v29
	v_cvt_f64_f32_e32 v[29:30], v30
	s_delay_alu instid0(VALU_DEP_3) | instskip(NEXT) | instid1(VALU_DEP_1)
	v_ashrrev_i32_e32 v20, 31, v19
	v_lshlrev_b64 v[19:20], 3, v[19:20]
	s_waitcnt lgkmcnt(0)
	s_delay_alu instid0(VALU_DEP_1) | instskip(NEXT) | instid1(VALU_DEP_2)
	v_add_co_u32 v19, vcc_lo, s4, v19
	v_add_co_ci_u32_e32 v20, vcc_lo, s5, v20, vcc_lo
	s_clause 0x1
	global_load_b128 v[31:34], v[19:20], off
	global_load_b128 v[35:38], v[19:20], off offset:16
	s_clause 0x1
	global_load_b128 v[39:42], v[4:5], off offset:32
	global_load_b128 v[43:46], v[4:5], off offset:48
	v_cvt_f64_f32_e32 v[19:20], v23
	v_cvt_f64_f32_e32 v[23:24], v24
	v_add_co_u32 v4, vcc_lo, 0x100, v4
	v_add_co_ci_u32_e32 v5, vcc_lo, 0, v5, vcc_lo
	s_waitcnt vmcnt(3)
	s_delay_alu instid0(VALU_DEP_4) | instskip(NEXT) | instid1(VALU_DEP_4)
	v_fma_f64 v[11:12], v[19:20], v[31:32], v[11:12]
	v_fma_f64 v[15:16], v[23:24], v[31:32], v[15:16]
	;; [unrolled: 1-line block ×4, first 2 shown]
	s_waitcnt vmcnt(1)
	v_cvt_f64_f32_e32 v[19:20], v39
	v_cvt_f64_f32_e32 v[23:24], v40
	;; [unrolled: 1-line block ×4, first 2 shown]
	s_waitcnt vmcnt(0)
	v_cvt_f64_f32_e32 v[39:40], v46
	v_fma_f64 v[11:12], v[49:50], v[33:34], v[11:12]
	v_fma_f64 v[15:16], v[27:28], v[33:34], v[15:16]
	;; [unrolled: 1-line block ×4, first 2 shown]
	v_cvt_f64_f32_e32 v[27:28], v43
	v_cvt_f64_f32_e32 v[29:30], v44
	;; [unrolled: 1-line block ×3, first 2 shown]
	v_fma_f64 v[11:12], v[19:20], v[35:36], v[11:12]
	v_fma_f64 v[15:16], v[23:24], v[35:36], v[15:16]
	;; [unrolled: 1-line block ×4, first 2 shown]
	s_delay_alu instid0(VALU_DEP_4) | instskip(NEXT) | instid1(VALU_DEP_4)
	v_fma_f64 v[11:12], v[27:28], v[37:38], v[11:12]
	v_fma_f64 v[15:16], v[29:30], v[37:38], v[15:16]
	s_delay_alu instid0(VALU_DEP_4) | instskip(NEXT) | instid1(VALU_DEP_4)
	v_fma_f64 v[13:14], v[33:34], v[37:38], v[13:14]
	v_fma_f64 v[6:7], v[39:40], v[37:38], v[6:7]
	s_and_not1_b32 exec_lo, exec_lo, s7
	s_cbranch_execnz .LBB150_29
; %bb.30:
	s_or_b32 exec_lo, exec_lo, s7
.LBB150_31:
	s_delay_alu instid0(SALU_CYCLE_1) | instskip(NEXT) | instid1(SALU_CYCLE_1)
	s_or_b32 exec_lo, exec_lo, s6
	s_mov_b32 s6, exec_lo
	v_cmpx_lt_u32_e32 11, v17
	s_cbranch_execz .LBB150_35
; %bb.32:
	s_mov_b32 s7, 0
.LBB150_33:                             ; =>This Inner Loop Header: Depth=1
	v_ashrrev_i32_e32 v1, 31, v0
	s_delay_alu instid0(VALU_DEP_1) | instskip(SKIP_1) | instid1(VALU_DEP_2)
	v_lshlrev_b64 v[17:18], 2, v[0:1]
	v_add_nc_u32_e32 v0, 16, v0
	v_add_co_u32 v23, vcc_lo, s8, v17
	s_delay_alu instid0(VALU_DEP_3)
	v_add_co_ci_u32_e32 v24, vcc_lo, s9, v18, vcc_lo
	s_clause 0x2
	global_load_b32 v1, v[23:24], off
	global_load_b32 v47, v[23:24], off offset:16
	global_load_b32 v71, v[23:24], off offset:32
	global_load_b128 v[17:20], v[4:5], off
	global_load_b32 v89, v[23:24], off offset:48
	s_waitcnt vmcnt(4)
	v_subrev_nc_u32_e32 v1, s12, v1
	s_waitcnt vmcnt(1)
	v_cvt_f64_f32_e32 v[75:76], v17
	v_cvt_f64_f32_e32 v[77:78], v18
	s_delay_alu instid0(VALU_DEP_3) | instskip(SKIP_3) | instid1(VALU_DEP_4)
	v_lshlrev_b32_e32 v23, 2, v1
	v_subrev_nc_u32_e32 v1, s12, v47
	v_cvt_f64_f32_e32 v[79:80], v19
	v_cvt_f64_f32_e32 v[81:82], v20
	v_ashrrev_i32_e32 v24, 31, v23
	s_delay_alu instid0(VALU_DEP_4) | instskip(SKIP_1) | instid1(VALU_DEP_3)
	v_lshlrev_b32_e32 v47, 2, v1
	v_subrev_nc_u32_e32 v1, s12, v71
	v_lshlrev_b64 v[23:24], 3, v[23:24]
	s_delay_alu instid0(VALU_DEP_3) | instskip(NEXT) | instid1(VALU_DEP_3)
	v_ashrrev_i32_e32 v48, 31, v47
	v_lshlrev_b32_e32 v17, 2, v1
	s_waitcnt vmcnt(0)
	v_subrev_nc_u32_e32 v1, s12, v89
	s_delay_alu instid0(VALU_DEP_3)
	v_lshlrev_b64 v[47:48], 3, v[47:48]
	s_waitcnt lgkmcnt(0)
	v_add_co_u32 v39, vcc_lo, s4, v23
	v_add_co_ci_u32_e32 v40, vcc_lo, s5, v24, vcc_lo
	v_ashrrev_i32_e32 v18, 31, v17
	global_load_b128 v[23:26], v[4:5], off offset:16
	global_load_b128 v[27:30], v[39:40], off
	s_clause 0x1
	global_load_b128 v[31:34], v[4:5], off offset:32
	global_load_b128 v[35:38], v[4:5], off offset:48
	global_load_b128 v[39:42], v[39:40], off offset:16
	global_load_b128 v[43:46], v[4:5], off offset:256
	v_add_co_u32 v63, vcc_lo, s4, v47
	v_add_co_ci_u32_e32 v64, vcc_lo, s5, v48, vcc_lo
	global_load_b128 v[47:50], v[4:5], off offset:272
	global_load_b128 v[51:54], v[63:64], off
	s_clause 0x1
	global_load_b128 v[55:58], v[4:5], off offset:288
	global_load_b128 v[59:62], v[4:5], off offset:304
	;; [unrolled: 1-line block ×4, first 2 shown]
	v_lshlrev_b64 v[17:18], 3, v[17:18]
	s_delay_alu instid0(VALU_DEP_1) | instskip(NEXT) | instid1(VALU_DEP_2)
	v_add_co_u32 v83, vcc_lo, s4, v17
	v_add_co_ci_u32_e32 v84, vcc_lo, s5, v18, vcc_lo
	global_load_b128 v[17:20], v[4:5], off offset:528
	global_load_b128 v[71:74], v[83:84], off
	s_waitcnt vmcnt(13)
	v_cvt_f64_f32_e32 v[85:86], v23
	v_cvt_f64_f32_e32 v[23:24], v24
	v_cvt_f64_f32_e32 v[87:88], v25
	v_cvt_f64_f32_e32 v[25:26], v26
	s_waitcnt vmcnt(12)
	v_fma_f64 v[75:76], v[75:76], v[27:28], v[11:12]
	v_fma_f64 v[15:16], v[77:78], v[27:28], v[15:16]
	;; [unrolled: 1-line block ×4, first 2 shown]
	global_load_b128 v[11:14], v[4:5], off offset:544
	s_waitcnt vmcnt(12)
	v_cvt_f64_f32_e32 v[79:80], v31
	v_cvt_f64_f32_e32 v[31:32], v32
	;; [unrolled: 1-line block ×4, first 2 shown]
	v_fma_f64 v[75:76], v[85:86], v[29:30], v[75:76]
	v_fma_f64 v[15:16], v[23:24], v[29:30], v[15:16]
	;; [unrolled: 1-line block ×4, first 2 shown]
	global_load_b128 v[23:26], v[4:5], off offset:560
	global_load_b128 v[27:30], v[83:84], off offset:16
	s_waitcnt vmcnt(13)
	v_cvt_f64_f32_e32 v[83:84], v35
	v_cvt_f64_f32_e32 v[35:36], v36
	;; [unrolled: 1-line block ×4, first 2 shown]
	s_waitcnt vmcnt(10)
	v_cvt_f64_f32_e32 v[87:88], v49
	v_cvt_f64_f32_e32 v[49:50], v50
	v_fma_f64 v[75:76], v[79:80], v[39:40], v[75:76]
	v_fma_f64 v[15:16], v[31:32], v[39:40], v[15:16]
	;; [unrolled: 1-line block ×4, first 2 shown]
	global_load_b128 v[31:34], v[4:5], off offset:768
	v_cvt_f64_f32_e32 v[79:80], v43
	v_cvt_f64_f32_e32 v[43:44], v44
	;; [unrolled: 1-line block ×4, first 2 shown]
	v_lshlrev_b32_e32 v39, 2, v1
	s_delay_alu instid0(VALU_DEP_1)
	v_ashrrev_i32_e32 v40, 31, v39
	v_fma_f64 v[75:76], v[83:84], v[41:42], v[75:76]
	v_fma_f64 v[15:16], v[35:36], v[41:42], v[15:16]
	;; [unrolled: 1-line block ×4, first 2 shown]
	v_lshlrev_b64 v[35:36], 3, v[39:40]
	v_cvt_f64_f32_e32 v[85:86], v47
	v_cvt_f64_f32_e32 v[47:48], v48
	s_delay_alu instid0(VALU_DEP_3) | instskip(NEXT) | instid1(VALU_DEP_4)
	v_add_co_u32 v83, vcc_lo, s4, v35
	v_add_co_ci_u32_e32 v84, vcc_lo, s5, v36, vcc_lo
	global_load_b128 v[35:38], v[4:5], off offset:784
	global_load_b128 v[39:42], v[83:84], off
	v_cmp_ge_i32_e32 vcc_lo, v0, v22
	s_or_b32 s7, vcc_lo, s7
	s_waitcnt vmcnt(12)
	v_fma_f64 v[75:76], v[79:80], v[51:52], v[75:76]
	v_fma_f64 v[15:16], v[43:44], v[51:52], v[15:16]
	;; [unrolled: 1-line block ×4, first 2 shown]
	global_load_b128 v[43:46], v[4:5], off offset:800
	s_waitcnt vmcnt(12)
	v_cvt_f64_f32_e32 v[79:80], v55
	v_cvt_f64_f32_e32 v[55:56], v56
	v_cvt_f64_f32_e32 v[81:82], v57
	v_cvt_f64_f32_e32 v[57:58], v58
	v_fma_f64 v[75:76], v[85:86], v[53:54], v[75:76]
	v_fma_f64 v[15:16], v[47:48], v[53:54], v[15:16]
	;; [unrolled: 1-line block ×4, first 2 shown]
	global_load_b128 v[47:50], v[4:5], off offset:816
	global_load_b128 v[51:54], v[83:84], off offset:16
	s_waitcnt vmcnt(13)
	v_cvt_f64_f32_e32 v[83:84], v59
	v_cvt_f64_f32_e32 v[59:60], v60
	;; [unrolled: 1-line block ×4, first 2 shown]
	v_add_co_u32 v4, s2, 0x400, v4
	s_delay_alu instid0(VALU_DEP_1)
	v_add_co_ci_u32_e64 v5, s2, 0, v5, s2
	s_waitcnt vmcnt(12)
	v_fma_f64 v[75:76], v[79:80], v[63:64], v[75:76]
	v_fma_f64 v[15:16], v[55:56], v[63:64], v[15:16]
	v_fma_f64 v[55:56], v[81:82], v[63:64], v[77:78]
	v_fma_f64 v[6:7], v[57:58], v[63:64], v[6:7]
	s_waitcnt vmcnt(11)
	v_cvt_f64_f32_e32 v[57:58], v67
	v_cvt_f64_f32_e32 v[63:64], v68
	v_cvt_f64_f32_e32 v[67:68], v69
	v_cvt_f64_f32_e32 v[69:70], v70
	v_fma_f64 v[75:76], v[83:84], v[65:66], v[75:76]
	v_fma_f64 v[15:16], v[59:60], v[65:66], v[15:16]
	v_fma_f64 v[55:56], v[85:86], v[65:66], v[55:56]
	v_fma_f64 v[6:7], v[61:62], v[65:66], v[6:7]
	s_waitcnt vmcnt(10)
	v_cvt_f64_f32_e32 v[59:60], v17
	v_cvt_f64_f32_e32 v[17:18], v18
	v_cvt_f64_f32_e32 v[61:62], v19
	v_cvt_f64_f32_e32 v[19:20], v20
	s_waitcnt vmcnt(9)
	v_fma_f64 v[57:58], v[57:58], v[71:72], v[75:76]
	v_fma_f64 v[15:16], v[63:64], v[71:72], v[15:16]
	v_fma_f64 v[55:56], v[67:68], v[71:72], v[55:56]
	v_fma_f64 v[6:7], v[69:70], v[71:72], v[6:7]
	s_waitcnt vmcnt(8)
	v_cvt_f64_f32_e32 v[63:64], v11
	v_cvt_f64_f32_e32 v[11:12], v12
	v_cvt_f64_f32_e32 v[65:66], v13
	v_cvt_f64_f32_e32 v[13:14], v14
	v_fma_f64 v[57:58], v[59:60], v[73:74], v[57:58]
	v_fma_f64 v[15:16], v[17:18], v[73:74], v[15:16]
	v_fma_f64 v[17:18], v[61:62], v[73:74], v[55:56]
	v_fma_f64 v[6:7], v[19:20], v[73:74], v[6:7]
	s_waitcnt vmcnt(7)
	v_cvt_f64_f32_e32 v[19:20], v23
	v_cvt_f64_f32_e32 v[23:24], v24
	v_cvt_f64_f32_e32 v[55:56], v25
	v_cvt_f64_f32_e32 v[25:26], v26
	;; [unrolled: 19-line block ×4, first 2 shown]
	s_waitcnt vmcnt(0)
	v_fma_f64 v[13:14], v[17:18], v[51:52], v[13:14]
	v_fma_f64 v[17:18], v[19:20], v[51:52], v[11:12]
	;; [unrolled: 1-line block ×4, first 2 shown]
	s_delay_alu instid0(VALU_DEP_4) | instskip(NEXT) | instid1(VALU_DEP_4)
	v_fma_f64 v[11:12], v[23:24], v[53:54], v[13:14]
	v_fma_f64 v[15:16], v[25:26], v[53:54], v[17:18]
	s_delay_alu instid0(VALU_DEP_4) | instskip(NEXT) | instid1(VALU_DEP_4)
	v_fma_f64 v[13:14], v[29:30], v[53:54], v[19:20]
	v_fma_f64 v[6:7], v[33:34], v[53:54], v[6:7]
	s_and_not1_b32 exec_lo, exec_lo, s7
	s_cbranch_execnz .LBB150_33
; %bb.34:
	s_or_b32 exec_lo, exec_lo, s7
.LBB150_35:
	s_delay_alu instid0(SALU_CYCLE_1)
	s_or_b32 exec_lo, exec_lo, s6
.LBB150_36:
	s_delay_alu instid0(SALU_CYCLE_1)
	s_or_b32 exec_lo, exec_lo, s3
.LBB150_37:
	v_mbcnt_lo_u32_b32 v24, -1, 0
	s_delay_alu instid0(VALU_DEP_1) | instskip(NEXT) | instid1(VALU_DEP_1)
	v_xor_b32_e32 v0, 2, v24
	v_cmp_gt_i32_e32 vcc_lo, 32, v0
	v_cndmask_b32_e32 v0, v24, v0, vcc_lo
	s_delay_alu instid0(VALU_DEP_1)
	v_lshlrev_b32_e32 v17, 2, v0
	ds_bpermute_b32 v0, v17, v11
	ds_bpermute_b32 v1, v17, v12
	;; [unrolled: 1-line block ×8, first 2 shown]
	s_waitcnt lgkmcnt(0)
	v_add_f64 v[17:18], v[11:12], v[0:1]
	v_add_f64 v[11:12], v[15:16], v[4:5]
	;; [unrolled: 1-line block ×4, first 2 shown]
	v_xor_b32_e32 v6, 1, v24
	s_delay_alu instid0(VALU_DEP_1) | instskip(SKIP_2) | instid1(VALU_DEP_2)
	v_cmp_gt_i32_e32 vcc_lo, 32, v6
	v_cndmask_b32_e32 v6, v24, v6, vcc_lo
	v_cmp_eq_u32_e32 vcc_lo, 3, v21
	v_lshlrev_b32_e32 v7, 2, v6
	ds_bpermute_b32 v19, v7, v17
	ds_bpermute_b32 v20, v7, v18
	;; [unrolled: 1-line block ×8, first 2 shown]
	s_and_b32 exec_lo, exec_lo, vcc_lo
	s_cbranch_execz .LBB150_10
; %bb.38:
	s_waitcnt lgkmcnt(6)
	v_add_f64 v[17:18], v[17:18], v[19:20]
	s_waitcnt lgkmcnt(4)
	v_add_f64 v[11:12], v[11:12], v[15:16]
	;; [unrolled: 2-line block ×4, first 2 shown]
	s_load_b64 s[0:1], s[0:1], 0x50
	v_lshlrev_b32_e32 v10, 2, v10
	s_mov_b32 s2, exec_lo
	v_mul_f64 v[4:5], v[2:3], v[17:18]
	v_mul_f64 v[6:7], v[2:3], v[11:12]
	;; [unrolled: 1-line block ×4, first 2 shown]
	v_cmpx_eq_f64_e32 0, v[8:9]
	s_xor_b32 s2, exec_lo, s2
	s_cbranch_execz .LBB150_40
; %bb.39:
	v_ashrrev_i32_e32 v11, 31, v10
	s_delay_alu instid0(VALU_DEP_1) | instskip(SKIP_1) | instid1(VALU_DEP_1)
	v_lshlrev_b64 v[8:9], 3, v[10:11]
                                        ; implicit-def: $vgpr10
	s_waitcnt lgkmcnt(0)
	v_add_co_u32 v8, vcc_lo, s0, v8
	s_delay_alu instid0(VALU_DEP_2)
	v_add_co_ci_u32_e32 v9, vcc_lo, s1, v9, vcc_lo
	s_clause 0x1
	global_store_b128 v[8:9], v[4:7], off
	global_store_b128 v[8:9], v[0:3], off offset:16
                                        ; implicit-def: $vgpr8_vgpr9
                                        ; implicit-def: $vgpr4_vgpr5
                                        ; implicit-def: $vgpr0_vgpr1
.LBB150_40:
	s_and_not1_saveexec_b32 s2, s2
	s_cbranch_execz .LBB150_10
; %bb.41:
	v_ashrrev_i32_e32 v11, 31, v10
	s_delay_alu instid0(VALU_DEP_1) | instskip(SKIP_1) | instid1(VALU_DEP_1)
	v_lshlrev_b64 v[10:11], 3, v[10:11]
	s_waitcnt lgkmcnt(0)
	v_add_co_u32 v18, vcc_lo, s0, v10
	s_delay_alu instid0(VALU_DEP_2)
	v_add_co_ci_u32_e32 v19, vcc_lo, s1, v11, vcc_lo
	s_clause 0x1
	global_load_b128 v[10:13], v[18:19], off
	global_load_b128 v[14:17], v[18:19], off offset:16
	s_waitcnt vmcnt(1)
	v_fma_f64 v[4:5], v[8:9], v[10:11], v[4:5]
	v_fma_f64 v[6:7], v[8:9], v[12:13], v[6:7]
	s_waitcnt vmcnt(0)
	v_fma_f64 v[0:1], v[8:9], v[14:15], v[0:1]
	v_fma_f64 v[2:3], v[8:9], v[16:17], v[2:3]
	s_clause 0x1
	global_store_b128 v[18:19], v[4:7], off
	global_store_b128 v[18:19], v[0:3], off offset:16
	s_nop 0
	s_sendmsg sendmsg(MSG_DEALLOC_VGPRS)
	s_endpgm
	.section	.rodata,"a",@progbits
	.p2align	6, 0x0
	.amdhsa_kernel _ZN9rocsparseL18bsrxmvn_4x4_kernelILj128ELj4EdiifddEEvT3_20rocsparse_direction_NS_24const_host_device_scalarIT1_EES1_PKS1_PKT2_SA_S7_PKT4_PKT5_S5_PT6_21rocsparse_index_base_b
		.amdhsa_group_segment_fixed_size 0
		.amdhsa_private_segment_fixed_size 0
		.amdhsa_kernarg_size 96
		.amdhsa_user_sgpr_count 15
		.amdhsa_user_sgpr_dispatch_ptr 0
		.amdhsa_user_sgpr_queue_ptr 0
		.amdhsa_user_sgpr_kernarg_segment_ptr 1
		.amdhsa_user_sgpr_dispatch_id 0
		.amdhsa_user_sgpr_private_segment_size 0
		.amdhsa_wavefront_size32 1
		.amdhsa_uses_dynamic_stack 0
		.amdhsa_enable_private_segment 0
		.amdhsa_system_sgpr_workgroup_id_x 1
		.amdhsa_system_sgpr_workgroup_id_y 0
		.amdhsa_system_sgpr_workgroup_id_z 0
		.amdhsa_system_sgpr_workgroup_info 0
		.amdhsa_system_vgpr_workitem_id 0
		.amdhsa_next_free_vgpr 105
		.amdhsa_next_free_sgpr 16
		.amdhsa_reserve_vcc 1
		.amdhsa_float_round_mode_32 0
		.amdhsa_float_round_mode_16_64 0
		.amdhsa_float_denorm_mode_32 3
		.amdhsa_float_denorm_mode_16_64 3
		.amdhsa_dx10_clamp 1
		.amdhsa_ieee_mode 1
		.amdhsa_fp16_overflow 0
		.amdhsa_workgroup_processor_mode 1
		.amdhsa_memory_ordered 1
		.amdhsa_forward_progress 0
		.amdhsa_shared_vgpr_count 0
		.amdhsa_exception_fp_ieee_invalid_op 0
		.amdhsa_exception_fp_denorm_src 0
		.amdhsa_exception_fp_ieee_div_zero 0
		.amdhsa_exception_fp_ieee_overflow 0
		.amdhsa_exception_fp_ieee_underflow 0
		.amdhsa_exception_fp_ieee_inexact 0
		.amdhsa_exception_int_div_zero 0
	.end_amdhsa_kernel
	.section	.text._ZN9rocsparseL18bsrxmvn_4x4_kernelILj128ELj4EdiifddEEvT3_20rocsparse_direction_NS_24const_host_device_scalarIT1_EES1_PKS1_PKT2_SA_S7_PKT4_PKT5_S5_PT6_21rocsparse_index_base_b,"axG",@progbits,_ZN9rocsparseL18bsrxmvn_4x4_kernelILj128ELj4EdiifddEEvT3_20rocsparse_direction_NS_24const_host_device_scalarIT1_EES1_PKS1_PKT2_SA_S7_PKT4_PKT5_S5_PT6_21rocsparse_index_base_b,comdat
.Lfunc_end150:
	.size	_ZN9rocsparseL18bsrxmvn_4x4_kernelILj128ELj4EdiifddEEvT3_20rocsparse_direction_NS_24const_host_device_scalarIT1_EES1_PKS1_PKT2_SA_S7_PKT4_PKT5_S5_PT6_21rocsparse_index_base_b, .Lfunc_end150-_ZN9rocsparseL18bsrxmvn_4x4_kernelILj128ELj4EdiifddEEvT3_20rocsparse_direction_NS_24const_host_device_scalarIT1_EES1_PKS1_PKT2_SA_S7_PKT4_PKT5_S5_PT6_21rocsparse_index_base_b
                                        ; -- End function
	.section	.AMDGPU.csdata,"",@progbits
; Kernel info:
; codeLenInByte = 5108
; NumSgprs: 18
; NumVgprs: 105
; ScratchSize: 0
; MemoryBound: 0
; FloatMode: 240
; IeeeMode: 1
; LDSByteSize: 0 bytes/workgroup (compile time only)
; SGPRBlocks: 2
; VGPRBlocks: 13
; NumSGPRsForWavesPerEU: 18
; NumVGPRsForWavesPerEU: 105
; Occupancy: 12
; WaveLimiterHint : 1
; COMPUTE_PGM_RSRC2:SCRATCH_EN: 0
; COMPUTE_PGM_RSRC2:USER_SGPR: 15
; COMPUTE_PGM_RSRC2:TRAP_HANDLER: 0
; COMPUTE_PGM_RSRC2:TGID_X_EN: 1
; COMPUTE_PGM_RSRC2:TGID_Y_EN: 0
; COMPUTE_PGM_RSRC2:TGID_Z_EN: 0
; COMPUTE_PGM_RSRC2:TIDIG_COMP_CNT: 0
	.section	.text._ZN9rocsparseL18bsrxmvn_4x4_kernelILj128ELj8EdiifddEEvT3_20rocsparse_direction_NS_24const_host_device_scalarIT1_EES1_PKS1_PKT2_SA_S7_PKT4_PKT5_S5_PT6_21rocsparse_index_base_b,"axG",@progbits,_ZN9rocsparseL18bsrxmvn_4x4_kernelILj128ELj8EdiifddEEvT3_20rocsparse_direction_NS_24const_host_device_scalarIT1_EES1_PKS1_PKT2_SA_S7_PKT4_PKT5_S5_PT6_21rocsparse_index_base_b,comdat
	.globl	_ZN9rocsparseL18bsrxmvn_4x4_kernelILj128ELj8EdiifddEEvT3_20rocsparse_direction_NS_24const_host_device_scalarIT1_EES1_PKS1_PKT2_SA_S7_PKT4_PKT5_S5_PT6_21rocsparse_index_base_b ; -- Begin function _ZN9rocsparseL18bsrxmvn_4x4_kernelILj128ELj8EdiifddEEvT3_20rocsparse_direction_NS_24const_host_device_scalarIT1_EES1_PKS1_PKT2_SA_S7_PKT4_PKT5_S5_PT6_21rocsparse_index_base_b
	.p2align	8
	.type	_ZN9rocsparseL18bsrxmvn_4x4_kernelILj128ELj8EdiifddEEvT3_20rocsparse_direction_NS_24const_host_device_scalarIT1_EES1_PKS1_PKT2_SA_S7_PKT4_PKT5_S5_PT6_21rocsparse_index_base_b,@function
_ZN9rocsparseL18bsrxmvn_4x4_kernelILj128ELj8EdiifddEEvT3_20rocsparse_direction_NS_24const_host_device_scalarIT1_EES1_PKS1_PKT2_SA_S7_PKT4_PKT5_S5_PT6_21rocsparse_index_base_b: ; @_ZN9rocsparseL18bsrxmvn_4x4_kernelILj128ELj8EdiifddEEvT3_20rocsparse_direction_NS_24const_host_device_scalarIT1_EES1_PKS1_PKT2_SA_S7_PKT4_PKT5_S5_PT6_21rocsparse_index_base_b
; %bb.0:
	s_clause 0x2
	s_load_b64 s[12:13], s[0:1], 0x58
	s_load_b64 s[4:5], s[0:1], 0x8
	;; [unrolled: 1-line block ×3, first 2 shown]
	s_waitcnt lgkmcnt(0)
	s_bitcmp1_b32 s13, 0
	v_dual_mov_b32 v2, s4 :: v_dual_mov_b32 v3, s5
	s_cselect_b32 s6, -1, 0
	s_delay_alu instid0(SALU_CYCLE_1)
	s_and_b32 vcc_lo, exec_lo, s6
	s_xor_b32 s6, s6, -1
	s_cbranch_vccnz .LBB151_2
; %bb.1:
	v_dual_mov_b32 v1, s4 :: v_dual_mov_b32 v2, s5
	flat_load_b64 v[2:3], v[1:2]
.LBB151_2:
	v_dual_mov_b32 v9, s3 :: v_dual_mov_b32 v8, s2
	s_and_not1_b32 vcc_lo, exec_lo, s6
	s_cbranch_vccnz .LBB151_4
; %bb.3:
	v_dual_mov_b32 v5, s3 :: v_dual_mov_b32 v4, s2
	flat_load_b64 v[8:9], v[4:5]
.LBB151_4:
	s_waitcnt vmcnt(0) lgkmcnt(0)
	v_cmp_neq_f64_e32 vcc_lo, 0, v[2:3]
	v_cmp_neq_f64_e64 s2, 1.0, v[8:9]
	s_delay_alu instid0(VALU_DEP_1) | instskip(NEXT) | instid1(SALU_CYCLE_1)
	s_or_b32 s2, vcc_lo, s2
	s_and_saveexec_b32 s3, s2
	s_cbranch_execz .LBB151_10
; %bb.5:
	s_clause 0x1
	s_load_b64 s[4:5], s[0:1], 0x18
	s_load_b64 s[2:3], s[0:1], 0x0
	v_lshrrev_b32_e32 v1, 3, v0
	s_delay_alu instid0(VALU_DEP_1)
	v_lshl_or_b32 v10, s15, 4, v1
	s_waitcnt lgkmcnt(0)
	s_cmp_lg_u64 s[4:5], 0
	s_cbranch_scc0 .LBB151_11
; %bb.6:
	s_load_b32 s6, s[0:1], 0x10
	s_mov_b32 s7, 0
                                        ; implicit-def: $vgpr1
	s_waitcnt lgkmcnt(0)
	v_cmp_gt_i32_e32 vcc_lo, s6, v10
	s_mov_b32 s6, 0
	s_and_saveexec_b32 s8, vcc_lo
	s_delay_alu instid0(SALU_CYCLE_1)
	s_xor_b32 s8, exec_lo, s8
	s_cbranch_execz .LBB151_8
; %bb.7:
	v_ashrrev_i32_e32 v11, 31, v10
	s_mov_b32 s6, exec_lo
	s_delay_alu instid0(VALU_DEP_1) | instskip(NEXT) | instid1(VALU_DEP_1)
	v_lshlrev_b64 v[4:5], 2, v[10:11]
	v_add_co_u32 v4, vcc_lo, s4, v4
	s_delay_alu instid0(VALU_DEP_2)
	v_add_co_ci_u32_e32 v5, vcc_lo, s5, v5, vcc_lo
	global_load_b32 v1, v[4:5], off
	s_waitcnt vmcnt(0)
	v_subrev_nc_u32_e32 v1, s12, v1
.LBB151_8:
	s_or_b32 exec_lo, exec_lo, s8
	s_delay_alu instid0(SALU_CYCLE_1)
	s_and_b32 vcc_lo, exec_lo, s7
	s_cbranch_vccz .LBB151_12
.LBB151_9:
	v_cmp_gt_i32_e32 vcc_lo, s2, v10
	s_and_not1_b32 s2, s6, exec_lo
	s_and_b32 s4, vcc_lo, exec_lo
	s_delay_alu instid0(SALU_CYCLE_1) | instskip(NEXT) | instid1(SALU_CYCLE_1)
	s_or_b32 s6, s2, s4
	s_and_b32 exec_lo, exec_lo, s6
	s_cbranch_execnz .LBB151_13
.LBB151_10:
	s_nop 0
	s_sendmsg sendmsg(MSG_DEALLOC_VGPRS)
	s_endpgm
.LBB151_11:
	s_mov_b32 s6, 0
                                        ; implicit-def: $vgpr1
	s_cbranch_execnz .LBB151_9
.LBB151_12:
	s_delay_alu instid0(VALU_DEP_1)
	v_mov_b32_e32 v10, v1
	s_and_b32 exec_lo, exec_lo, s6
	s_cbranch_execz .LBB151_10
.LBB151_13:
	s_load_b256 s[4:11], s[0:1], 0x20
	s_delay_alu instid0(VALU_DEP_1) | instskip(SKIP_1) | instid1(VALU_DEP_2)
	v_ashrrev_i32_e32 v11, 31, v10
	v_and_b32_e32 v21, 7, v0
	v_lshlrev_b64 v[4:5], 2, v[10:11]
	s_waitcnt lgkmcnt(0)
	s_delay_alu instid0(VALU_DEP_1) | instskip(NEXT) | instid1(VALU_DEP_2)
	v_add_co_u32 v6, vcc_lo, s4, v4
	v_add_co_ci_u32_e32 v7, vcc_lo, s5, v5, vcc_lo
	v_add_co_u32 v1, vcc_lo, s6, v4
	v_add_co_ci_u32_e32 v4, vcc_lo, s7, v5, vcc_lo
	global_load_b32 v23, v[6:7], off
	v_add_co_u32 v6, vcc_lo, v6, 4
	v_add_co_ci_u32_e32 v5, vcc_lo, 0, v7, vcc_lo
	s_cmp_eq_u64 s[6:7], 0
	s_load_b64 s[4:5], s[0:1], 0x40
	s_cselect_b32 vcc_lo, -1, 0
	s_cmp_eq_u32 s3, 1
	v_dual_cndmask_b32 v5, v4, v5 :: v_dual_cndmask_b32 v4, v1, v6
	global_load_b32 v6, v[4:5], off
	s_waitcnt vmcnt(1)
	v_subrev_nc_u32_e32 v0, s12, v23
	s_delay_alu instid0(VALU_DEP_1) | instskip(NEXT) | instid1(VALU_DEP_1)
	v_add_nc_u32_e32 v0, v0, v21
	v_ashrrev_i32_e32 v1, 31, v0
	s_waitcnt vmcnt(0)
	v_subrev_nc_u32_e32 v22, s12, v6
	s_delay_alu instid0(VALU_DEP_2) | instskip(NEXT) | instid1(VALU_DEP_2)
	v_lshlrev_b64 v[4:5], 6, v[0:1]
	v_cmp_lt_i32_e64 s2, v0, v22
	s_delay_alu instid0(VALU_DEP_2) | instskip(NEXT) | instid1(VALU_DEP_3)
	v_add_co_u32 v4, vcc_lo, s10, v4
	v_add_co_ci_u32_e32 v5, vcc_lo, s11, v5, vcc_lo
	s_cbranch_scc1 .LBB151_25
; %bb.14:
	v_mov_b32_e32 v6, 0
	v_mov_b32_e32 v7, 0
	s_delay_alu instid0(VALU_DEP_1)
	v_dual_mov_b32 v14, v7 :: v_dual_mov_b32 v13, v6
	v_dual_mov_b32 v16, v7 :: v_dual_mov_b32 v15, v6
	;; [unrolled: 1-line block ×3, first 2 shown]
	s_and_saveexec_b32 s6, s2
	s_cbranch_execz .LBB151_24
; %bb.15:
	v_add_nc_u32_e32 v1, v23, v21
	v_mov_b32_e32 v11, 0
	v_mov_b32_e32 v12, 0
	v_not_b32_e32 v6, v23
	s_mov_b32 s10, 0
	v_subrev_nc_u32_e32 v1, s12, v1
	s_mov_b32 s7, exec_lo
	v_dual_mov_b32 v16, v12 :: v_dual_mov_b32 v15, v11
	s_delay_alu instid0(VALU_DEP_2) | instskip(SKIP_3) | instid1(VALU_DEP_4)
	v_dual_mov_b32 v14, v12 :: v_dual_add_nc_u32 v1, 8, v1
	v_dual_mov_b32 v13, v11 :: v_dual_mov_b32 v20, v5
	v_mov_b32_e32 v19, v4
	v_mov_b32_e32 v17, v0
	v_max_i32_e32 v1, v1, v22
	s_delay_alu instid0(VALU_DEP_1) | instskip(NEXT) | instid1(VALU_DEP_1)
	v_add3_u32 v1, v1, s12, v6
	v_sub_nc_u32_e32 v1, v1, v21
	s_delay_alu instid0(VALU_DEP_1) | instskip(NEXT) | instid1(VALU_DEP_1)
	v_lshrrev_b32_e32 v6, 3, v1
	v_add_nc_u32_e32 v6, 1, v6
	s_delay_alu instid0(VALU_DEP_1) | instskip(SKIP_1) | instid1(VALU_DEP_2)
	v_and_b32_e32 v18, 3, v6
	v_dual_mov_b32 v6, v11 :: v_dual_mov_b32 v7, v12
	v_cmpx_ne_u32_e32 0, v18
	s_cbranch_execz .LBB151_19
; %bb.16:
	v_mov_b32_e32 v6, 0
	v_dual_mov_b32 v7, 0 :: v_dual_lshlrev_b32 v24, 6, v18
	v_dual_mov_b32 v20, v5 :: v_dual_mov_b32 v17, v0
	s_delay_alu instid0(VALU_DEP_2) | instskip(NEXT) | instid1(VALU_DEP_4)
	v_dual_mov_b32 v19, v4 :: v_dual_mov_b32 v14, v7
	v_dual_mov_b32 v13, v6 :: v_dual_mov_b32 v16, v7
	;; [unrolled: 1-line block ×3, first 2 shown]
	v_mov_b32_e32 v11, v6
.LBB151_17:                             ; =>This Inner Loop Header: Depth=1
	v_ashrrev_i32_e32 v18, 31, v17
	v_subrev_nc_u32_e32 v24, 64, v24
	s_delay_alu instid0(VALU_DEP_2) | instskip(NEXT) | instid1(VALU_DEP_2)
	v_lshlrev_b64 v[25:26], 2, v[17:18]
	v_cmp_eq_u32_e64 s3, 0, v24
	v_add_nc_u32_e32 v17, 8, v17
	s_delay_alu instid0(VALU_DEP_2) | instskip(NEXT) | instid1(VALU_DEP_3)
	s_or_b32 s10, s3, s10
	v_add_co_u32 v25, vcc_lo, s8, v25
	s_delay_alu instid0(VALU_DEP_4)
	v_add_co_ci_u32_e32 v26, vcc_lo, s9, v26, vcc_lo
	global_load_b32 v18, v[25:26], off
	s_clause 0x3
	global_load_b128 v[25:28], v[19:20], off
	global_load_b128 v[29:32], v[19:20], off offset:16
	global_load_b128 v[33:36], v[19:20], off offset:32
	;; [unrolled: 1-line block ×3, first 2 shown]
	s_waitcnt vmcnt(4)
	v_subrev_nc_u32_e32 v18, s12, v18
	s_waitcnt vmcnt(3)
	v_cvt_f64_f32_e32 v[49:50], v25
	s_waitcnt vmcnt(2)
	v_cvt_f64_f32_e32 v[51:52], v29
	;; [unrolled: 2-line block ×4, first 2 shown]
	v_lshlrev_b32_e32 v41, 2, v18
	v_cvt_f64_f32_e32 v[25:26], v26
	v_cvt_f64_f32_e32 v[29:30], v30
	;; [unrolled: 1-line block ×4, first 2 shown]
	v_ashrrev_i32_e32 v42, 31, v41
	s_delay_alu instid0(VALU_DEP_1) | instskip(SKIP_1) | instid1(VALU_DEP_1)
	v_lshlrev_b64 v[41:42], 3, v[41:42]
	s_waitcnt lgkmcnt(0)
	v_add_co_u32 v45, vcc_lo, s4, v41
	s_delay_alu instid0(VALU_DEP_2)
	v_add_co_ci_u32_e32 v46, vcc_lo, s5, v42, vcc_lo
	v_add_co_u32 v19, vcc_lo, 0x200, v19
	s_clause 0x1
	global_load_b128 v[41:44], v[45:46], off
	global_load_b128 v[45:48], v[45:46], off offset:16
	v_add_co_ci_u32_e32 v20, vcc_lo, 0, v20, vcc_lo
	s_waitcnt vmcnt(1)
	v_fma_f64 v[11:12], v[49:50], v[41:42], v[11:12]
	v_fma_f64 v[15:16], v[51:52], v[41:42], v[15:16]
	;; [unrolled: 1-line block ×4, first 2 shown]
	v_cvt_f64_f32_e32 v[41:42], v27
	v_cvt_f64_f32_e32 v[49:50], v31
	;; [unrolled: 1-line block ×4, first 2 shown]
	v_fma_f64 v[11:12], v[25:26], v[43:44], v[11:12]
	v_fma_f64 v[15:16], v[29:30], v[43:44], v[15:16]
	;; [unrolled: 1-line block ×4, first 2 shown]
	v_cvt_f64_f32_e32 v[25:26], v28
	v_cvt_f64_f32_e32 v[27:28], v32
	;; [unrolled: 1-line block ×4, first 2 shown]
	s_waitcnt vmcnt(0)
	v_fma_f64 v[11:12], v[41:42], v[45:46], v[11:12]
	v_fma_f64 v[15:16], v[49:50], v[45:46], v[15:16]
	;; [unrolled: 1-line block ×4, first 2 shown]
	s_delay_alu instid0(VALU_DEP_4) | instskip(NEXT) | instid1(VALU_DEP_4)
	v_fma_f64 v[11:12], v[25:26], v[47:48], v[11:12]
	v_fma_f64 v[15:16], v[27:28], v[47:48], v[15:16]
	s_delay_alu instid0(VALU_DEP_4) | instskip(NEXT) | instid1(VALU_DEP_4)
	v_fma_f64 v[13:14], v[29:30], v[47:48], v[13:14]
	v_fma_f64 v[6:7], v[31:32], v[47:48], v[6:7]
	s_and_not1_b32 exec_lo, exec_lo, s10
	s_cbranch_execnz .LBB151_17
; %bb.18:
	s_or_b32 exec_lo, exec_lo, s10
.LBB151_19:
	s_delay_alu instid0(SALU_CYCLE_1) | instskip(NEXT) | instid1(SALU_CYCLE_1)
	s_or_b32 exec_lo, exec_lo, s7
	s_mov_b32 s7, exec_lo
	v_cmpx_lt_u32_e32 23, v1
	s_cbranch_execz .LBB151_23
; %bb.20:
	s_mov_b32 s10, 0
.LBB151_21:                             ; =>This Inner Loop Header: Depth=1
	v_ashrrev_i32_e32 v18, 31, v17
	s_delay_alu instid0(VALU_DEP_1) | instskip(SKIP_1) | instid1(VALU_DEP_2)
	v_lshlrev_b64 v[24:25], 2, v[17:18]
	v_add_nc_u32_e32 v17, 32, v17
	v_add_co_u32 v40, vcc_lo, s8, v24
	s_delay_alu instid0(VALU_DEP_3)
	v_add_co_ci_u32_e32 v41, vcc_lo, s9, v25, vcc_lo
	s_clause 0x1
	global_load_b32 v1, v[40:41], off
	global_load_b32 v18, v[40:41], off offset:32
	s_clause 0x3
	global_load_b128 v[24:27], v[19:20], off
	global_load_b128 v[28:31], v[19:20], off offset:16
	global_load_b128 v[32:35], v[19:20], off offset:32
	;; [unrolled: 1-line block ×3, first 2 shown]
	s_clause 0x1
	global_load_b32 v90, v[40:41], off offset:64
	global_load_b32 v104, v[40:41], off offset:96
	s_waitcnt vmcnt(7)
	v_subrev_nc_u32_e32 v1, s12, v1
	s_waitcnt vmcnt(5)
	v_cvt_f64_f32_e32 v[88:89], v24
	s_waitcnt vmcnt(4)
	v_cvt_f64_f32_e32 v[92:93], v28
	;; [unrolled: 2-line block ×3, first 2 shown]
	v_lshlrev_b32_e32 v40, 2, v1
	v_subrev_nc_u32_e32 v1, s12, v18
	s_waitcnt vmcnt(2)
	v_cvt_f64_f32_e32 v[96:97], v36
	v_cvt_f64_f32_e32 v[24:25], v25
	;; [unrolled: 1-line block ×3, first 2 shown]
	v_ashrrev_i32_e32 v41, 31, v40
	v_lshlrev_b32_e32 v64, 2, v1
	s_waitcnt vmcnt(1)
	v_subrev_nc_u32_e32 v1, s12, v90
	v_cvt_f64_f32_e32 v[32:33], v33
	v_cvt_f64_f32_e32 v[36:37], v37
	v_lshlrev_b64 v[40:41], 3, v[40:41]
	v_ashrrev_i32_e32 v65, 31, v64
	v_lshlrev_b32_e32 v90, 2, v1
	v_cvt_f64_f32_e32 v[100:101], v39
	s_waitcnt vmcnt(0)
	v_subrev_nc_u32_e32 v1, s12, v104
	v_lshlrev_b64 v[64:65], 3, v[64:65]
	s_waitcnt lgkmcnt(0)
	v_add_co_u32 v44, vcc_lo, s4, v40
	v_add_co_ci_u32_e32 v45, vcc_lo, s5, v41, vcc_lo
	v_ashrrev_i32_e32 v91, 31, v90
	s_delay_alu instid0(VALU_DEP_4)
	v_add_co_u32 v68, vcc_lo, s4, v64
	s_clause 0x1
	global_load_b128 v[40:43], v[44:45], off
	global_load_b128 v[44:47], v[44:45], off offset:16
	s_clause 0x3
	global_load_b128 v[48:51], v[19:20], off offset:512
	global_load_b128 v[52:55], v[19:20], off offset:528
	;; [unrolled: 1-line block ×4, first 2 shown]
	v_add_co_ci_u32_e32 v69, vcc_lo, s5, v65, vcc_lo
	v_lshlrev_b64 v[90:91], 3, v[90:91]
	s_clause 0x1
	global_load_b128 v[64:67], v[68:69], off
	global_load_b128 v[68:71], v[68:69], off offset:16
	s_clause 0x3
	global_load_b128 v[72:75], v[19:20], off offset:1040
	global_load_b128 v[76:79], v[19:20], off offset:1024
	;; [unrolled: 1-line block ×4, first 2 shown]
	v_add_co_u32 v98, vcc_lo, s4, v90
	v_add_co_ci_u32_e32 v99, vcc_lo, s5, v91, vcc_lo
	s_waitcnt vmcnt(11)
	v_fma_f64 v[11:12], v[88:89], v[40:41], v[11:12]
	global_load_b128 v[88:91], v[98:99], off
	v_fma_f64 v[15:16], v[92:93], v[40:41], v[15:16]
	v_fma_f64 v[13:14], v[94:95], v[40:41], v[13:14]
	;; [unrolled: 1-line block ×3, first 2 shown]
	v_cvt_f64_f32_e32 v[40:41], v26
	v_cvt_f64_f32_e32 v[92:93], v34
	;; [unrolled: 1-line block ×4, first 2 shown]
	s_waitcnt vmcnt(9)
	v_cvt_f64_f32_e32 v[102:103], v52
	v_cvt_f64_f32_e32 v[52:53], v53
	v_fma_f64 v[24:25], v[24:25], v[42:43], v[11:12]
	v_fma_f64 v[15:16], v[28:29], v[42:43], v[15:16]
	v_cvt_f64_f32_e32 v[28:29], v30
	v_fma_f64 v[32:33], v[32:33], v[42:43], v[13:14]
	global_load_b128 v[11:14], v[98:99], off offset:16
	v_fma_f64 v[6:7], v[36:37], v[42:43], v[6:7]
	v_cvt_f64_f32_e32 v[36:37], v38
	v_cvt_f64_f32_e32 v[42:43], v27
	v_fma_f64 v[40:41], v[40:41], v[44:45], v[24:25]
	v_fma_f64 v[15:16], v[28:29], v[44:45], v[15:16]
	;; [unrolled: 1-line block ×4, first 2 shown]
	s_clause 0x3
	global_load_b128 v[24:27], v[19:20], off offset:1536
	global_load_b128 v[28:31], v[19:20], off offset:1552
	;; [unrolled: 1-line block ×4, first 2 shown]
	v_cvt_f64_f32_e32 v[44:45], v48
	v_cvt_f64_f32_e32 v[48:49], v49
	v_add_co_u32 v19, s3, 0x800, v19
	s_delay_alu instid0(VALU_DEP_1)
	v_add_co_ci_u32_e64 v20, s3, 0, v20, s3
	v_fma_f64 v[98:99], v[42:43], v[46:47], v[40:41]
	v_lshlrev_b32_e32 v40, 2, v1
	v_fma_f64 v[15:16], v[94:95], v[46:47], v[15:16]
	s_waitcnt vmcnt(13)
	v_cvt_f64_f32_e32 v[94:95], v56
	v_fma_f64 v[92:93], v[96:97], v[46:47], v[92:93]
	s_waitcnt vmcnt(12)
	v_cvt_f64_f32_e32 v[96:97], v60
	v_fma_f64 v[6:7], v[100:101], v[46:47], v[6:7]
	v_ashrrev_i32_e32 v41, 31, v40
	v_cvt_f64_f32_e32 v[56:57], v57
	v_cvt_f64_f32_e32 v[60:61], v61
	s_delay_alu instid0(VALU_DEP_3) | instskip(NEXT) | instid1(VALU_DEP_1)
	v_lshlrev_b64 v[40:41], 3, v[40:41]
	v_add_co_u32 v46, vcc_lo, s4, v40
	s_delay_alu instid0(VALU_DEP_2)
	v_add_co_ci_u32_e32 v47, vcc_lo, s5, v41, vcc_lo
	v_cmp_ge_i32_e32 vcc_lo, v17, v22
	global_load_b128 v[40:43], v[46:47], off
	s_or_b32 s10, vcc_lo, s10
	s_waitcnt vmcnt(12)
	v_fma_f64 v[44:45], v[44:45], v[64:65], v[98:99]
	v_fma_f64 v[15:16], v[102:103], v[64:65], v[15:16]
	;; [unrolled: 1-line block ×4, first 2 shown]
	v_cvt_f64_f32_e32 v[64:65], v50
	v_cvt_f64_f32_e32 v[50:51], v51
	v_fma_f64 v[48:49], v[48:49], v[66:67], v[44:45]
	global_load_b128 v[44:47], v[46:47], off offset:16
	v_fma_f64 v[15:16], v[52:53], v[66:67], v[15:16]
	v_cvt_f64_f32_e32 v[52:53], v54
	v_fma_f64 v[56:57], v[56:57], v[66:67], v[92:93]
	v_cvt_f64_f32_e32 v[92:93], v58
	v_fma_f64 v[6:7], v[60:61], v[66:67], v[6:7]
	v_cvt_f64_f32_e32 v[60:61], v62
	v_cvt_f64_f32_e32 v[54:55], v55
	v_cvt_f64_f32_e32 v[58:59], v59
	;; [unrolled: 1-line block ×3, first 2 shown]
	s_waitcnt vmcnt(9)
	v_cvt_f64_f32_e32 v[66:67], v80
	v_fma_f64 v[48:49], v[64:65], v[68:69], v[48:49]
	s_waitcnt vmcnt(8)
	v_cvt_f64_f32_e32 v[64:65], v84
	v_fma_f64 v[15:16], v[52:53], v[68:69], v[15:16]
	v_fma_f64 v[52:53], v[92:93], v[68:69], v[56:57]
	v_cvt_f64_f32_e32 v[56:57], v76
	v_fma_f64 v[6:7], v[60:61], v[68:69], v[6:7]
	v_cvt_f64_f32_e32 v[60:61], v72
	v_fma_f64 v[48:49], v[50:51], v[70:71], v[48:49]
	v_fma_f64 v[15:16], v[54:55], v[70:71], v[15:16]
	v_cvt_f64_f32_e32 v[54:55], v73
	v_fma_f64 v[50:51], v[58:59], v[70:71], v[52:53]
	v_cvt_f64_f32_e32 v[52:53], v77
	;; [unrolled: 2-line block ×3, first 2 shown]
	v_cvt_f64_f32_e32 v[62:63], v81
	s_waitcnt vmcnt(7)
	v_fma_f64 v[48:49], v[56:57], v[88:89], v[48:49]
	v_fma_f64 v[15:16], v[60:61], v[88:89], v[15:16]
	v_fma_f64 v[50:51], v[64:65], v[88:89], v[50:51]
	v_fma_f64 v[6:7], v[66:67], v[88:89], v[6:7]
	v_cvt_f64_f32_e32 v[56:57], v78
	v_cvt_f64_f32_e32 v[60:61], v74
	;; [unrolled: 1-line block ×4, first 2 shown]
	v_fma_f64 v[48:49], v[52:53], v[90:91], v[48:49]
	v_fma_f64 v[15:16], v[54:55], v[90:91], v[15:16]
	;; [unrolled: 1-line block ×4, first 2 shown]
	v_cvt_f64_f32_e32 v[52:53], v79
	v_cvt_f64_f32_e32 v[54:55], v75
	;; [unrolled: 1-line block ×4, first 2 shown]
	s_waitcnt vmcnt(6)
	v_fma_f64 v[48:49], v[56:57], v[11:12], v[48:49]
	v_fma_f64 v[15:16], v[60:61], v[11:12], v[15:16]
	;; [unrolled: 1-line block ×4, first 2 shown]
	s_waitcnt vmcnt(5)
	v_cvt_f64_f32_e32 v[11:12], v24
	s_waitcnt vmcnt(4)
	v_cvt_f64_f32_e32 v[56:57], v28
	;; [unrolled: 2-line block ×4, first 2 shown]
	v_fma_f64 v[48:49], v[52:53], v[13:14], v[48:49]
	v_fma_f64 v[15:16], v[54:55], v[13:14], v[15:16]
	;; [unrolled: 1-line block ×4, first 2 shown]
	v_cvt_f64_f32_e32 v[13:14], v25
	v_cvt_f64_f32_e32 v[24:25], v29
	;; [unrolled: 1-line block ×5, first 2 shown]
	s_waitcnt vmcnt(1)
	v_fma_f64 v[11:12], v[11:12], v[40:41], v[48:49]
	v_fma_f64 v[15:16], v[56:57], v[40:41], v[15:16]
	;; [unrolled: 1-line block ×4, first 2 shown]
	v_cvt_f64_f32_e32 v[40:41], v26
	v_cvt_f64_f32_e32 v[48:49], v30
	;; [unrolled: 1-line block ×3, first 2 shown]
	v_fma_f64 v[11:12], v[13:14], v[42:43], v[11:12]
	v_fma_f64 v[13:14], v[24:25], v[42:43], v[15:16]
	;; [unrolled: 1-line block ×4, first 2 shown]
	v_cvt_f64_f32_e32 v[24:25], v27
	v_cvt_f64_f32_e32 v[26:27], v31
	;; [unrolled: 1-line block ×4, first 2 shown]
	s_waitcnt vmcnt(0)
	v_fma_f64 v[11:12], v[40:41], v[44:45], v[11:12]
	v_fma_f64 v[13:14], v[48:49], v[44:45], v[13:14]
	;; [unrolled: 1-line block ×4, first 2 shown]
	s_delay_alu instid0(VALU_DEP_4) | instskip(NEXT) | instid1(VALU_DEP_4)
	v_fma_f64 v[11:12], v[24:25], v[46:47], v[11:12]
	v_fma_f64 v[15:16], v[26:27], v[46:47], v[13:14]
	s_delay_alu instid0(VALU_DEP_4) | instskip(NEXT) | instid1(VALU_DEP_4)
	v_fma_f64 v[13:14], v[28:29], v[46:47], v[32:33]
	v_fma_f64 v[6:7], v[30:31], v[46:47], v[6:7]
	s_and_not1_b32 exec_lo, exec_lo, s10
	s_cbranch_execnz .LBB151_21
; %bb.22:
	s_or_b32 exec_lo, exec_lo, s10
.LBB151_23:
	s_delay_alu instid0(SALU_CYCLE_1)
	s_or_b32 exec_lo, exec_lo, s7
.LBB151_24:
	s_delay_alu instid0(SALU_CYCLE_1)
	s_or_b32 exec_lo, exec_lo, s6
	s_cbranch_execz .LBB151_26
	s_branch .LBB151_37
.LBB151_25:
                                        ; implicit-def: $vgpr6_vgpr7
                                        ; implicit-def: $vgpr13_vgpr14
                                        ; implicit-def: $vgpr15_vgpr16
                                        ; implicit-def: $vgpr11_vgpr12
.LBB151_26:
	v_mov_b32_e32 v6, 0
	v_mov_b32_e32 v7, 0
	s_delay_alu instid0(VALU_DEP_1)
	v_dual_mov_b32 v14, v7 :: v_dual_mov_b32 v13, v6
	v_dual_mov_b32 v16, v7 :: v_dual_mov_b32 v15, v6
	;; [unrolled: 1-line block ×3, first 2 shown]
	s_and_saveexec_b32 s3, s2
	s_cbranch_execz .LBB151_36
; %bb.27:
	v_add_nc_u32_e32 v1, v23, v21
	v_mov_b32_e32 v11, 0
	v_mov_b32_e32 v12, 0
	v_not_b32_e32 v6, v23
	s_mov_b32 s7, 0
	v_subrev_nc_u32_e32 v1, s12, v1
	s_mov_b32 s6, exec_lo
	v_dual_mov_b32 v16, v12 :: v_dual_mov_b32 v15, v11
	s_delay_alu instid0(VALU_DEP_2) | instskip(SKIP_1) | instid1(VALU_DEP_2)
	v_dual_mov_b32 v14, v12 :: v_dual_add_nc_u32 v1, 8, v1
	v_mov_b32_e32 v13, v11
	v_max_i32_e32 v1, v1, v22
	s_delay_alu instid0(VALU_DEP_1) | instskip(SKIP_1) | instid1(VALU_DEP_2)
	v_add3_u32 v1, v1, s12, v6
	v_dual_mov_b32 v6, v11 :: v_dual_mov_b32 v7, v12
	v_sub_nc_u32_e32 v17, v1, v21
	s_delay_alu instid0(VALU_DEP_1) | instskip(NEXT) | instid1(VALU_DEP_1)
	v_lshrrev_b32_e32 v1, 3, v17
	v_add_nc_u32_e32 v1, 1, v1
	s_delay_alu instid0(VALU_DEP_1) | instskip(NEXT) | instid1(VALU_DEP_1)
	v_and_b32_e32 v1, 3, v1
	v_cmpx_ne_u32_e32 0, v1
	s_cbranch_execz .LBB151_31
; %bb.28:
	v_mov_b32_e32 v6, 0
	v_dual_mov_b32 v7, 0 :: v_dual_lshlrev_b32 v18, 6, v1
	s_delay_alu instid0(VALU_DEP_1)
	v_dual_mov_b32 v14, v7 :: v_dual_mov_b32 v13, v6
	v_dual_mov_b32 v16, v7 :: v_dual_mov_b32 v15, v6
	;; [unrolled: 1-line block ×3, first 2 shown]
.LBB151_29:                             ; =>This Inner Loop Header: Depth=1
	v_ashrrev_i32_e32 v1, 31, v0
	v_subrev_nc_u32_e32 v18, 64, v18
	s_delay_alu instid0(VALU_DEP_2) | instskip(NEXT) | instid1(VALU_DEP_2)
	v_lshlrev_b64 v[19:20], 2, v[0:1]
	v_cmp_eq_u32_e64 s2, 0, v18
	v_add_nc_u32_e32 v0, 8, v0
	s_delay_alu instid0(VALU_DEP_2) | instskip(NEXT) | instid1(VALU_DEP_3)
	s_or_b32 s7, s2, s7
	v_add_co_u32 v19, vcc_lo, s8, v19
	s_delay_alu instid0(VALU_DEP_4)
	v_add_co_ci_u32_e32 v20, vcc_lo, s9, v20, vcc_lo
	global_load_b32 v1, v[19:20], off
	s_clause 0x1
	global_load_b128 v[23:26], v[4:5], off
	global_load_b128 v[27:30], v[4:5], off offset:16
	s_waitcnt vmcnt(2)
	v_subrev_nc_u32_e32 v1, s12, v1
	s_waitcnt vmcnt(1)
	v_cvt_f64_f32_e32 v[47:48], v25
	v_cvt_f64_f32_e32 v[25:26], v26
	s_waitcnt vmcnt(0)
	v_cvt_f64_f32_e32 v[49:50], v27
	v_cvt_f64_f32_e32 v[27:28], v28
	v_lshlrev_b32_e32 v19, 2, v1
	v_cvt_f64_f32_e32 v[51:52], v29
	v_cvt_f64_f32_e32 v[29:30], v30
	s_delay_alu instid0(VALU_DEP_3) | instskip(NEXT) | instid1(VALU_DEP_1)
	v_ashrrev_i32_e32 v20, 31, v19
	v_lshlrev_b64 v[19:20], 3, v[19:20]
	s_waitcnt lgkmcnt(0)
	s_delay_alu instid0(VALU_DEP_1) | instskip(NEXT) | instid1(VALU_DEP_2)
	v_add_co_u32 v19, vcc_lo, s4, v19
	v_add_co_ci_u32_e32 v20, vcc_lo, s5, v20, vcc_lo
	s_clause 0x1
	global_load_b128 v[31:34], v[19:20], off
	global_load_b128 v[35:38], v[19:20], off offset:16
	s_clause 0x1
	global_load_b128 v[39:42], v[4:5], off offset:32
	global_load_b128 v[43:46], v[4:5], off offset:48
	v_cvt_f64_f32_e32 v[19:20], v23
	v_cvt_f64_f32_e32 v[23:24], v24
	v_add_co_u32 v4, vcc_lo, 0x200, v4
	v_add_co_ci_u32_e32 v5, vcc_lo, 0, v5, vcc_lo
	s_waitcnt vmcnt(3)
	s_delay_alu instid0(VALU_DEP_4) | instskip(NEXT) | instid1(VALU_DEP_4)
	v_fma_f64 v[11:12], v[19:20], v[31:32], v[11:12]
	v_fma_f64 v[15:16], v[23:24], v[31:32], v[15:16]
	;; [unrolled: 1-line block ×4, first 2 shown]
	s_waitcnt vmcnt(1)
	v_cvt_f64_f32_e32 v[19:20], v39
	v_cvt_f64_f32_e32 v[23:24], v40
	;; [unrolled: 1-line block ×4, first 2 shown]
	s_waitcnt vmcnt(0)
	v_cvt_f64_f32_e32 v[39:40], v46
	v_fma_f64 v[11:12], v[49:50], v[33:34], v[11:12]
	v_fma_f64 v[15:16], v[27:28], v[33:34], v[15:16]
	;; [unrolled: 1-line block ×4, first 2 shown]
	v_cvt_f64_f32_e32 v[27:28], v43
	v_cvt_f64_f32_e32 v[29:30], v44
	;; [unrolled: 1-line block ×3, first 2 shown]
	v_fma_f64 v[11:12], v[19:20], v[35:36], v[11:12]
	v_fma_f64 v[15:16], v[23:24], v[35:36], v[15:16]
	;; [unrolled: 1-line block ×4, first 2 shown]
	s_delay_alu instid0(VALU_DEP_4) | instskip(NEXT) | instid1(VALU_DEP_4)
	v_fma_f64 v[11:12], v[27:28], v[37:38], v[11:12]
	v_fma_f64 v[15:16], v[29:30], v[37:38], v[15:16]
	s_delay_alu instid0(VALU_DEP_4) | instskip(NEXT) | instid1(VALU_DEP_4)
	v_fma_f64 v[13:14], v[33:34], v[37:38], v[13:14]
	v_fma_f64 v[6:7], v[39:40], v[37:38], v[6:7]
	s_and_not1_b32 exec_lo, exec_lo, s7
	s_cbranch_execnz .LBB151_29
; %bb.30:
	s_or_b32 exec_lo, exec_lo, s7
.LBB151_31:
	s_delay_alu instid0(SALU_CYCLE_1) | instskip(NEXT) | instid1(SALU_CYCLE_1)
	s_or_b32 exec_lo, exec_lo, s6
	s_mov_b32 s6, exec_lo
	v_cmpx_lt_u32_e32 23, v17
	s_cbranch_execz .LBB151_35
; %bb.32:
	s_mov_b32 s7, 0
.LBB151_33:                             ; =>This Inner Loop Header: Depth=1
	v_ashrrev_i32_e32 v1, 31, v0
	s_delay_alu instid0(VALU_DEP_1) | instskip(SKIP_1) | instid1(VALU_DEP_2)
	v_lshlrev_b64 v[17:18], 2, v[0:1]
	v_add_nc_u32_e32 v0, 32, v0
	v_add_co_u32 v23, vcc_lo, s8, v17
	s_delay_alu instid0(VALU_DEP_3)
	v_add_co_ci_u32_e32 v24, vcc_lo, s9, v18, vcc_lo
	s_clause 0x2
	global_load_b32 v1, v[23:24], off
	global_load_b32 v47, v[23:24], off offset:32
	global_load_b32 v71, v[23:24], off offset:64
	global_load_b128 v[17:20], v[4:5], off
	global_load_b32 v89, v[23:24], off offset:96
	s_waitcnt vmcnt(4)
	v_subrev_nc_u32_e32 v1, s12, v1
	s_waitcnt vmcnt(1)
	v_cvt_f64_f32_e32 v[75:76], v17
	v_cvt_f64_f32_e32 v[77:78], v18
	s_delay_alu instid0(VALU_DEP_3) | instskip(SKIP_3) | instid1(VALU_DEP_4)
	v_lshlrev_b32_e32 v23, 2, v1
	v_subrev_nc_u32_e32 v1, s12, v47
	v_cvt_f64_f32_e32 v[79:80], v19
	v_cvt_f64_f32_e32 v[81:82], v20
	v_ashrrev_i32_e32 v24, 31, v23
	s_delay_alu instid0(VALU_DEP_4) | instskip(SKIP_1) | instid1(VALU_DEP_3)
	v_lshlrev_b32_e32 v47, 2, v1
	v_subrev_nc_u32_e32 v1, s12, v71
	v_lshlrev_b64 v[23:24], 3, v[23:24]
	s_delay_alu instid0(VALU_DEP_3) | instskip(NEXT) | instid1(VALU_DEP_3)
	v_ashrrev_i32_e32 v48, 31, v47
	v_lshlrev_b32_e32 v17, 2, v1
	s_waitcnt vmcnt(0)
	v_subrev_nc_u32_e32 v1, s12, v89
	s_delay_alu instid0(VALU_DEP_3)
	v_lshlrev_b64 v[47:48], 3, v[47:48]
	s_waitcnt lgkmcnt(0)
	v_add_co_u32 v39, vcc_lo, s4, v23
	v_add_co_ci_u32_e32 v40, vcc_lo, s5, v24, vcc_lo
	v_ashrrev_i32_e32 v18, 31, v17
	global_load_b128 v[23:26], v[4:5], off offset:16
	global_load_b128 v[27:30], v[39:40], off
	s_clause 0x1
	global_load_b128 v[31:34], v[4:5], off offset:32
	global_load_b128 v[35:38], v[4:5], off offset:48
	;; [unrolled: 1-line block ×4, first 2 shown]
	v_add_co_u32 v63, vcc_lo, s4, v47
	v_add_co_ci_u32_e32 v64, vcc_lo, s5, v48, vcc_lo
	global_load_b128 v[47:50], v[4:5], off offset:528
	global_load_b128 v[51:54], v[63:64], off
	s_clause 0x1
	global_load_b128 v[55:58], v[4:5], off offset:544
	global_load_b128 v[59:62], v[4:5], off offset:560
	;; [unrolled: 1-line block ×4, first 2 shown]
	v_lshlrev_b64 v[17:18], 3, v[17:18]
	s_delay_alu instid0(VALU_DEP_1) | instskip(NEXT) | instid1(VALU_DEP_2)
	v_add_co_u32 v83, vcc_lo, s4, v17
	v_add_co_ci_u32_e32 v84, vcc_lo, s5, v18, vcc_lo
	global_load_b128 v[17:20], v[4:5], off offset:1040
	global_load_b128 v[71:74], v[83:84], off
	s_waitcnt vmcnt(13)
	v_cvt_f64_f32_e32 v[85:86], v23
	v_cvt_f64_f32_e32 v[23:24], v24
	;; [unrolled: 1-line block ×4, first 2 shown]
	s_waitcnt vmcnt(12)
	v_fma_f64 v[75:76], v[75:76], v[27:28], v[11:12]
	v_fma_f64 v[15:16], v[77:78], v[27:28], v[15:16]
	;; [unrolled: 1-line block ×4, first 2 shown]
	global_load_b128 v[11:14], v[4:5], off offset:1056
	s_waitcnt vmcnt(12)
	v_cvt_f64_f32_e32 v[79:80], v31
	v_cvt_f64_f32_e32 v[31:32], v32
	;; [unrolled: 1-line block ×4, first 2 shown]
	v_fma_f64 v[75:76], v[85:86], v[29:30], v[75:76]
	v_fma_f64 v[15:16], v[23:24], v[29:30], v[15:16]
	;; [unrolled: 1-line block ×4, first 2 shown]
	global_load_b128 v[23:26], v[4:5], off offset:1072
	global_load_b128 v[27:30], v[83:84], off offset:16
	s_waitcnt vmcnt(13)
	v_cvt_f64_f32_e32 v[83:84], v35
	v_cvt_f64_f32_e32 v[35:36], v36
	;; [unrolled: 1-line block ×4, first 2 shown]
	s_waitcnt vmcnt(10)
	v_cvt_f64_f32_e32 v[87:88], v49
	v_cvt_f64_f32_e32 v[49:50], v50
	v_fma_f64 v[75:76], v[79:80], v[39:40], v[75:76]
	v_fma_f64 v[15:16], v[31:32], v[39:40], v[15:16]
	;; [unrolled: 1-line block ×4, first 2 shown]
	global_load_b128 v[31:34], v[4:5], off offset:1536
	v_cvt_f64_f32_e32 v[79:80], v43
	v_cvt_f64_f32_e32 v[43:44], v44
	;; [unrolled: 1-line block ×4, first 2 shown]
	v_lshlrev_b32_e32 v39, 2, v1
	s_delay_alu instid0(VALU_DEP_1)
	v_ashrrev_i32_e32 v40, 31, v39
	v_fma_f64 v[75:76], v[83:84], v[41:42], v[75:76]
	v_fma_f64 v[15:16], v[35:36], v[41:42], v[15:16]
	;; [unrolled: 1-line block ×4, first 2 shown]
	v_lshlrev_b64 v[35:36], 3, v[39:40]
	v_cvt_f64_f32_e32 v[85:86], v47
	v_cvt_f64_f32_e32 v[47:48], v48
	s_delay_alu instid0(VALU_DEP_3) | instskip(NEXT) | instid1(VALU_DEP_4)
	v_add_co_u32 v83, vcc_lo, s4, v35
	v_add_co_ci_u32_e32 v84, vcc_lo, s5, v36, vcc_lo
	global_load_b128 v[35:38], v[4:5], off offset:1552
	global_load_b128 v[39:42], v[83:84], off
	v_cmp_ge_i32_e32 vcc_lo, v0, v22
	s_or_b32 s7, vcc_lo, s7
	s_waitcnt vmcnt(12)
	v_fma_f64 v[75:76], v[79:80], v[51:52], v[75:76]
	v_fma_f64 v[15:16], v[43:44], v[51:52], v[15:16]
	v_fma_f64 v[77:78], v[81:82], v[51:52], v[77:78]
	v_fma_f64 v[6:7], v[45:46], v[51:52], v[6:7]
	global_load_b128 v[43:46], v[4:5], off offset:1568
	s_waitcnt vmcnt(12)
	v_cvt_f64_f32_e32 v[79:80], v55
	v_cvt_f64_f32_e32 v[55:56], v56
	;; [unrolled: 1-line block ×4, first 2 shown]
	v_fma_f64 v[75:76], v[85:86], v[53:54], v[75:76]
	v_fma_f64 v[15:16], v[47:48], v[53:54], v[15:16]
	;; [unrolled: 1-line block ×4, first 2 shown]
	global_load_b128 v[47:50], v[4:5], off offset:1584
	global_load_b128 v[51:54], v[83:84], off offset:16
	s_waitcnt vmcnt(13)
	v_cvt_f64_f32_e32 v[83:84], v59
	v_cvt_f64_f32_e32 v[59:60], v60
	;; [unrolled: 1-line block ×4, first 2 shown]
	v_add_co_u32 v4, s2, 0x800, v4
	s_delay_alu instid0(VALU_DEP_1)
	v_add_co_ci_u32_e64 v5, s2, 0, v5, s2
	s_waitcnt vmcnt(12)
	v_fma_f64 v[75:76], v[79:80], v[63:64], v[75:76]
	v_fma_f64 v[15:16], v[55:56], v[63:64], v[15:16]
	v_fma_f64 v[55:56], v[81:82], v[63:64], v[77:78]
	v_fma_f64 v[6:7], v[57:58], v[63:64], v[6:7]
	s_waitcnt vmcnt(11)
	v_cvt_f64_f32_e32 v[57:58], v67
	v_cvt_f64_f32_e32 v[63:64], v68
	v_cvt_f64_f32_e32 v[67:68], v69
	v_cvt_f64_f32_e32 v[69:70], v70
	v_fma_f64 v[75:76], v[83:84], v[65:66], v[75:76]
	v_fma_f64 v[15:16], v[59:60], v[65:66], v[15:16]
	v_fma_f64 v[55:56], v[85:86], v[65:66], v[55:56]
	v_fma_f64 v[6:7], v[61:62], v[65:66], v[6:7]
	s_waitcnt vmcnt(10)
	v_cvt_f64_f32_e32 v[59:60], v17
	v_cvt_f64_f32_e32 v[17:18], v18
	v_cvt_f64_f32_e32 v[61:62], v19
	v_cvt_f64_f32_e32 v[19:20], v20
	s_waitcnt vmcnt(9)
	v_fma_f64 v[57:58], v[57:58], v[71:72], v[75:76]
	v_fma_f64 v[15:16], v[63:64], v[71:72], v[15:16]
	v_fma_f64 v[55:56], v[67:68], v[71:72], v[55:56]
	v_fma_f64 v[6:7], v[69:70], v[71:72], v[6:7]
	s_waitcnt vmcnt(8)
	v_cvt_f64_f32_e32 v[63:64], v11
	v_cvt_f64_f32_e32 v[11:12], v12
	v_cvt_f64_f32_e32 v[65:66], v13
	v_cvt_f64_f32_e32 v[13:14], v14
	v_fma_f64 v[57:58], v[59:60], v[73:74], v[57:58]
	v_fma_f64 v[15:16], v[17:18], v[73:74], v[15:16]
	v_fma_f64 v[17:18], v[61:62], v[73:74], v[55:56]
	v_fma_f64 v[6:7], v[19:20], v[73:74], v[6:7]
	s_waitcnt vmcnt(7)
	v_cvt_f64_f32_e32 v[19:20], v23
	v_cvt_f64_f32_e32 v[23:24], v24
	v_cvt_f64_f32_e32 v[55:56], v25
	v_cvt_f64_f32_e32 v[25:26], v26
	;; [unrolled: 19-line block ×4, first 2 shown]
	s_waitcnt vmcnt(0)
	v_fma_f64 v[13:14], v[17:18], v[51:52], v[13:14]
	v_fma_f64 v[17:18], v[19:20], v[51:52], v[11:12]
	v_fma_f64 v[19:20], v[27:28], v[51:52], v[15:16]
	v_fma_f64 v[6:7], v[31:32], v[51:52], v[6:7]
	s_delay_alu instid0(VALU_DEP_4) | instskip(NEXT) | instid1(VALU_DEP_4)
	v_fma_f64 v[11:12], v[23:24], v[53:54], v[13:14]
	v_fma_f64 v[15:16], v[25:26], v[53:54], v[17:18]
	s_delay_alu instid0(VALU_DEP_4) | instskip(NEXT) | instid1(VALU_DEP_4)
	v_fma_f64 v[13:14], v[29:30], v[53:54], v[19:20]
	v_fma_f64 v[6:7], v[33:34], v[53:54], v[6:7]
	s_and_not1_b32 exec_lo, exec_lo, s7
	s_cbranch_execnz .LBB151_33
; %bb.34:
	s_or_b32 exec_lo, exec_lo, s7
.LBB151_35:
	s_delay_alu instid0(SALU_CYCLE_1)
	s_or_b32 exec_lo, exec_lo, s6
.LBB151_36:
	s_delay_alu instid0(SALU_CYCLE_1)
	s_or_b32 exec_lo, exec_lo, s3
.LBB151_37:
	v_mbcnt_lo_u32_b32 v24, -1, 0
	s_delay_alu instid0(VALU_DEP_1) | instskip(NEXT) | instid1(VALU_DEP_1)
	v_xor_b32_e32 v0, 4, v24
	v_cmp_gt_i32_e32 vcc_lo, 32, v0
	v_cndmask_b32_e32 v0, v24, v0, vcc_lo
	s_delay_alu instid0(VALU_DEP_1)
	v_lshlrev_b32_e32 v20, 2, v0
	ds_bpermute_b32 v0, v20, v11
	ds_bpermute_b32 v1, v20, v12
	;; [unrolled: 1-line block ×8, first 2 shown]
	s_waitcnt lgkmcnt(0)
	v_add_f64 v[0:1], v[11:12], v[0:1]
	v_add_f64 v[4:5], v[15:16], v[4:5]
	;; [unrolled: 1-line block ×4, first 2 shown]
	v_xor_b32_e32 v6, 2, v24
	s_delay_alu instid0(VALU_DEP_1) | instskip(SKIP_1) | instid1(VALU_DEP_1)
	v_cmp_gt_i32_e32 vcc_lo, 32, v6
	v_cndmask_b32_e32 v6, v24, v6, vcc_lo
	v_lshlrev_b32_e32 v11, 2, v6
	ds_bpermute_b32 v6, v11, v0
	ds_bpermute_b32 v7, v11, v1
	;; [unrolled: 1-line block ×8, first 2 shown]
	s_waitcnt lgkmcnt(6)
	v_add_f64 v[11:12], v[0:1], v[6:7]
	s_waitcnt lgkmcnt(4)
	v_add_f64 v[6:7], v[4:5], v[17:18]
	;; [unrolled: 2-line block ×3, first 2 shown]
	v_xor_b32_e32 v13, 1, v24
	s_waitcnt lgkmcnt(0)
	v_add_f64 v[4:5], v[15:16], v[22:23]
	s_delay_alu instid0(VALU_DEP_2) | instskip(SKIP_2) | instid1(VALU_DEP_2)
	v_cmp_gt_i32_e32 vcc_lo, 32, v13
	v_cndmask_b32_e32 v13, v24, v13, vcc_lo
	v_cmp_eq_u32_e32 vcc_lo, 7, v21
	v_lshlrev_b32_e32 v14, 2, v13
	ds_bpermute_b32 v19, v14, v11
	ds_bpermute_b32 v20, v14, v12
	;; [unrolled: 1-line block ×8, first 2 shown]
	s_and_b32 exec_lo, exec_lo, vcc_lo
	s_cbranch_execz .LBB151_10
; %bb.38:
	s_waitcnt lgkmcnt(6)
	v_add_f64 v[11:12], v[11:12], v[19:20]
	s_waitcnt lgkmcnt(4)
	v_add_f64 v[6:7], v[6:7], v[17:18]
	;; [unrolled: 2-line block ×4, first 2 shown]
	s_load_b64 s[0:1], s[0:1], 0x50
	v_lshlrev_b32_e32 v10, 2, v10
	s_mov_b32 s2, exec_lo
	v_mul_f64 v[4:5], v[2:3], v[11:12]
	v_mul_f64 v[6:7], v[2:3], v[6:7]
	;; [unrolled: 1-line block ×4, first 2 shown]
	v_cmpx_eq_f64_e32 0, v[8:9]
	s_xor_b32 s2, exec_lo, s2
	s_cbranch_execz .LBB151_40
; %bb.39:
	v_ashrrev_i32_e32 v11, 31, v10
	s_delay_alu instid0(VALU_DEP_1) | instskip(SKIP_1) | instid1(VALU_DEP_1)
	v_lshlrev_b64 v[8:9], 3, v[10:11]
                                        ; implicit-def: $vgpr10
	s_waitcnt lgkmcnt(0)
	v_add_co_u32 v8, vcc_lo, s0, v8
	s_delay_alu instid0(VALU_DEP_2)
	v_add_co_ci_u32_e32 v9, vcc_lo, s1, v9, vcc_lo
	s_clause 0x1
	global_store_b128 v[8:9], v[4:7], off
	global_store_b128 v[8:9], v[0:3], off offset:16
                                        ; implicit-def: $vgpr8_vgpr9
                                        ; implicit-def: $vgpr4_vgpr5
                                        ; implicit-def: $vgpr0_vgpr1
.LBB151_40:
	s_and_not1_saveexec_b32 s2, s2
	s_cbranch_execz .LBB151_10
; %bb.41:
	v_ashrrev_i32_e32 v11, 31, v10
	s_delay_alu instid0(VALU_DEP_1) | instskip(SKIP_1) | instid1(VALU_DEP_1)
	v_lshlrev_b64 v[10:11], 3, v[10:11]
	s_waitcnt lgkmcnt(0)
	v_add_co_u32 v18, vcc_lo, s0, v10
	s_delay_alu instid0(VALU_DEP_2)
	v_add_co_ci_u32_e32 v19, vcc_lo, s1, v11, vcc_lo
	s_clause 0x1
	global_load_b128 v[10:13], v[18:19], off
	global_load_b128 v[14:17], v[18:19], off offset:16
	s_waitcnt vmcnt(1)
	v_fma_f64 v[4:5], v[8:9], v[10:11], v[4:5]
	v_fma_f64 v[6:7], v[8:9], v[12:13], v[6:7]
	s_waitcnt vmcnt(0)
	v_fma_f64 v[0:1], v[8:9], v[14:15], v[0:1]
	v_fma_f64 v[2:3], v[8:9], v[16:17], v[2:3]
	s_clause 0x1
	global_store_b128 v[18:19], v[4:7], off
	global_store_b128 v[18:19], v[0:3], off offset:16
	s_nop 0
	s_sendmsg sendmsg(MSG_DEALLOC_VGPRS)
	s_endpgm
	.section	.rodata,"a",@progbits
	.p2align	6, 0x0
	.amdhsa_kernel _ZN9rocsparseL18bsrxmvn_4x4_kernelILj128ELj8EdiifddEEvT3_20rocsparse_direction_NS_24const_host_device_scalarIT1_EES1_PKS1_PKT2_SA_S7_PKT4_PKT5_S5_PT6_21rocsparse_index_base_b
		.amdhsa_group_segment_fixed_size 0
		.amdhsa_private_segment_fixed_size 0
		.amdhsa_kernarg_size 96
		.amdhsa_user_sgpr_count 15
		.amdhsa_user_sgpr_dispatch_ptr 0
		.amdhsa_user_sgpr_queue_ptr 0
		.amdhsa_user_sgpr_kernarg_segment_ptr 1
		.amdhsa_user_sgpr_dispatch_id 0
		.amdhsa_user_sgpr_private_segment_size 0
		.amdhsa_wavefront_size32 1
		.amdhsa_uses_dynamic_stack 0
		.amdhsa_enable_private_segment 0
		.amdhsa_system_sgpr_workgroup_id_x 1
		.amdhsa_system_sgpr_workgroup_id_y 0
		.amdhsa_system_sgpr_workgroup_id_z 0
		.amdhsa_system_sgpr_workgroup_info 0
		.amdhsa_system_vgpr_workitem_id 0
		.amdhsa_next_free_vgpr 105
		.amdhsa_next_free_sgpr 16
		.amdhsa_reserve_vcc 1
		.amdhsa_float_round_mode_32 0
		.amdhsa_float_round_mode_16_64 0
		.amdhsa_float_denorm_mode_32 3
		.amdhsa_float_denorm_mode_16_64 3
		.amdhsa_dx10_clamp 1
		.amdhsa_ieee_mode 1
		.amdhsa_fp16_overflow 0
		.amdhsa_workgroup_processor_mode 1
		.amdhsa_memory_ordered 1
		.amdhsa_forward_progress 0
		.amdhsa_shared_vgpr_count 0
		.amdhsa_exception_fp_ieee_invalid_op 0
		.amdhsa_exception_fp_denorm_src 0
		.amdhsa_exception_fp_ieee_div_zero 0
		.amdhsa_exception_fp_ieee_overflow 0
		.amdhsa_exception_fp_ieee_underflow 0
		.amdhsa_exception_fp_ieee_inexact 0
		.amdhsa_exception_int_div_zero 0
	.end_amdhsa_kernel
	.section	.text._ZN9rocsparseL18bsrxmvn_4x4_kernelILj128ELj8EdiifddEEvT3_20rocsparse_direction_NS_24const_host_device_scalarIT1_EES1_PKS1_PKT2_SA_S7_PKT4_PKT5_S5_PT6_21rocsparse_index_base_b,"axG",@progbits,_ZN9rocsparseL18bsrxmvn_4x4_kernelILj128ELj8EdiifddEEvT3_20rocsparse_direction_NS_24const_host_device_scalarIT1_EES1_PKS1_PKT2_SA_S7_PKT4_PKT5_S5_PT6_21rocsparse_index_base_b,comdat
.Lfunc_end151:
	.size	_ZN9rocsparseL18bsrxmvn_4x4_kernelILj128ELj8EdiifddEEvT3_20rocsparse_direction_NS_24const_host_device_scalarIT1_EES1_PKS1_PKT2_SA_S7_PKT4_PKT5_S5_PT6_21rocsparse_index_base_b, .Lfunc_end151-_ZN9rocsparseL18bsrxmvn_4x4_kernelILj128ELj8EdiifddEEvT3_20rocsparse_direction_NS_24const_host_device_scalarIT1_EES1_PKS1_PKT2_SA_S7_PKT4_PKT5_S5_PT6_21rocsparse_index_base_b
                                        ; -- End function
	.section	.AMDGPU.csdata,"",@progbits
; Kernel info:
; codeLenInByte = 5240
; NumSgprs: 18
; NumVgprs: 105
; ScratchSize: 0
; MemoryBound: 0
; FloatMode: 240
; IeeeMode: 1
; LDSByteSize: 0 bytes/workgroup (compile time only)
; SGPRBlocks: 2
; VGPRBlocks: 13
; NumSGPRsForWavesPerEU: 18
; NumVGPRsForWavesPerEU: 105
; Occupancy: 12
; WaveLimiterHint : 1
; COMPUTE_PGM_RSRC2:SCRATCH_EN: 0
; COMPUTE_PGM_RSRC2:USER_SGPR: 15
; COMPUTE_PGM_RSRC2:TRAP_HANDLER: 0
; COMPUTE_PGM_RSRC2:TGID_X_EN: 1
; COMPUTE_PGM_RSRC2:TGID_Y_EN: 0
; COMPUTE_PGM_RSRC2:TGID_Z_EN: 0
; COMPUTE_PGM_RSRC2:TIDIG_COMP_CNT: 0
	.section	.text._ZN9rocsparseL18bsrxmvn_4x4_kernelILj128ELj16EdiifddEEvT3_20rocsparse_direction_NS_24const_host_device_scalarIT1_EES1_PKS1_PKT2_SA_S7_PKT4_PKT5_S5_PT6_21rocsparse_index_base_b,"axG",@progbits,_ZN9rocsparseL18bsrxmvn_4x4_kernelILj128ELj16EdiifddEEvT3_20rocsparse_direction_NS_24const_host_device_scalarIT1_EES1_PKS1_PKT2_SA_S7_PKT4_PKT5_S5_PT6_21rocsparse_index_base_b,comdat
	.globl	_ZN9rocsparseL18bsrxmvn_4x4_kernelILj128ELj16EdiifddEEvT3_20rocsparse_direction_NS_24const_host_device_scalarIT1_EES1_PKS1_PKT2_SA_S7_PKT4_PKT5_S5_PT6_21rocsparse_index_base_b ; -- Begin function _ZN9rocsparseL18bsrxmvn_4x4_kernelILj128ELj16EdiifddEEvT3_20rocsparse_direction_NS_24const_host_device_scalarIT1_EES1_PKS1_PKT2_SA_S7_PKT4_PKT5_S5_PT6_21rocsparse_index_base_b
	.p2align	8
	.type	_ZN9rocsparseL18bsrxmvn_4x4_kernelILj128ELj16EdiifddEEvT3_20rocsparse_direction_NS_24const_host_device_scalarIT1_EES1_PKS1_PKT2_SA_S7_PKT4_PKT5_S5_PT6_21rocsparse_index_base_b,@function
_ZN9rocsparseL18bsrxmvn_4x4_kernelILj128ELj16EdiifddEEvT3_20rocsparse_direction_NS_24const_host_device_scalarIT1_EES1_PKS1_PKT2_SA_S7_PKT4_PKT5_S5_PT6_21rocsparse_index_base_b: ; @_ZN9rocsparseL18bsrxmvn_4x4_kernelILj128ELj16EdiifddEEvT3_20rocsparse_direction_NS_24const_host_device_scalarIT1_EES1_PKS1_PKT2_SA_S7_PKT4_PKT5_S5_PT6_21rocsparse_index_base_b
; %bb.0:
	s_clause 0x2
	s_load_b64 s[12:13], s[0:1], 0x58
	s_load_b64 s[4:5], s[0:1], 0x8
	;; [unrolled: 1-line block ×3, first 2 shown]
	s_waitcnt lgkmcnt(0)
	s_bitcmp1_b32 s13, 0
	v_dual_mov_b32 v2, s4 :: v_dual_mov_b32 v3, s5
	s_cselect_b32 s6, -1, 0
	s_delay_alu instid0(SALU_CYCLE_1)
	s_and_b32 vcc_lo, exec_lo, s6
	s_xor_b32 s6, s6, -1
	s_cbranch_vccnz .LBB152_2
; %bb.1:
	v_dual_mov_b32 v1, s4 :: v_dual_mov_b32 v2, s5
	flat_load_b64 v[2:3], v[1:2]
.LBB152_2:
	v_dual_mov_b32 v9, s3 :: v_dual_mov_b32 v8, s2
	s_and_not1_b32 vcc_lo, exec_lo, s6
	s_cbranch_vccnz .LBB152_4
; %bb.3:
	v_dual_mov_b32 v5, s3 :: v_dual_mov_b32 v4, s2
	flat_load_b64 v[8:9], v[4:5]
.LBB152_4:
	s_waitcnt vmcnt(0) lgkmcnt(0)
	v_cmp_neq_f64_e32 vcc_lo, 0, v[2:3]
	v_cmp_neq_f64_e64 s2, 1.0, v[8:9]
	s_delay_alu instid0(VALU_DEP_1) | instskip(NEXT) | instid1(SALU_CYCLE_1)
	s_or_b32 s2, vcc_lo, s2
	s_and_saveexec_b32 s3, s2
	s_cbranch_execz .LBB152_10
; %bb.5:
	s_clause 0x1
	s_load_b64 s[4:5], s[0:1], 0x18
	s_load_b64 s[2:3], s[0:1], 0x0
	v_lshrrev_b32_e32 v1, 4, v0
	s_delay_alu instid0(VALU_DEP_1)
	v_lshl_or_b32 v10, s15, 3, v1
	s_waitcnt lgkmcnt(0)
	s_cmp_lg_u64 s[4:5], 0
	s_cbranch_scc0 .LBB152_11
; %bb.6:
	s_load_b32 s6, s[0:1], 0x10
	s_mov_b32 s7, 0
                                        ; implicit-def: $vgpr1
	s_waitcnt lgkmcnt(0)
	v_cmp_gt_i32_e32 vcc_lo, s6, v10
	s_mov_b32 s6, 0
	s_and_saveexec_b32 s8, vcc_lo
	s_delay_alu instid0(SALU_CYCLE_1)
	s_xor_b32 s8, exec_lo, s8
	s_cbranch_execz .LBB152_8
; %bb.7:
	v_ashrrev_i32_e32 v11, 31, v10
	s_mov_b32 s6, exec_lo
	s_delay_alu instid0(VALU_DEP_1) | instskip(NEXT) | instid1(VALU_DEP_1)
	v_lshlrev_b64 v[4:5], 2, v[10:11]
	v_add_co_u32 v4, vcc_lo, s4, v4
	s_delay_alu instid0(VALU_DEP_2)
	v_add_co_ci_u32_e32 v5, vcc_lo, s5, v5, vcc_lo
	global_load_b32 v1, v[4:5], off
	s_waitcnt vmcnt(0)
	v_subrev_nc_u32_e32 v1, s12, v1
.LBB152_8:
	s_or_b32 exec_lo, exec_lo, s8
	s_delay_alu instid0(SALU_CYCLE_1)
	s_and_b32 vcc_lo, exec_lo, s7
	s_cbranch_vccz .LBB152_12
.LBB152_9:
	v_cmp_gt_i32_e32 vcc_lo, s2, v10
	s_and_not1_b32 s2, s6, exec_lo
	s_and_b32 s4, vcc_lo, exec_lo
	s_delay_alu instid0(SALU_CYCLE_1) | instskip(NEXT) | instid1(SALU_CYCLE_1)
	s_or_b32 s6, s2, s4
	s_and_b32 exec_lo, exec_lo, s6
	s_cbranch_execnz .LBB152_13
.LBB152_10:
	s_nop 0
	s_sendmsg sendmsg(MSG_DEALLOC_VGPRS)
	s_endpgm
.LBB152_11:
	s_mov_b32 s6, 0
                                        ; implicit-def: $vgpr1
	s_cbranch_execnz .LBB152_9
.LBB152_12:
	s_delay_alu instid0(VALU_DEP_1)
	v_mov_b32_e32 v10, v1
	s_and_b32 exec_lo, exec_lo, s6
	s_cbranch_execz .LBB152_10
.LBB152_13:
	s_load_b256 s[4:11], s[0:1], 0x20
	s_delay_alu instid0(VALU_DEP_1) | instskip(SKIP_1) | instid1(VALU_DEP_2)
	v_ashrrev_i32_e32 v11, 31, v10
	v_and_b32_e32 v21, 15, v0
	v_lshlrev_b64 v[4:5], 2, v[10:11]
	s_waitcnt lgkmcnt(0)
	s_delay_alu instid0(VALU_DEP_1) | instskip(NEXT) | instid1(VALU_DEP_2)
	v_add_co_u32 v6, vcc_lo, s4, v4
	v_add_co_ci_u32_e32 v7, vcc_lo, s5, v5, vcc_lo
	v_add_co_u32 v1, vcc_lo, s6, v4
	v_add_co_ci_u32_e32 v4, vcc_lo, s7, v5, vcc_lo
	global_load_b32 v23, v[6:7], off
	v_add_co_u32 v6, vcc_lo, v6, 4
	v_add_co_ci_u32_e32 v5, vcc_lo, 0, v7, vcc_lo
	s_cmp_eq_u64 s[6:7], 0
	s_load_b64 s[4:5], s[0:1], 0x40
	s_cselect_b32 vcc_lo, -1, 0
	s_cmp_eq_u32 s3, 1
	v_dual_cndmask_b32 v5, v4, v5 :: v_dual_cndmask_b32 v4, v1, v6
	global_load_b32 v6, v[4:5], off
	s_waitcnt vmcnt(1)
	v_subrev_nc_u32_e32 v0, s12, v23
	s_delay_alu instid0(VALU_DEP_1) | instskip(NEXT) | instid1(VALU_DEP_1)
	v_add_nc_u32_e32 v0, v0, v21
	v_ashrrev_i32_e32 v1, 31, v0
	s_waitcnt vmcnt(0)
	v_subrev_nc_u32_e32 v22, s12, v6
	s_delay_alu instid0(VALU_DEP_2) | instskip(NEXT) | instid1(VALU_DEP_2)
	v_lshlrev_b64 v[4:5], 6, v[0:1]
	v_cmp_lt_i32_e64 s2, v0, v22
	s_delay_alu instid0(VALU_DEP_2) | instskip(NEXT) | instid1(VALU_DEP_3)
	v_add_co_u32 v4, vcc_lo, s10, v4
	v_add_co_ci_u32_e32 v5, vcc_lo, s11, v5, vcc_lo
	s_cbranch_scc1 .LBB152_25
; %bb.14:
	v_mov_b32_e32 v6, 0
	v_mov_b32_e32 v7, 0
	s_delay_alu instid0(VALU_DEP_1)
	v_dual_mov_b32 v14, v7 :: v_dual_mov_b32 v13, v6
	v_dual_mov_b32 v16, v7 :: v_dual_mov_b32 v15, v6
	v_dual_mov_b32 v12, v7 :: v_dual_mov_b32 v11, v6
	s_and_saveexec_b32 s6, s2
	s_cbranch_execz .LBB152_24
; %bb.15:
	v_add_nc_u32_e32 v1, v23, v21
	v_mov_b32_e32 v11, 0
	v_mov_b32_e32 v12, 0
	v_not_b32_e32 v6, v23
	s_mov_b32 s10, 0
	v_subrev_nc_u32_e32 v1, s12, v1
	s_mov_b32 s7, exec_lo
	v_dual_mov_b32 v16, v12 :: v_dual_mov_b32 v15, v11
	s_delay_alu instid0(VALU_DEP_2) | instskip(SKIP_3) | instid1(VALU_DEP_4)
	v_dual_mov_b32 v14, v12 :: v_dual_add_nc_u32 v1, 16, v1
	v_dual_mov_b32 v13, v11 :: v_dual_mov_b32 v20, v5
	v_mov_b32_e32 v19, v4
	v_mov_b32_e32 v17, v0
	v_max_i32_e32 v1, v1, v22
	s_delay_alu instid0(VALU_DEP_1) | instskip(NEXT) | instid1(VALU_DEP_1)
	v_add3_u32 v1, v1, s12, v6
	v_sub_nc_u32_e32 v1, v1, v21
	s_delay_alu instid0(VALU_DEP_1) | instskip(NEXT) | instid1(VALU_DEP_1)
	v_lshrrev_b32_e32 v6, 4, v1
	v_add_nc_u32_e32 v6, 1, v6
	s_delay_alu instid0(VALU_DEP_1) | instskip(SKIP_1) | instid1(VALU_DEP_2)
	v_and_b32_e32 v18, 3, v6
	v_dual_mov_b32 v6, v11 :: v_dual_mov_b32 v7, v12
	v_cmpx_ne_u32_e32 0, v18
	s_cbranch_execz .LBB152_19
; %bb.16:
	v_mov_b32_e32 v6, 0
	v_dual_mov_b32 v7, 0 :: v_dual_lshlrev_b32 v24, 6, v18
	v_dual_mov_b32 v20, v5 :: v_dual_mov_b32 v17, v0
	s_delay_alu instid0(VALU_DEP_2) | instskip(NEXT) | instid1(VALU_DEP_4)
	v_dual_mov_b32 v19, v4 :: v_dual_mov_b32 v14, v7
	v_dual_mov_b32 v13, v6 :: v_dual_mov_b32 v16, v7
	;; [unrolled: 1-line block ×3, first 2 shown]
	v_mov_b32_e32 v11, v6
.LBB152_17:                             ; =>This Inner Loop Header: Depth=1
	v_ashrrev_i32_e32 v18, 31, v17
	v_subrev_nc_u32_e32 v24, 64, v24
	s_delay_alu instid0(VALU_DEP_2) | instskip(NEXT) | instid1(VALU_DEP_2)
	v_lshlrev_b64 v[25:26], 2, v[17:18]
	v_cmp_eq_u32_e64 s3, 0, v24
	v_add_nc_u32_e32 v17, 16, v17
	s_delay_alu instid0(VALU_DEP_2) | instskip(NEXT) | instid1(VALU_DEP_3)
	s_or_b32 s10, s3, s10
	v_add_co_u32 v25, vcc_lo, s8, v25
	s_delay_alu instid0(VALU_DEP_4)
	v_add_co_ci_u32_e32 v26, vcc_lo, s9, v26, vcc_lo
	global_load_b32 v18, v[25:26], off
	s_clause 0x3
	global_load_b128 v[25:28], v[19:20], off
	global_load_b128 v[29:32], v[19:20], off offset:16
	global_load_b128 v[33:36], v[19:20], off offset:32
	;; [unrolled: 1-line block ×3, first 2 shown]
	s_waitcnt vmcnt(4)
	v_subrev_nc_u32_e32 v18, s12, v18
	s_waitcnt vmcnt(3)
	v_cvt_f64_f32_e32 v[49:50], v25
	s_waitcnt vmcnt(2)
	v_cvt_f64_f32_e32 v[51:52], v29
	;; [unrolled: 2-line block ×4, first 2 shown]
	v_lshlrev_b32_e32 v41, 2, v18
	v_cvt_f64_f32_e32 v[25:26], v26
	v_cvt_f64_f32_e32 v[29:30], v30
	;; [unrolled: 1-line block ×4, first 2 shown]
	v_ashrrev_i32_e32 v42, 31, v41
	s_delay_alu instid0(VALU_DEP_1) | instskip(SKIP_1) | instid1(VALU_DEP_1)
	v_lshlrev_b64 v[41:42], 3, v[41:42]
	s_waitcnt lgkmcnt(0)
	v_add_co_u32 v45, vcc_lo, s4, v41
	s_delay_alu instid0(VALU_DEP_2)
	v_add_co_ci_u32_e32 v46, vcc_lo, s5, v42, vcc_lo
	v_add_co_u32 v19, vcc_lo, 0x400, v19
	s_clause 0x1
	global_load_b128 v[41:44], v[45:46], off
	global_load_b128 v[45:48], v[45:46], off offset:16
	v_add_co_ci_u32_e32 v20, vcc_lo, 0, v20, vcc_lo
	s_waitcnt vmcnt(1)
	v_fma_f64 v[11:12], v[49:50], v[41:42], v[11:12]
	v_fma_f64 v[15:16], v[51:52], v[41:42], v[15:16]
	;; [unrolled: 1-line block ×4, first 2 shown]
	v_cvt_f64_f32_e32 v[41:42], v27
	v_cvt_f64_f32_e32 v[49:50], v31
	;; [unrolled: 1-line block ×4, first 2 shown]
	v_fma_f64 v[11:12], v[25:26], v[43:44], v[11:12]
	v_fma_f64 v[15:16], v[29:30], v[43:44], v[15:16]
	;; [unrolled: 1-line block ×4, first 2 shown]
	v_cvt_f64_f32_e32 v[25:26], v28
	v_cvt_f64_f32_e32 v[27:28], v32
	v_cvt_f64_f32_e32 v[29:30], v36
	v_cvt_f64_f32_e32 v[31:32], v40
	s_waitcnt vmcnt(0)
	v_fma_f64 v[11:12], v[41:42], v[45:46], v[11:12]
	v_fma_f64 v[15:16], v[49:50], v[45:46], v[15:16]
	;; [unrolled: 1-line block ×4, first 2 shown]
	s_delay_alu instid0(VALU_DEP_4) | instskip(NEXT) | instid1(VALU_DEP_4)
	v_fma_f64 v[11:12], v[25:26], v[47:48], v[11:12]
	v_fma_f64 v[15:16], v[27:28], v[47:48], v[15:16]
	s_delay_alu instid0(VALU_DEP_4) | instskip(NEXT) | instid1(VALU_DEP_4)
	v_fma_f64 v[13:14], v[29:30], v[47:48], v[13:14]
	v_fma_f64 v[6:7], v[31:32], v[47:48], v[6:7]
	s_and_not1_b32 exec_lo, exec_lo, s10
	s_cbranch_execnz .LBB152_17
; %bb.18:
	s_or_b32 exec_lo, exec_lo, s10
.LBB152_19:
	s_delay_alu instid0(SALU_CYCLE_1) | instskip(NEXT) | instid1(SALU_CYCLE_1)
	s_or_b32 exec_lo, exec_lo, s7
	s_mov_b32 s7, exec_lo
	v_cmpx_lt_u32_e32 47, v1
	s_cbranch_execz .LBB152_23
; %bb.20:
	s_mov_b32 s10, 0
.LBB152_21:                             ; =>This Inner Loop Header: Depth=1
	v_ashrrev_i32_e32 v18, 31, v17
	s_delay_alu instid0(VALU_DEP_1) | instskip(SKIP_1) | instid1(VALU_DEP_2)
	v_lshlrev_b64 v[24:25], 2, v[17:18]
	v_add_nc_u32_e32 v17, 64, v17
	v_add_co_u32 v40, vcc_lo, s8, v24
	s_delay_alu instid0(VALU_DEP_3)
	v_add_co_ci_u32_e32 v41, vcc_lo, s9, v25, vcc_lo
	s_clause 0x1
	global_load_b32 v1, v[40:41], off
	global_load_b32 v18, v[40:41], off offset:64
	s_clause 0x3
	global_load_b128 v[24:27], v[19:20], off
	global_load_b128 v[28:31], v[19:20], off offset:16
	global_load_b128 v[32:35], v[19:20], off offset:32
	;; [unrolled: 1-line block ×3, first 2 shown]
	s_clause 0x1
	global_load_b32 v90, v[40:41], off offset:128
	global_load_b32 v104, v[40:41], off offset:192
	s_waitcnt vmcnt(7)
	v_subrev_nc_u32_e32 v1, s12, v1
	s_waitcnt vmcnt(5)
	v_cvt_f64_f32_e32 v[88:89], v24
	s_waitcnt vmcnt(4)
	v_cvt_f64_f32_e32 v[92:93], v28
	;; [unrolled: 2-line block ×3, first 2 shown]
	v_lshlrev_b32_e32 v40, 2, v1
	v_subrev_nc_u32_e32 v1, s12, v18
	s_waitcnt vmcnt(2)
	v_cvt_f64_f32_e32 v[96:97], v36
	v_cvt_f64_f32_e32 v[24:25], v25
	;; [unrolled: 1-line block ×3, first 2 shown]
	v_ashrrev_i32_e32 v41, 31, v40
	v_lshlrev_b32_e32 v64, 2, v1
	s_waitcnt vmcnt(1)
	v_subrev_nc_u32_e32 v1, s12, v90
	v_cvt_f64_f32_e32 v[32:33], v33
	v_cvt_f64_f32_e32 v[36:37], v37
	v_lshlrev_b64 v[40:41], 3, v[40:41]
	v_ashrrev_i32_e32 v65, 31, v64
	v_lshlrev_b32_e32 v90, 2, v1
	v_cvt_f64_f32_e32 v[100:101], v39
	s_waitcnt vmcnt(0)
	v_subrev_nc_u32_e32 v1, s12, v104
	v_lshlrev_b64 v[64:65], 3, v[64:65]
	s_waitcnt lgkmcnt(0)
	v_add_co_u32 v44, vcc_lo, s4, v40
	v_add_co_ci_u32_e32 v45, vcc_lo, s5, v41, vcc_lo
	v_ashrrev_i32_e32 v91, 31, v90
	s_delay_alu instid0(VALU_DEP_4)
	v_add_co_u32 v68, vcc_lo, s4, v64
	s_clause 0x1
	global_load_b128 v[40:43], v[44:45], off
	global_load_b128 v[44:47], v[44:45], off offset:16
	s_clause 0x3
	global_load_b128 v[48:51], v[19:20], off offset:1024
	global_load_b128 v[52:55], v[19:20], off offset:1040
	;; [unrolled: 1-line block ×4, first 2 shown]
	v_add_co_ci_u32_e32 v69, vcc_lo, s5, v65, vcc_lo
	v_lshlrev_b64 v[90:91], 3, v[90:91]
	s_clause 0x1
	global_load_b128 v[64:67], v[68:69], off
	global_load_b128 v[68:71], v[68:69], off offset:16
	s_clause 0x3
	global_load_b128 v[72:75], v[19:20], off offset:2064
	global_load_b128 v[76:79], v[19:20], off offset:2048
	;; [unrolled: 1-line block ×4, first 2 shown]
	v_add_co_u32 v98, vcc_lo, s4, v90
	v_add_co_ci_u32_e32 v99, vcc_lo, s5, v91, vcc_lo
	s_waitcnt vmcnt(11)
	v_fma_f64 v[11:12], v[88:89], v[40:41], v[11:12]
	global_load_b128 v[88:91], v[98:99], off
	v_fma_f64 v[15:16], v[92:93], v[40:41], v[15:16]
	v_fma_f64 v[13:14], v[94:95], v[40:41], v[13:14]
	;; [unrolled: 1-line block ×3, first 2 shown]
	v_cvt_f64_f32_e32 v[40:41], v26
	v_cvt_f64_f32_e32 v[92:93], v34
	v_cvt_f64_f32_e32 v[94:95], v31
	v_cvt_f64_f32_e32 v[96:97], v35
	s_waitcnt vmcnt(9)
	v_cvt_f64_f32_e32 v[102:103], v52
	v_cvt_f64_f32_e32 v[52:53], v53
	v_fma_f64 v[24:25], v[24:25], v[42:43], v[11:12]
	v_fma_f64 v[15:16], v[28:29], v[42:43], v[15:16]
	v_cvt_f64_f32_e32 v[28:29], v30
	v_fma_f64 v[32:33], v[32:33], v[42:43], v[13:14]
	global_load_b128 v[11:14], v[98:99], off offset:16
	v_fma_f64 v[6:7], v[36:37], v[42:43], v[6:7]
	v_cvt_f64_f32_e32 v[36:37], v38
	v_cvt_f64_f32_e32 v[42:43], v27
	v_fma_f64 v[40:41], v[40:41], v[44:45], v[24:25]
	v_fma_f64 v[15:16], v[28:29], v[44:45], v[15:16]
	;; [unrolled: 1-line block ×4, first 2 shown]
	s_clause 0x3
	global_load_b128 v[24:27], v[19:20], off offset:3072
	global_load_b128 v[28:31], v[19:20], off offset:3088
	;; [unrolled: 1-line block ×4, first 2 shown]
	v_cvt_f64_f32_e32 v[44:45], v48
	v_cvt_f64_f32_e32 v[48:49], v49
	v_add_co_u32 v19, s3, 0x1000, v19
	s_delay_alu instid0(VALU_DEP_1)
	v_add_co_ci_u32_e64 v20, s3, 0, v20, s3
	v_fma_f64 v[98:99], v[42:43], v[46:47], v[40:41]
	v_lshlrev_b32_e32 v40, 2, v1
	v_fma_f64 v[15:16], v[94:95], v[46:47], v[15:16]
	s_waitcnt vmcnt(13)
	v_cvt_f64_f32_e32 v[94:95], v56
	v_fma_f64 v[92:93], v[96:97], v[46:47], v[92:93]
	s_waitcnt vmcnt(12)
	v_cvt_f64_f32_e32 v[96:97], v60
	v_fma_f64 v[6:7], v[100:101], v[46:47], v[6:7]
	v_ashrrev_i32_e32 v41, 31, v40
	v_cvt_f64_f32_e32 v[56:57], v57
	v_cvt_f64_f32_e32 v[60:61], v61
	s_delay_alu instid0(VALU_DEP_3) | instskip(NEXT) | instid1(VALU_DEP_1)
	v_lshlrev_b64 v[40:41], 3, v[40:41]
	v_add_co_u32 v46, vcc_lo, s4, v40
	s_delay_alu instid0(VALU_DEP_2)
	v_add_co_ci_u32_e32 v47, vcc_lo, s5, v41, vcc_lo
	v_cmp_ge_i32_e32 vcc_lo, v17, v22
	global_load_b128 v[40:43], v[46:47], off
	s_or_b32 s10, vcc_lo, s10
	s_waitcnt vmcnt(12)
	v_fma_f64 v[44:45], v[44:45], v[64:65], v[98:99]
	v_fma_f64 v[15:16], v[102:103], v[64:65], v[15:16]
	;; [unrolled: 1-line block ×4, first 2 shown]
	v_cvt_f64_f32_e32 v[64:65], v50
	v_cvt_f64_f32_e32 v[50:51], v51
	v_fma_f64 v[48:49], v[48:49], v[66:67], v[44:45]
	global_load_b128 v[44:47], v[46:47], off offset:16
	v_fma_f64 v[15:16], v[52:53], v[66:67], v[15:16]
	v_cvt_f64_f32_e32 v[52:53], v54
	v_fma_f64 v[56:57], v[56:57], v[66:67], v[92:93]
	v_cvt_f64_f32_e32 v[92:93], v58
	v_fma_f64 v[6:7], v[60:61], v[66:67], v[6:7]
	v_cvt_f64_f32_e32 v[60:61], v62
	v_cvt_f64_f32_e32 v[54:55], v55
	v_cvt_f64_f32_e32 v[58:59], v59
	;; [unrolled: 1-line block ×3, first 2 shown]
	s_waitcnt vmcnt(9)
	v_cvt_f64_f32_e32 v[66:67], v80
	v_fma_f64 v[48:49], v[64:65], v[68:69], v[48:49]
	s_waitcnt vmcnt(8)
	v_cvt_f64_f32_e32 v[64:65], v84
	v_fma_f64 v[15:16], v[52:53], v[68:69], v[15:16]
	v_fma_f64 v[52:53], v[92:93], v[68:69], v[56:57]
	v_cvt_f64_f32_e32 v[56:57], v76
	v_fma_f64 v[6:7], v[60:61], v[68:69], v[6:7]
	v_cvt_f64_f32_e32 v[60:61], v72
	v_fma_f64 v[48:49], v[50:51], v[70:71], v[48:49]
	v_fma_f64 v[15:16], v[54:55], v[70:71], v[15:16]
	v_cvt_f64_f32_e32 v[54:55], v73
	v_fma_f64 v[50:51], v[58:59], v[70:71], v[52:53]
	v_cvt_f64_f32_e32 v[52:53], v77
	v_fma_f64 v[6:7], v[62:63], v[70:71], v[6:7]
	v_cvt_f64_f32_e32 v[58:59], v85
	v_cvt_f64_f32_e32 v[62:63], v81
	s_waitcnt vmcnt(7)
	v_fma_f64 v[48:49], v[56:57], v[88:89], v[48:49]
	v_fma_f64 v[15:16], v[60:61], v[88:89], v[15:16]
	;; [unrolled: 1-line block ×4, first 2 shown]
	v_cvt_f64_f32_e32 v[56:57], v78
	v_cvt_f64_f32_e32 v[60:61], v74
	;; [unrolled: 1-line block ×4, first 2 shown]
	v_fma_f64 v[48:49], v[52:53], v[90:91], v[48:49]
	v_fma_f64 v[15:16], v[54:55], v[90:91], v[15:16]
	;; [unrolled: 1-line block ×4, first 2 shown]
	v_cvt_f64_f32_e32 v[52:53], v79
	v_cvt_f64_f32_e32 v[54:55], v75
	;; [unrolled: 1-line block ×4, first 2 shown]
	s_waitcnt vmcnt(6)
	v_fma_f64 v[48:49], v[56:57], v[11:12], v[48:49]
	v_fma_f64 v[15:16], v[60:61], v[11:12], v[15:16]
	;; [unrolled: 1-line block ×4, first 2 shown]
	s_waitcnt vmcnt(5)
	v_cvt_f64_f32_e32 v[11:12], v24
	s_waitcnt vmcnt(4)
	v_cvt_f64_f32_e32 v[56:57], v28
	;; [unrolled: 2-line block ×4, first 2 shown]
	v_fma_f64 v[48:49], v[52:53], v[13:14], v[48:49]
	v_fma_f64 v[15:16], v[54:55], v[13:14], v[15:16]
	v_fma_f64 v[50:51], v[58:59], v[13:14], v[50:51]
	v_fma_f64 v[6:7], v[62:63], v[13:14], v[6:7]
	v_cvt_f64_f32_e32 v[13:14], v25
	v_cvt_f64_f32_e32 v[24:25], v29
	;; [unrolled: 1-line block ×5, first 2 shown]
	s_waitcnt vmcnt(1)
	v_fma_f64 v[11:12], v[11:12], v[40:41], v[48:49]
	v_fma_f64 v[15:16], v[56:57], v[40:41], v[15:16]
	;; [unrolled: 1-line block ×4, first 2 shown]
	v_cvt_f64_f32_e32 v[40:41], v26
	v_cvt_f64_f32_e32 v[48:49], v30
	v_cvt_f64_f32_e32 v[50:51], v34
	v_fma_f64 v[11:12], v[13:14], v[42:43], v[11:12]
	v_fma_f64 v[13:14], v[24:25], v[42:43], v[15:16]
	;; [unrolled: 1-line block ×4, first 2 shown]
	v_cvt_f64_f32_e32 v[24:25], v27
	v_cvt_f64_f32_e32 v[26:27], v31
	;; [unrolled: 1-line block ×4, first 2 shown]
	s_waitcnt vmcnt(0)
	v_fma_f64 v[11:12], v[40:41], v[44:45], v[11:12]
	v_fma_f64 v[13:14], v[48:49], v[44:45], v[13:14]
	;; [unrolled: 1-line block ×4, first 2 shown]
	s_delay_alu instid0(VALU_DEP_4) | instskip(NEXT) | instid1(VALU_DEP_4)
	v_fma_f64 v[11:12], v[24:25], v[46:47], v[11:12]
	v_fma_f64 v[15:16], v[26:27], v[46:47], v[13:14]
	s_delay_alu instid0(VALU_DEP_4) | instskip(NEXT) | instid1(VALU_DEP_4)
	v_fma_f64 v[13:14], v[28:29], v[46:47], v[32:33]
	v_fma_f64 v[6:7], v[30:31], v[46:47], v[6:7]
	s_and_not1_b32 exec_lo, exec_lo, s10
	s_cbranch_execnz .LBB152_21
; %bb.22:
	s_or_b32 exec_lo, exec_lo, s10
.LBB152_23:
	s_delay_alu instid0(SALU_CYCLE_1)
	s_or_b32 exec_lo, exec_lo, s7
.LBB152_24:
	s_delay_alu instid0(SALU_CYCLE_1)
	s_or_b32 exec_lo, exec_lo, s6
	s_cbranch_execz .LBB152_26
	s_branch .LBB152_37
.LBB152_25:
                                        ; implicit-def: $vgpr6_vgpr7
                                        ; implicit-def: $vgpr13_vgpr14
                                        ; implicit-def: $vgpr15_vgpr16
                                        ; implicit-def: $vgpr11_vgpr12
.LBB152_26:
	v_mov_b32_e32 v6, 0
	v_mov_b32_e32 v7, 0
	s_delay_alu instid0(VALU_DEP_1)
	v_dual_mov_b32 v14, v7 :: v_dual_mov_b32 v13, v6
	v_dual_mov_b32 v16, v7 :: v_dual_mov_b32 v15, v6
	;; [unrolled: 1-line block ×3, first 2 shown]
	s_and_saveexec_b32 s3, s2
	s_cbranch_execz .LBB152_36
; %bb.27:
	v_add_nc_u32_e32 v1, v23, v21
	v_mov_b32_e32 v11, 0
	v_mov_b32_e32 v12, 0
	v_not_b32_e32 v6, v23
	s_mov_b32 s7, 0
	v_subrev_nc_u32_e32 v1, s12, v1
	s_mov_b32 s6, exec_lo
	v_dual_mov_b32 v16, v12 :: v_dual_mov_b32 v15, v11
	s_delay_alu instid0(VALU_DEP_2) | instskip(SKIP_1) | instid1(VALU_DEP_2)
	v_dual_mov_b32 v14, v12 :: v_dual_add_nc_u32 v1, 16, v1
	v_mov_b32_e32 v13, v11
	v_max_i32_e32 v1, v1, v22
	s_delay_alu instid0(VALU_DEP_1) | instskip(SKIP_1) | instid1(VALU_DEP_2)
	v_add3_u32 v1, v1, s12, v6
	v_dual_mov_b32 v6, v11 :: v_dual_mov_b32 v7, v12
	v_sub_nc_u32_e32 v17, v1, v21
	s_delay_alu instid0(VALU_DEP_1) | instskip(NEXT) | instid1(VALU_DEP_1)
	v_lshrrev_b32_e32 v1, 4, v17
	v_add_nc_u32_e32 v1, 1, v1
	s_delay_alu instid0(VALU_DEP_1) | instskip(NEXT) | instid1(VALU_DEP_1)
	v_and_b32_e32 v1, 3, v1
	v_cmpx_ne_u32_e32 0, v1
	s_cbranch_execz .LBB152_31
; %bb.28:
	v_mov_b32_e32 v6, 0
	v_dual_mov_b32 v7, 0 :: v_dual_lshlrev_b32 v18, 6, v1
	s_delay_alu instid0(VALU_DEP_1)
	v_dual_mov_b32 v14, v7 :: v_dual_mov_b32 v13, v6
	v_dual_mov_b32 v16, v7 :: v_dual_mov_b32 v15, v6
	;; [unrolled: 1-line block ×3, first 2 shown]
.LBB152_29:                             ; =>This Inner Loop Header: Depth=1
	v_ashrrev_i32_e32 v1, 31, v0
	v_subrev_nc_u32_e32 v18, 64, v18
	s_delay_alu instid0(VALU_DEP_2) | instskip(NEXT) | instid1(VALU_DEP_2)
	v_lshlrev_b64 v[19:20], 2, v[0:1]
	v_cmp_eq_u32_e64 s2, 0, v18
	v_add_nc_u32_e32 v0, 16, v0
	s_delay_alu instid0(VALU_DEP_2) | instskip(NEXT) | instid1(VALU_DEP_3)
	s_or_b32 s7, s2, s7
	v_add_co_u32 v19, vcc_lo, s8, v19
	s_delay_alu instid0(VALU_DEP_4)
	v_add_co_ci_u32_e32 v20, vcc_lo, s9, v20, vcc_lo
	global_load_b32 v1, v[19:20], off
	s_clause 0x1
	global_load_b128 v[23:26], v[4:5], off
	global_load_b128 v[27:30], v[4:5], off offset:16
	s_waitcnt vmcnt(2)
	v_subrev_nc_u32_e32 v1, s12, v1
	s_waitcnt vmcnt(1)
	v_cvt_f64_f32_e32 v[47:48], v25
	v_cvt_f64_f32_e32 v[25:26], v26
	s_waitcnt vmcnt(0)
	v_cvt_f64_f32_e32 v[49:50], v27
	v_cvt_f64_f32_e32 v[27:28], v28
	v_lshlrev_b32_e32 v19, 2, v1
	v_cvt_f64_f32_e32 v[51:52], v29
	v_cvt_f64_f32_e32 v[29:30], v30
	s_delay_alu instid0(VALU_DEP_3) | instskip(NEXT) | instid1(VALU_DEP_1)
	v_ashrrev_i32_e32 v20, 31, v19
	v_lshlrev_b64 v[19:20], 3, v[19:20]
	s_waitcnt lgkmcnt(0)
	s_delay_alu instid0(VALU_DEP_1) | instskip(NEXT) | instid1(VALU_DEP_2)
	v_add_co_u32 v19, vcc_lo, s4, v19
	v_add_co_ci_u32_e32 v20, vcc_lo, s5, v20, vcc_lo
	s_clause 0x1
	global_load_b128 v[31:34], v[19:20], off
	global_load_b128 v[35:38], v[19:20], off offset:16
	s_clause 0x1
	global_load_b128 v[39:42], v[4:5], off offset:32
	global_load_b128 v[43:46], v[4:5], off offset:48
	v_cvt_f64_f32_e32 v[19:20], v23
	v_cvt_f64_f32_e32 v[23:24], v24
	v_add_co_u32 v4, vcc_lo, 0x400, v4
	v_add_co_ci_u32_e32 v5, vcc_lo, 0, v5, vcc_lo
	s_waitcnt vmcnt(3)
	s_delay_alu instid0(VALU_DEP_4) | instskip(NEXT) | instid1(VALU_DEP_4)
	v_fma_f64 v[11:12], v[19:20], v[31:32], v[11:12]
	v_fma_f64 v[15:16], v[23:24], v[31:32], v[15:16]
	;; [unrolled: 1-line block ×4, first 2 shown]
	s_waitcnt vmcnt(1)
	v_cvt_f64_f32_e32 v[19:20], v39
	v_cvt_f64_f32_e32 v[23:24], v40
	;; [unrolled: 1-line block ×4, first 2 shown]
	s_waitcnt vmcnt(0)
	v_cvt_f64_f32_e32 v[39:40], v46
	v_fma_f64 v[11:12], v[49:50], v[33:34], v[11:12]
	v_fma_f64 v[15:16], v[27:28], v[33:34], v[15:16]
	;; [unrolled: 1-line block ×4, first 2 shown]
	v_cvt_f64_f32_e32 v[27:28], v43
	v_cvt_f64_f32_e32 v[29:30], v44
	;; [unrolled: 1-line block ×3, first 2 shown]
	v_fma_f64 v[11:12], v[19:20], v[35:36], v[11:12]
	v_fma_f64 v[15:16], v[23:24], v[35:36], v[15:16]
	;; [unrolled: 1-line block ×4, first 2 shown]
	s_delay_alu instid0(VALU_DEP_4) | instskip(NEXT) | instid1(VALU_DEP_4)
	v_fma_f64 v[11:12], v[27:28], v[37:38], v[11:12]
	v_fma_f64 v[15:16], v[29:30], v[37:38], v[15:16]
	s_delay_alu instid0(VALU_DEP_4) | instskip(NEXT) | instid1(VALU_DEP_4)
	v_fma_f64 v[13:14], v[33:34], v[37:38], v[13:14]
	v_fma_f64 v[6:7], v[39:40], v[37:38], v[6:7]
	s_and_not1_b32 exec_lo, exec_lo, s7
	s_cbranch_execnz .LBB152_29
; %bb.30:
	s_or_b32 exec_lo, exec_lo, s7
.LBB152_31:
	s_delay_alu instid0(SALU_CYCLE_1) | instskip(NEXT) | instid1(SALU_CYCLE_1)
	s_or_b32 exec_lo, exec_lo, s6
	s_mov_b32 s6, exec_lo
	v_cmpx_lt_u32_e32 47, v17
	s_cbranch_execz .LBB152_35
; %bb.32:
	s_mov_b32 s7, 0
.LBB152_33:                             ; =>This Inner Loop Header: Depth=1
	v_ashrrev_i32_e32 v1, 31, v0
	s_delay_alu instid0(VALU_DEP_1) | instskip(SKIP_1) | instid1(VALU_DEP_2)
	v_lshlrev_b64 v[17:18], 2, v[0:1]
	v_add_nc_u32_e32 v0, 64, v0
	v_add_co_u32 v23, vcc_lo, s8, v17
	s_delay_alu instid0(VALU_DEP_3)
	v_add_co_ci_u32_e32 v24, vcc_lo, s9, v18, vcc_lo
	s_clause 0x2
	global_load_b32 v1, v[23:24], off
	global_load_b32 v47, v[23:24], off offset:64
	global_load_b32 v71, v[23:24], off offset:128
	global_load_b128 v[17:20], v[4:5], off
	global_load_b32 v89, v[23:24], off offset:192
	s_waitcnt vmcnt(4)
	v_subrev_nc_u32_e32 v1, s12, v1
	s_waitcnt vmcnt(1)
	v_cvt_f64_f32_e32 v[75:76], v17
	v_cvt_f64_f32_e32 v[77:78], v18
	s_delay_alu instid0(VALU_DEP_3) | instskip(SKIP_3) | instid1(VALU_DEP_4)
	v_lshlrev_b32_e32 v23, 2, v1
	v_subrev_nc_u32_e32 v1, s12, v47
	v_cvt_f64_f32_e32 v[79:80], v19
	v_cvt_f64_f32_e32 v[81:82], v20
	v_ashrrev_i32_e32 v24, 31, v23
	s_delay_alu instid0(VALU_DEP_4) | instskip(SKIP_1) | instid1(VALU_DEP_3)
	v_lshlrev_b32_e32 v47, 2, v1
	v_subrev_nc_u32_e32 v1, s12, v71
	v_lshlrev_b64 v[23:24], 3, v[23:24]
	s_delay_alu instid0(VALU_DEP_3) | instskip(NEXT) | instid1(VALU_DEP_3)
	v_ashrrev_i32_e32 v48, 31, v47
	v_lshlrev_b32_e32 v17, 2, v1
	s_waitcnt vmcnt(0)
	v_subrev_nc_u32_e32 v1, s12, v89
	s_delay_alu instid0(VALU_DEP_3)
	v_lshlrev_b64 v[47:48], 3, v[47:48]
	s_waitcnt lgkmcnt(0)
	v_add_co_u32 v39, vcc_lo, s4, v23
	v_add_co_ci_u32_e32 v40, vcc_lo, s5, v24, vcc_lo
	v_ashrrev_i32_e32 v18, 31, v17
	global_load_b128 v[23:26], v[4:5], off offset:16
	global_load_b128 v[27:30], v[39:40], off
	s_clause 0x1
	global_load_b128 v[31:34], v[4:5], off offset:32
	global_load_b128 v[35:38], v[4:5], off offset:48
	;; [unrolled: 1-line block ×4, first 2 shown]
	v_add_co_u32 v63, vcc_lo, s4, v47
	v_add_co_ci_u32_e32 v64, vcc_lo, s5, v48, vcc_lo
	global_load_b128 v[47:50], v[4:5], off offset:1040
	global_load_b128 v[51:54], v[63:64], off
	s_clause 0x1
	global_load_b128 v[55:58], v[4:5], off offset:1056
	global_load_b128 v[59:62], v[4:5], off offset:1072
	;; [unrolled: 1-line block ×4, first 2 shown]
	v_lshlrev_b64 v[17:18], 3, v[17:18]
	s_delay_alu instid0(VALU_DEP_1) | instskip(NEXT) | instid1(VALU_DEP_2)
	v_add_co_u32 v83, vcc_lo, s4, v17
	v_add_co_ci_u32_e32 v84, vcc_lo, s5, v18, vcc_lo
	global_load_b128 v[17:20], v[4:5], off offset:2064
	global_load_b128 v[71:74], v[83:84], off
	s_waitcnt vmcnt(13)
	v_cvt_f64_f32_e32 v[85:86], v23
	v_cvt_f64_f32_e32 v[23:24], v24
	;; [unrolled: 1-line block ×4, first 2 shown]
	s_waitcnt vmcnt(12)
	v_fma_f64 v[75:76], v[75:76], v[27:28], v[11:12]
	v_fma_f64 v[15:16], v[77:78], v[27:28], v[15:16]
	;; [unrolled: 1-line block ×4, first 2 shown]
	global_load_b128 v[11:14], v[4:5], off offset:2080
	s_waitcnt vmcnt(12)
	v_cvt_f64_f32_e32 v[79:80], v31
	v_cvt_f64_f32_e32 v[31:32], v32
	v_cvt_f64_f32_e32 v[81:82], v33
	v_cvt_f64_f32_e32 v[33:34], v34
	v_fma_f64 v[75:76], v[85:86], v[29:30], v[75:76]
	v_fma_f64 v[15:16], v[23:24], v[29:30], v[15:16]
	;; [unrolled: 1-line block ×4, first 2 shown]
	global_load_b128 v[23:26], v[4:5], off offset:2096
	global_load_b128 v[27:30], v[83:84], off offset:16
	s_waitcnt vmcnt(13)
	v_cvt_f64_f32_e32 v[83:84], v35
	v_cvt_f64_f32_e32 v[35:36], v36
	;; [unrolled: 1-line block ×4, first 2 shown]
	s_waitcnt vmcnt(10)
	v_cvt_f64_f32_e32 v[87:88], v49
	v_cvt_f64_f32_e32 v[49:50], v50
	v_fma_f64 v[75:76], v[79:80], v[39:40], v[75:76]
	v_fma_f64 v[15:16], v[31:32], v[39:40], v[15:16]
	;; [unrolled: 1-line block ×4, first 2 shown]
	global_load_b128 v[31:34], v[4:5], off offset:3072
	v_cvt_f64_f32_e32 v[79:80], v43
	v_cvt_f64_f32_e32 v[43:44], v44
	;; [unrolled: 1-line block ×4, first 2 shown]
	v_lshlrev_b32_e32 v39, 2, v1
	s_delay_alu instid0(VALU_DEP_1)
	v_ashrrev_i32_e32 v40, 31, v39
	v_fma_f64 v[75:76], v[83:84], v[41:42], v[75:76]
	v_fma_f64 v[15:16], v[35:36], v[41:42], v[15:16]
	;; [unrolled: 1-line block ×4, first 2 shown]
	v_lshlrev_b64 v[35:36], 3, v[39:40]
	v_cvt_f64_f32_e32 v[85:86], v47
	v_cvt_f64_f32_e32 v[47:48], v48
	s_delay_alu instid0(VALU_DEP_3) | instskip(NEXT) | instid1(VALU_DEP_4)
	v_add_co_u32 v83, vcc_lo, s4, v35
	v_add_co_ci_u32_e32 v84, vcc_lo, s5, v36, vcc_lo
	global_load_b128 v[35:38], v[4:5], off offset:3088
	global_load_b128 v[39:42], v[83:84], off
	v_cmp_ge_i32_e32 vcc_lo, v0, v22
	s_or_b32 s7, vcc_lo, s7
	s_waitcnt vmcnt(12)
	v_fma_f64 v[75:76], v[79:80], v[51:52], v[75:76]
	v_fma_f64 v[15:16], v[43:44], v[51:52], v[15:16]
	;; [unrolled: 1-line block ×4, first 2 shown]
	global_load_b128 v[43:46], v[4:5], off offset:3104
	s_waitcnt vmcnt(12)
	v_cvt_f64_f32_e32 v[79:80], v55
	v_cvt_f64_f32_e32 v[55:56], v56
	;; [unrolled: 1-line block ×4, first 2 shown]
	v_fma_f64 v[75:76], v[85:86], v[53:54], v[75:76]
	v_fma_f64 v[15:16], v[47:48], v[53:54], v[15:16]
	;; [unrolled: 1-line block ×4, first 2 shown]
	global_load_b128 v[47:50], v[4:5], off offset:3120
	global_load_b128 v[51:54], v[83:84], off offset:16
	s_waitcnt vmcnt(13)
	v_cvt_f64_f32_e32 v[83:84], v59
	v_cvt_f64_f32_e32 v[59:60], v60
	;; [unrolled: 1-line block ×4, first 2 shown]
	v_add_co_u32 v4, s2, 0x1000, v4
	s_delay_alu instid0(VALU_DEP_1)
	v_add_co_ci_u32_e64 v5, s2, 0, v5, s2
	s_waitcnt vmcnt(12)
	v_fma_f64 v[75:76], v[79:80], v[63:64], v[75:76]
	v_fma_f64 v[15:16], v[55:56], v[63:64], v[15:16]
	v_fma_f64 v[55:56], v[81:82], v[63:64], v[77:78]
	v_fma_f64 v[6:7], v[57:58], v[63:64], v[6:7]
	s_waitcnt vmcnt(11)
	v_cvt_f64_f32_e32 v[57:58], v67
	v_cvt_f64_f32_e32 v[63:64], v68
	v_cvt_f64_f32_e32 v[67:68], v69
	v_cvt_f64_f32_e32 v[69:70], v70
	v_fma_f64 v[75:76], v[83:84], v[65:66], v[75:76]
	v_fma_f64 v[15:16], v[59:60], v[65:66], v[15:16]
	v_fma_f64 v[55:56], v[85:86], v[65:66], v[55:56]
	v_fma_f64 v[6:7], v[61:62], v[65:66], v[6:7]
	s_waitcnt vmcnt(10)
	v_cvt_f64_f32_e32 v[59:60], v17
	v_cvt_f64_f32_e32 v[17:18], v18
	v_cvt_f64_f32_e32 v[61:62], v19
	v_cvt_f64_f32_e32 v[19:20], v20
	s_waitcnt vmcnt(9)
	v_fma_f64 v[57:58], v[57:58], v[71:72], v[75:76]
	v_fma_f64 v[15:16], v[63:64], v[71:72], v[15:16]
	v_fma_f64 v[55:56], v[67:68], v[71:72], v[55:56]
	v_fma_f64 v[6:7], v[69:70], v[71:72], v[6:7]
	s_waitcnt vmcnt(8)
	v_cvt_f64_f32_e32 v[63:64], v11
	v_cvt_f64_f32_e32 v[11:12], v12
	v_cvt_f64_f32_e32 v[65:66], v13
	v_cvt_f64_f32_e32 v[13:14], v14
	v_fma_f64 v[57:58], v[59:60], v[73:74], v[57:58]
	v_fma_f64 v[15:16], v[17:18], v[73:74], v[15:16]
	v_fma_f64 v[17:18], v[61:62], v[73:74], v[55:56]
	v_fma_f64 v[6:7], v[19:20], v[73:74], v[6:7]
	s_waitcnt vmcnt(7)
	v_cvt_f64_f32_e32 v[19:20], v23
	v_cvt_f64_f32_e32 v[23:24], v24
	v_cvt_f64_f32_e32 v[55:56], v25
	v_cvt_f64_f32_e32 v[25:26], v26
	;; [unrolled: 19-line block ×4, first 2 shown]
	s_waitcnt vmcnt(0)
	v_fma_f64 v[13:14], v[17:18], v[51:52], v[13:14]
	v_fma_f64 v[17:18], v[19:20], v[51:52], v[11:12]
	;; [unrolled: 1-line block ×4, first 2 shown]
	s_delay_alu instid0(VALU_DEP_4) | instskip(NEXT) | instid1(VALU_DEP_4)
	v_fma_f64 v[11:12], v[23:24], v[53:54], v[13:14]
	v_fma_f64 v[15:16], v[25:26], v[53:54], v[17:18]
	s_delay_alu instid0(VALU_DEP_4) | instskip(NEXT) | instid1(VALU_DEP_4)
	v_fma_f64 v[13:14], v[29:30], v[53:54], v[19:20]
	v_fma_f64 v[6:7], v[33:34], v[53:54], v[6:7]
	s_and_not1_b32 exec_lo, exec_lo, s7
	s_cbranch_execnz .LBB152_33
; %bb.34:
	s_or_b32 exec_lo, exec_lo, s7
.LBB152_35:
	s_delay_alu instid0(SALU_CYCLE_1)
	s_or_b32 exec_lo, exec_lo, s6
.LBB152_36:
	s_delay_alu instid0(SALU_CYCLE_1)
	s_or_b32 exec_lo, exec_lo, s3
.LBB152_37:
	v_mbcnt_lo_u32_b32 v24, -1, 0
	s_delay_alu instid0(VALU_DEP_1) | instskip(NEXT) | instid1(VALU_DEP_1)
	v_xor_b32_e32 v0, 8, v24
	v_cmp_gt_i32_e32 vcc_lo, 32, v0
	v_cndmask_b32_e32 v0, v24, v0, vcc_lo
	s_delay_alu instid0(VALU_DEP_1)
	v_lshlrev_b32_e32 v20, 2, v0
	ds_bpermute_b32 v0, v20, v11
	ds_bpermute_b32 v1, v20, v12
	;; [unrolled: 1-line block ×4, first 2 shown]
	s_waitcnt lgkmcnt(0)
	v_add_f64 v[0:1], v[11:12], v[0:1]
	v_add_f64 v[11:12], v[13:14], v[17:18]
	v_xor_b32_e32 v13, 4, v24
	s_delay_alu instid0(VALU_DEP_1)
	v_cmp_gt_i32_e32 vcc_lo, 32, v13
	v_cndmask_b32_e32 v13, v24, v13, vcc_lo
	ds_bpermute_b32 v4, v20, v15
	ds_bpermute_b32 v5, v20, v16
	;; [unrolled: 1-line block ×4, first 2 shown]
	s_waitcnt lgkmcnt(2)
	v_add_f64 v[4:5], v[15:16], v[4:5]
	s_waitcnt lgkmcnt(0)
	v_add_f64 v[6:7], v[6:7], v[19:20]
	v_lshlrev_b32_e32 v20, 2, v13
	ds_bpermute_b32 v13, v20, v0
	ds_bpermute_b32 v14, v20, v1
	;; [unrolled: 1-line block ×4, first 2 shown]
	s_waitcnt lgkmcnt(2)
	v_add_f64 v[0:1], v[0:1], v[13:14]
	s_waitcnt lgkmcnt(0)
	v_add_f64 v[13:14], v[11:12], v[17:18]
	ds_bpermute_b32 v15, v20, v4
	ds_bpermute_b32 v16, v20, v5
	;; [unrolled: 1-line block ×4, first 2 shown]
	s_waitcnt lgkmcnt(2)
	v_add_f64 v[4:5], v[4:5], v[15:16]
	s_waitcnt lgkmcnt(0)
	v_add_f64 v[15:16], v[6:7], v[19:20]
	v_xor_b32_e32 v6, 2, v24
	s_delay_alu instid0(VALU_DEP_1) | instskip(SKIP_1) | instid1(VALU_DEP_1)
	v_cmp_gt_i32_e32 vcc_lo, 32, v6
	v_cndmask_b32_e32 v6, v24, v6, vcc_lo
	v_lshlrev_b32_e32 v11, 2, v6
	ds_bpermute_b32 v6, v11, v0
	ds_bpermute_b32 v7, v11, v1
	;; [unrolled: 1-line block ×8, first 2 shown]
	s_waitcnt lgkmcnt(6)
	v_add_f64 v[11:12], v[0:1], v[6:7]
	s_waitcnt lgkmcnt(4)
	v_add_f64 v[0:1], v[13:14], v[19:20]
	v_xor_b32_e32 v13, 1, v24
	s_delay_alu instid0(VALU_DEP_1)
	v_cmp_gt_i32_e32 vcc_lo, 32, v13
	v_cndmask_b32_e32 v13, v24, v13, vcc_lo
	v_cmp_eq_u32_e32 vcc_lo, 15, v21
	s_waitcnt lgkmcnt(2)
	v_add_f64 v[6:7], v[4:5], v[17:18]
	s_waitcnt lgkmcnt(0)
	v_add_f64 v[4:5], v[15:16], v[22:23]
	v_lshlrev_b32_e32 v14, 2, v13
	ds_bpermute_b32 v19, v14, v11
	ds_bpermute_b32 v20, v14, v12
	;; [unrolled: 1-line block ×8, first 2 shown]
	s_and_b32 exec_lo, exec_lo, vcc_lo
	s_cbranch_execz .LBB152_10
; %bb.38:
	s_waitcnt lgkmcnt(6)
	v_add_f64 v[11:12], v[11:12], v[19:20]
	s_waitcnt lgkmcnt(2)
	v_add_f64 v[6:7], v[6:7], v[17:18]
	v_add_f64 v[0:1], v[0:1], v[15:16]
	s_waitcnt lgkmcnt(0)
	v_add_f64 v[13:14], v[4:5], v[13:14]
	s_load_b64 s[0:1], s[0:1], 0x50
	v_lshlrev_b32_e32 v10, 2, v10
	s_mov_b32 s2, exec_lo
	v_mul_f64 v[4:5], v[2:3], v[11:12]
	v_mul_f64 v[6:7], v[2:3], v[6:7]
	;; [unrolled: 1-line block ×4, first 2 shown]
	v_cmpx_eq_f64_e32 0, v[8:9]
	s_xor_b32 s2, exec_lo, s2
	s_cbranch_execz .LBB152_40
; %bb.39:
	v_ashrrev_i32_e32 v11, 31, v10
	s_delay_alu instid0(VALU_DEP_1) | instskip(SKIP_1) | instid1(VALU_DEP_1)
	v_lshlrev_b64 v[8:9], 3, v[10:11]
                                        ; implicit-def: $vgpr10
	s_waitcnt lgkmcnt(0)
	v_add_co_u32 v8, vcc_lo, s0, v8
	s_delay_alu instid0(VALU_DEP_2)
	v_add_co_ci_u32_e32 v9, vcc_lo, s1, v9, vcc_lo
	s_clause 0x1
	global_store_b128 v[8:9], v[4:7], off
	global_store_b128 v[8:9], v[0:3], off offset:16
                                        ; implicit-def: $vgpr8_vgpr9
                                        ; implicit-def: $vgpr4_vgpr5
                                        ; implicit-def: $vgpr0_vgpr1
.LBB152_40:
	s_and_not1_saveexec_b32 s2, s2
	s_cbranch_execz .LBB152_10
; %bb.41:
	v_ashrrev_i32_e32 v11, 31, v10
	s_delay_alu instid0(VALU_DEP_1) | instskip(SKIP_1) | instid1(VALU_DEP_1)
	v_lshlrev_b64 v[10:11], 3, v[10:11]
	s_waitcnt lgkmcnt(0)
	v_add_co_u32 v18, vcc_lo, s0, v10
	s_delay_alu instid0(VALU_DEP_2)
	v_add_co_ci_u32_e32 v19, vcc_lo, s1, v11, vcc_lo
	s_clause 0x1
	global_load_b128 v[10:13], v[18:19], off
	global_load_b128 v[14:17], v[18:19], off offset:16
	s_waitcnt vmcnt(1)
	v_fma_f64 v[4:5], v[8:9], v[10:11], v[4:5]
	v_fma_f64 v[6:7], v[8:9], v[12:13], v[6:7]
	s_waitcnt vmcnt(0)
	v_fma_f64 v[0:1], v[8:9], v[14:15], v[0:1]
	v_fma_f64 v[2:3], v[8:9], v[16:17], v[2:3]
	s_clause 0x1
	global_store_b128 v[18:19], v[4:7], off
	global_store_b128 v[18:19], v[0:3], off offset:16
	s_nop 0
	s_sendmsg sendmsg(MSG_DEALLOC_VGPRS)
	s_endpgm
	.section	.rodata,"a",@progbits
	.p2align	6, 0x0
	.amdhsa_kernel _ZN9rocsparseL18bsrxmvn_4x4_kernelILj128ELj16EdiifddEEvT3_20rocsparse_direction_NS_24const_host_device_scalarIT1_EES1_PKS1_PKT2_SA_S7_PKT4_PKT5_S5_PT6_21rocsparse_index_base_b
		.amdhsa_group_segment_fixed_size 0
		.amdhsa_private_segment_fixed_size 0
		.amdhsa_kernarg_size 96
		.amdhsa_user_sgpr_count 15
		.amdhsa_user_sgpr_dispatch_ptr 0
		.amdhsa_user_sgpr_queue_ptr 0
		.amdhsa_user_sgpr_kernarg_segment_ptr 1
		.amdhsa_user_sgpr_dispatch_id 0
		.amdhsa_user_sgpr_private_segment_size 0
		.amdhsa_wavefront_size32 1
		.amdhsa_uses_dynamic_stack 0
		.amdhsa_enable_private_segment 0
		.amdhsa_system_sgpr_workgroup_id_x 1
		.amdhsa_system_sgpr_workgroup_id_y 0
		.amdhsa_system_sgpr_workgroup_id_z 0
		.amdhsa_system_sgpr_workgroup_info 0
		.amdhsa_system_vgpr_workitem_id 0
		.amdhsa_next_free_vgpr 105
		.amdhsa_next_free_sgpr 16
		.amdhsa_reserve_vcc 1
		.amdhsa_float_round_mode_32 0
		.amdhsa_float_round_mode_16_64 0
		.amdhsa_float_denorm_mode_32 3
		.amdhsa_float_denorm_mode_16_64 3
		.amdhsa_dx10_clamp 1
		.amdhsa_ieee_mode 1
		.amdhsa_fp16_overflow 0
		.amdhsa_workgroup_processor_mode 1
		.amdhsa_memory_ordered 1
		.amdhsa_forward_progress 0
		.amdhsa_shared_vgpr_count 0
		.amdhsa_exception_fp_ieee_invalid_op 0
		.amdhsa_exception_fp_denorm_src 0
		.amdhsa_exception_fp_ieee_div_zero 0
		.amdhsa_exception_fp_ieee_overflow 0
		.amdhsa_exception_fp_ieee_underflow 0
		.amdhsa_exception_fp_ieee_inexact 0
		.amdhsa_exception_int_div_zero 0
	.end_amdhsa_kernel
	.section	.text._ZN9rocsparseL18bsrxmvn_4x4_kernelILj128ELj16EdiifddEEvT3_20rocsparse_direction_NS_24const_host_device_scalarIT1_EES1_PKS1_PKT2_SA_S7_PKT4_PKT5_S5_PT6_21rocsparse_index_base_b,"axG",@progbits,_ZN9rocsparseL18bsrxmvn_4x4_kernelILj128ELj16EdiifddEEvT3_20rocsparse_direction_NS_24const_host_device_scalarIT1_EES1_PKS1_PKT2_SA_S7_PKT4_PKT5_S5_PT6_21rocsparse_index_base_b,comdat
.Lfunc_end152:
	.size	_ZN9rocsparseL18bsrxmvn_4x4_kernelILj128ELj16EdiifddEEvT3_20rocsparse_direction_NS_24const_host_device_scalarIT1_EES1_PKS1_PKT2_SA_S7_PKT4_PKT5_S5_PT6_21rocsparse_index_base_b, .Lfunc_end152-_ZN9rocsparseL18bsrxmvn_4x4_kernelILj128ELj16EdiifddEEvT3_20rocsparse_direction_NS_24const_host_device_scalarIT1_EES1_PKS1_PKT2_SA_S7_PKT4_PKT5_S5_PT6_21rocsparse_index_base_b
                                        ; -- End function
	.section	.AMDGPU.csdata,"",@progbits
; Kernel info:
; codeLenInByte = 5376
; NumSgprs: 18
; NumVgprs: 105
; ScratchSize: 0
; MemoryBound: 0
; FloatMode: 240
; IeeeMode: 1
; LDSByteSize: 0 bytes/workgroup (compile time only)
; SGPRBlocks: 2
; VGPRBlocks: 13
; NumSGPRsForWavesPerEU: 18
; NumVGPRsForWavesPerEU: 105
; Occupancy: 12
; WaveLimiterHint : 1
; COMPUTE_PGM_RSRC2:SCRATCH_EN: 0
; COMPUTE_PGM_RSRC2:USER_SGPR: 15
; COMPUTE_PGM_RSRC2:TRAP_HANDLER: 0
; COMPUTE_PGM_RSRC2:TGID_X_EN: 1
; COMPUTE_PGM_RSRC2:TGID_Y_EN: 0
; COMPUTE_PGM_RSRC2:TGID_Z_EN: 0
; COMPUTE_PGM_RSRC2:TIDIG_COMP_CNT: 0
	.section	.text._ZN9rocsparseL18bsrxmvn_4x4_kernelILj128ELj32EdiifddEEvT3_20rocsparse_direction_NS_24const_host_device_scalarIT1_EES1_PKS1_PKT2_SA_S7_PKT4_PKT5_S5_PT6_21rocsparse_index_base_b,"axG",@progbits,_ZN9rocsparseL18bsrxmvn_4x4_kernelILj128ELj32EdiifddEEvT3_20rocsparse_direction_NS_24const_host_device_scalarIT1_EES1_PKS1_PKT2_SA_S7_PKT4_PKT5_S5_PT6_21rocsparse_index_base_b,comdat
	.globl	_ZN9rocsparseL18bsrxmvn_4x4_kernelILj128ELj32EdiifddEEvT3_20rocsparse_direction_NS_24const_host_device_scalarIT1_EES1_PKS1_PKT2_SA_S7_PKT4_PKT5_S5_PT6_21rocsparse_index_base_b ; -- Begin function _ZN9rocsparseL18bsrxmvn_4x4_kernelILj128ELj32EdiifddEEvT3_20rocsparse_direction_NS_24const_host_device_scalarIT1_EES1_PKS1_PKT2_SA_S7_PKT4_PKT5_S5_PT6_21rocsparse_index_base_b
	.p2align	8
	.type	_ZN9rocsparseL18bsrxmvn_4x4_kernelILj128ELj32EdiifddEEvT3_20rocsparse_direction_NS_24const_host_device_scalarIT1_EES1_PKS1_PKT2_SA_S7_PKT4_PKT5_S5_PT6_21rocsparse_index_base_b,@function
_ZN9rocsparseL18bsrxmvn_4x4_kernelILj128ELj32EdiifddEEvT3_20rocsparse_direction_NS_24const_host_device_scalarIT1_EES1_PKS1_PKT2_SA_S7_PKT4_PKT5_S5_PT6_21rocsparse_index_base_b: ; @_ZN9rocsparseL18bsrxmvn_4x4_kernelILj128ELj32EdiifddEEvT3_20rocsparse_direction_NS_24const_host_device_scalarIT1_EES1_PKS1_PKT2_SA_S7_PKT4_PKT5_S5_PT6_21rocsparse_index_base_b
; %bb.0:
	s_clause 0x2
	s_load_b64 s[12:13], s[0:1], 0x58
	s_load_b64 s[4:5], s[0:1], 0x8
	;; [unrolled: 1-line block ×3, first 2 shown]
	s_waitcnt lgkmcnt(0)
	s_bitcmp1_b32 s13, 0
	v_dual_mov_b32 v2, s4 :: v_dual_mov_b32 v3, s5
	s_cselect_b32 s6, -1, 0
	s_delay_alu instid0(SALU_CYCLE_1)
	s_and_b32 vcc_lo, exec_lo, s6
	s_xor_b32 s6, s6, -1
	s_cbranch_vccnz .LBB153_2
; %bb.1:
	v_dual_mov_b32 v1, s4 :: v_dual_mov_b32 v2, s5
	flat_load_b64 v[2:3], v[1:2]
.LBB153_2:
	v_dual_mov_b32 v9, s3 :: v_dual_mov_b32 v8, s2
	s_and_not1_b32 vcc_lo, exec_lo, s6
	s_cbranch_vccnz .LBB153_4
; %bb.3:
	v_dual_mov_b32 v5, s3 :: v_dual_mov_b32 v4, s2
	flat_load_b64 v[8:9], v[4:5]
.LBB153_4:
	s_waitcnt vmcnt(0) lgkmcnt(0)
	v_cmp_neq_f64_e32 vcc_lo, 0, v[2:3]
	v_cmp_neq_f64_e64 s2, 1.0, v[8:9]
	s_delay_alu instid0(VALU_DEP_1) | instskip(NEXT) | instid1(SALU_CYCLE_1)
	s_or_b32 s2, vcc_lo, s2
	s_and_saveexec_b32 s3, s2
	s_cbranch_execz .LBB153_10
; %bb.5:
	s_clause 0x1
	s_load_b64 s[4:5], s[0:1], 0x18
	s_load_b64 s[2:3], s[0:1], 0x0
	v_lshrrev_b32_e32 v1, 5, v0
	s_delay_alu instid0(VALU_DEP_1)
	v_lshl_or_b32 v10, s15, 2, v1
	s_waitcnt lgkmcnt(0)
	s_cmp_lg_u64 s[4:5], 0
	s_cbranch_scc0 .LBB153_11
; %bb.6:
	s_load_b32 s6, s[0:1], 0x10
	s_mov_b32 s7, 0
                                        ; implicit-def: $vgpr1
	s_waitcnt lgkmcnt(0)
	v_cmp_gt_i32_e32 vcc_lo, s6, v10
	s_mov_b32 s6, 0
	s_and_saveexec_b32 s8, vcc_lo
	s_delay_alu instid0(SALU_CYCLE_1)
	s_xor_b32 s8, exec_lo, s8
	s_cbranch_execz .LBB153_8
; %bb.7:
	v_ashrrev_i32_e32 v11, 31, v10
	s_mov_b32 s6, exec_lo
	s_delay_alu instid0(VALU_DEP_1) | instskip(NEXT) | instid1(VALU_DEP_1)
	v_lshlrev_b64 v[4:5], 2, v[10:11]
	v_add_co_u32 v4, vcc_lo, s4, v4
	s_delay_alu instid0(VALU_DEP_2)
	v_add_co_ci_u32_e32 v5, vcc_lo, s5, v5, vcc_lo
	global_load_b32 v1, v[4:5], off
	s_waitcnt vmcnt(0)
	v_subrev_nc_u32_e32 v1, s12, v1
.LBB153_8:
	s_or_b32 exec_lo, exec_lo, s8
	s_delay_alu instid0(SALU_CYCLE_1)
	s_and_b32 vcc_lo, exec_lo, s7
	s_cbranch_vccz .LBB153_12
.LBB153_9:
	v_cmp_gt_i32_e32 vcc_lo, s2, v10
	s_and_not1_b32 s2, s6, exec_lo
	s_and_b32 s4, vcc_lo, exec_lo
	s_delay_alu instid0(SALU_CYCLE_1) | instskip(NEXT) | instid1(SALU_CYCLE_1)
	s_or_b32 s6, s2, s4
	s_and_b32 exec_lo, exec_lo, s6
	s_cbranch_execnz .LBB153_13
.LBB153_10:
	s_nop 0
	s_sendmsg sendmsg(MSG_DEALLOC_VGPRS)
	s_endpgm
.LBB153_11:
	s_mov_b32 s6, 0
                                        ; implicit-def: $vgpr1
	s_cbranch_execnz .LBB153_9
.LBB153_12:
	s_delay_alu instid0(VALU_DEP_1)
	v_mov_b32_e32 v10, v1
	s_and_b32 exec_lo, exec_lo, s6
	s_cbranch_execz .LBB153_10
.LBB153_13:
	s_load_b256 s[4:11], s[0:1], 0x20
	s_delay_alu instid0(VALU_DEP_1) | instskip(SKIP_1) | instid1(VALU_DEP_2)
	v_ashrrev_i32_e32 v11, 31, v10
	v_and_b32_e32 v21, 31, v0
	v_lshlrev_b64 v[4:5], 2, v[10:11]
	s_waitcnt lgkmcnt(0)
	s_delay_alu instid0(VALU_DEP_1) | instskip(NEXT) | instid1(VALU_DEP_2)
	v_add_co_u32 v6, vcc_lo, s4, v4
	v_add_co_ci_u32_e32 v7, vcc_lo, s5, v5, vcc_lo
	v_add_co_u32 v1, vcc_lo, s6, v4
	v_add_co_ci_u32_e32 v4, vcc_lo, s7, v5, vcc_lo
	global_load_b32 v23, v[6:7], off
	v_add_co_u32 v6, vcc_lo, v6, 4
	v_add_co_ci_u32_e32 v5, vcc_lo, 0, v7, vcc_lo
	s_cmp_eq_u64 s[6:7], 0
	s_load_b64 s[4:5], s[0:1], 0x40
	s_cselect_b32 vcc_lo, -1, 0
	s_cmp_eq_u32 s3, 1
	v_dual_cndmask_b32 v5, v4, v5 :: v_dual_cndmask_b32 v4, v1, v6
	global_load_b32 v6, v[4:5], off
	s_waitcnt vmcnt(1)
	v_subrev_nc_u32_e32 v0, s12, v23
	s_delay_alu instid0(VALU_DEP_1) | instskip(NEXT) | instid1(VALU_DEP_1)
	v_add_nc_u32_e32 v0, v0, v21
	v_ashrrev_i32_e32 v1, 31, v0
	s_waitcnt vmcnt(0)
	v_subrev_nc_u32_e32 v22, s12, v6
	s_delay_alu instid0(VALU_DEP_2) | instskip(NEXT) | instid1(VALU_DEP_2)
	v_lshlrev_b64 v[4:5], 6, v[0:1]
	v_cmp_lt_i32_e64 s2, v0, v22
	s_delay_alu instid0(VALU_DEP_2) | instskip(NEXT) | instid1(VALU_DEP_3)
	v_add_co_u32 v4, vcc_lo, s10, v4
	v_add_co_ci_u32_e32 v5, vcc_lo, s11, v5, vcc_lo
	s_cbranch_scc1 .LBB153_25
; %bb.14:
	v_mov_b32_e32 v6, 0
	v_mov_b32_e32 v7, 0
	s_delay_alu instid0(VALU_DEP_1)
	v_dual_mov_b32 v14, v7 :: v_dual_mov_b32 v13, v6
	v_dual_mov_b32 v16, v7 :: v_dual_mov_b32 v15, v6
	;; [unrolled: 1-line block ×3, first 2 shown]
	s_and_saveexec_b32 s6, s2
	s_cbranch_execz .LBB153_24
; %bb.15:
	v_add_nc_u32_e32 v1, v23, v21
	v_mov_b32_e32 v11, 0
	v_mov_b32_e32 v12, 0
	v_not_b32_e32 v6, v23
	s_mov_b32 s10, 0
	v_subrev_nc_u32_e32 v1, s12, v1
	s_mov_b32 s7, exec_lo
	v_dual_mov_b32 v16, v12 :: v_dual_mov_b32 v15, v11
	s_delay_alu instid0(VALU_DEP_2) | instskip(SKIP_3) | instid1(VALU_DEP_4)
	v_dual_mov_b32 v14, v12 :: v_dual_add_nc_u32 v1, 32, v1
	v_dual_mov_b32 v13, v11 :: v_dual_mov_b32 v20, v5
	v_mov_b32_e32 v19, v4
	v_mov_b32_e32 v17, v0
	v_max_i32_e32 v1, v1, v22
	s_delay_alu instid0(VALU_DEP_1) | instskip(NEXT) | instid1(VALU_DEP_1)
	v_add3_u32 v1, v1, s12, v6
	v_sub_nc_u32_e32 v1, v1, v21
	s_delay_alu instid0(VALU_DEP_1) | instskip(NEXT) | instid1(VALU_DEP_1)
	v_lshrrev_b32_e32 v6, 5, v1
	v_add_nc_u32_e32 v6, 1, v6
	s_delay_alu instid0(VALU_DEP_1) | instskip(SKIP_1) | instid1(VALU_DEP_2)
	v_and_b32_e32 v18, 3, v6
	v_dual_mov_b32 v6, v11 :: v_dual_mov_b32 v7, v12
	v_cmpx_ne_u32_e32 0, v18
	s_cbranch_execz .LBB153_19
; %bb.16:
	v_mov_b32_e32 v6, 0
	v_dual_mov_b32 v7, 0 :: v_dual_lshlrev_b32 v24, 6, v18
	v_dual_mov_b32 v20, v5 :: v_dual_mov_b32 v17, v0
	s_delay_alu instid0(VALU_DEP_2) | instskip(NEXT) | instid1(VALU_DEP_4)
	v_dual_mov_b32 v19, v4 :: v_dual_mov_b32 v14, v7
	v_dual_mov_b32 v13, v6 :: v_dual_mov_b32 v16, v7
	;; [unrolled: 1-line block ×3, first 2 shown]
	v_mov_b32_e32 v11, v6
.LBB153_17:                             ; =>This Inner Loop Header: Depth=1
	v_ashrrev_i32_e32 v18, 31, v17
	v_subrev_nc_u32_e32 v24, 64, v24
	s_delay_alu instid0(VALU_DEP_2) | instskip(NEXT) | instid1(VALU_DEP_2)
	v_lshlrev_b64 v[25:26], 2, v[17:18]
	v_cmp_eq_u32_e64 s3, 0, v24
	v_add_nc_u32_e32 v17, 32, v17
	s_delay_alu instid0(VALU_DEP_2) | instskip(NEXT) | instid1(VALU_DEP_3)
	s_or_b32 s10, s3, s10
	v_add_co_u32 v25, vcc_lo, s8, v25
	s_delay_alu instid0(VALU_DEP_4)
	v_add_co_ci_u32_e32 v26, vcc_lo, s9, v26, vcc_lo
	global_load_b32 v18, v[25:26], off
	s_clause 0x3
	global_load_b128 v[25:28], v[19:20], off
	global_load_b128 v[29:32], v[19:20], off offset:16
	global_load_b128 v[33:36], v[19:20], off offset:32
	;; [unrolled: 1-line block ×3, first 2 shown]
	s_waitcnt vmcnt(4)
	v_subrev_nc_u32_e32 v18, s12, v18
	s_waitcnt vmcnt(3)
	v_cvt_f64_f32_e32 v[49:50], v25
	s_waitcnt vmcnt(2)
	v_cvt_f64_f32_e32 v[51:52], v29
	;; [unrolled: 2-line block ×4, first 2 shown]
	v_lshlrev_b32_e32 v41, 2, v18
	v_cvt_f64_f32_e32 v[25:26], v26
	v_cvt_f64_f32_e32 v[29:30], v30
	;; [unrolled: 1-line block ×4, first 2 shown]
	v_ashrrev_i32_e32 v42, 31, v41
	s_delay_alu instid0(VALU_DEP_1) | instskip(SKIP_1) | instid1(VALU_DEP_1)
	v_lshlrev_b64 v[41:42], 3, v[41:42]
	s_waitcnt lgkmcnt(0)
	v_add_co_u32 v45, vcc_lo, s4, v41
	s_delay_alu instid0(VALU_DEP_2)
	v_add_co_ci_u32_e32 v46, vcc_lo, s5, v42, vcc_lo
	v_add_co_u32 v19, vcc_lo, 0x800, v19
	s_clause 0x1
	global_load_b128 v[41:44], v[45:46], off
	global_load_b128 v[45:48], v[45:46], off offset:16
	v_add_co_ci_u32_e32 v20, vcc_lo, 0, v20, vcc_lo
	s_waitcnt vmcnt(1)
	v_fma_f64 v[11:12], v[49:50], v[41:42], v[11:12]
	v_fma_f64 v[15:16], v[51:52], v[41:42], v[15:16]
	;; [unrolled: 1-line block ×4, first 2 shown]
	v_cvt_f64_f32_e32 v[41:42], v27
	v_cvt_f64_f32_e32 v[49:50], v31
	v_cvt_f64_f32_e32 v[51:52], v35
	v_cvt_f64_f32_e32 v[53:54], v39
	v_fma_f64 v[11:12], v[25:26], v[43:44], v[11:12]
	v_fma_f64 v[15:16], v[29:30], v[43:44], v[15:16]
	;; [unrolled: 1-line block ×4, first 2 shown]
	v_cvt_f64_f32_e32 v[25:26], v28
	v_cvt_f64_f32_e32 v[27:28], v32
	;; [unrolled: 1-line block ×4, first 2 shown]
	s_waitcnt vmcnt(0)
	v_fma_f64 v[11:12], v[41:42], v[45:46], v[11:12]
	v_fma_f64 v[15:16], v[49:50], v[45:46], v[15:16]
	;; [unrolled: 1-line block ×4, first 2 shown]
	s_delay_alu instid0(VALU_DEP_4) | instskip(NEXT) | instid1(VALU_DEP_4)
	v_fma_f64 v[11:12], v[25:26], v[47:48], v[11:12]
	v_fma_f64 v[15:16], v[27:28], v[47:48], v[15:16]
	s_delay_alu instid0(VALU_DEP_4) | instskip(NEXT) | instid1(VALU_DEP_4)
	v_fma_f64 v[13:14], v[29:30], v[47:48], v[13:14]
	v_fma_f64 v[6:7], v[31:32], v[47:48], v[6:7]
	s_and_not1_b32 exec_lo, exec_lo, s10
	s_cbranch_execnz .LBB153_17
; %bb.18:
	s_or_b32 exec_lo, exec_lo, s10
.LBB153_19:
	s_delay_alu instid0(SALU_CYCLE_1) | instskip(NEXT) | instid1(SALU_CYCLE_1)
	s_or_b32 exec_lo, exec_lo, s7
	s_mov_b32 s7, exec_lo
	v_cmpx_lt_u32_e32 0x5f, v1
	s_cbranch_execz .LBB153_23
; %bb.20:
	s_mov_b32 s10, 0
.LBB153_21:                             ; =>This Inner Loop Header: Depth=1
	v_ashrrev_i32_e32 v18, 31, v17
	s_delay_alu instid0(VALU_DEP_1) | instskip(SKIP_1) | instid1(VALU_DEP_2)
	v_lshlrev_b64 v[24:25], 2, v[17:18]
	v_add_nc_u32_e32 v17, 0x80, v17
	v_add_co_u32 v40, vcc_lo, s8, v24
	s_delay_alu instid0(VALU_DEP_3)
	v_add_co_ci_u32_e32 v41, vcc_lo, s9, v25, vcc_lo
	s_clause 0x1
	global_load_b32 v1, v[40:41], off
	global_load_b32 v18, v[40:41], off offset:128
	s_clause 0x3
	global_load_b128 v[24:27], v[19:20], off
	global_load_b128 v[28:31], v[19:20], off offset:16
	global_load_b128 v[32:35], v[19:20], off offset:32
	;; [unrolled: 1-line block ×3, first 2 shown]
	s_clause 0x1
	global_load_b32 v98, v[40:41], off offset:256
	global_load_b32 v104, v[40:41], off offset:384
	s_waitcnt vmcnt(7)
	v_subrev_nc_u32_e32 v1, s12, v1
	s_waitcnt vmcnt(5)
	v_cvt_f64_f32_e32 v[90:91], v24
	s_waitcnt vmcnt(4)
	v_cvt_f64_f32_e32 v[92:93], v28
	;; [unrolled: 2-line block ×3, first 2 shown]
	v_lshlrev_b32_e32 v40, 2, v1
	v_subrev_nc_u32_e32 v1, s12, v18
	s_waitcnt vmcnt(2)
	v_cvt_f64_f32_e32 v[96:97], v36
	v_cvt_f64_f32_e32 v[24:25], v25
	;; [unrolled: 1-line block ×3, first 2 shown]
	v_ashrrev_i32_e32 v41, 31, v40
	v_lshlrev_b32_e32 v64, 2, v1
	s_waitcnt vmcnt(1)
	v_subrev_nc_u32_e32 v1, s12, v98
	v_cvt_f64_f32_e32 v[32:33], v33
	v_cvt_f64_f32_e32 v[100:101], v39
	v_lshlrev_b64 v[40:41], 3, v[40:41]
	v_ashrrev_i32_e32 v65, 31, v64
	v_lshlrev_b32_e32 v98, 2, v1
	s_waitcnt vmcnt(0)
	v_subrev_nc_u32_e32 v1, s12, v104
	s_delay_alu instid0(VALU_DEP_3) | instskip(SKIP_4) | instid1(VALU_DEP_4)
	v_lshlrev_b64 v[64:65], 3, v[64:65]
	s_waitcnt lgkmcnt(0)
	v_add_co_u32 v44, vcc_lo, s4, v40
	v_add_co_ci_u32_e32 v45, vcc_lo, s5, v41, vcc_lo
	v_ashrrev_i32_e32 v99, 31, v98
	v_add_co_u32 v76, vcc_lo, s4, v64
	s_clause 0x1
	global_load_b128 v[40:43], v[44:45], off
	global_load_b128 v[44:47], v[44:45], off offset:16
	s_clause 0x3
	global_load_b128 v[48:51], v[19:20], off offset:2048
	global_load_b128 v[52:55], v[19:20], off offset:2064
	;; [unrolled: 1-line block ×4, first 2 shown]
	v_add_co_ci_u32_e32 v77, vcc_lo, s5, v65, vcc_lo
	v_add_co_u32 v88, vcc_lo, 0x1000, v19
	v_add_co_ci_u32_e32 v89, vcc_lo, 0, v20, vcc_lo
	global_load_b128 v[64:67], v[76:77], off
	s_clause 0x1
	global_load_b128 v[68:71], v[88:89], off
	global_load_b128 v[72:75], v[88:89], off offset:16
	global_load_b128 v[76:79], v[76:77], off offset:16
	s_clause 0x1
	global_load_b128 v[80:83], v[88:89], off offset:32
	global_load_b128 v[84:87], v[88:89], off offset:48
	v_lshlrev_b64 v[98:99], 3, v[98:99]
	v_add_co_u32 v19, s3, 0x2000, v19
	s_delay_alu instid0(VALU_DEP_1) | instskip(NEXT) | instid1(VALU_DEP_3)
	v_add_co_ci_u32_e64 v20, s3, 0, v20, s3
	v_add_co_u32 v98, vcc_lo, s4, v98
	s_delay_alu instid0(VALU_DEP_4)
	v_add_co_ci_u32_e32 v99, vcc_lo, s5, v99, vcc_lo
	s_waitcnt vmcnt(11)
	v_fma_f64 v[90:91], v[90:91], v[40:41], v[11:12]
	v_fma_f64 v[15:16], v[92:93], v[40:41], v[15:16]
	;; [unrolled: 1-line block ×3, first 2 shown]
	global_load_b128 v[11:14], v[98:99], off
	v_fma_f64 v[6:7], v[96:97], v[40:41], v[6:7]
	v_cvt_f64_f32_e32 v[94:95], v31
	v_cvt_f64_f32_e32 v[96:97], v35
	v_fma_f64 v[40:41], v[24:25], v[42:43], v[90:91]
	v_cvt_f64_f32_e32 v[24:25], v37
	v_fma_f64 v[15:16], v[28:29], v[42:43], v[15:16]
	;; [unrolled: 2-line block ×3, first 2 shown]
	v_cvt_f64_f32_e32 v[36:37], v30
	v_cvt_f64_f32_e32 v[90:91], v38
	;; [unrolled: 1-line block ×3, first 2 shown]
	v_fma_f64 v[6:7], v[24:25], v[42:43], v[6:7]
	global_load_b128 v[24:27], v[98:99], off offset:16
	v_cvt_f64_f32_e32 v[42:43], v34
	s_waitcnt vmcnt(12)
	v_fma_f64 v[98:99], v[28:29], v[44:45], v[40:41]
	v_fma_f64 v[15:16], v[36:37], v[44:45], v[15:16]
	;; [unrolled: 1-line block ×3, first 2 shown]
	s_delay_alu instid0(VALU_DEP_4)
	v_fma_f64 v[102:103], v[42:43], v[44:45], v[32:33]
	s_clause 0x3
	global_load_b128 v[28:31], v[88:89], off offset:2048
	global_load_b128 v[32:35], v[88:89], off offset:2064
	;; [unrolled: 1-line block ×4, first 2 shown]
	v_lshlrev_b32_e32 v44, 2, v1
	s_waitcnt vmcnt(15)
	v_cvt_f64_f32_e32 v[88:89], v48
	v_fma_f64 v[90:91], v[92:93], v[46:47], v[98:99]
	s_waitcnt vmcnt(14)
	v_cvt_f64_f32_e32 v[92:93], v52
	v_fma_f64 v[15:16], v[94:95], v[46:47], v[15:16]
	s_waitcnt vmcnt(13)
	v_cvt_f64_f32_e32 v[94:95], v56
	s_waitcnt vmcnt(12)
	v_cvt_f64_f32_e32 v[98:99], v60
	v_ashrrev_i32_e32 v45, 31, v44
	v_cvt_f64_f32_e32 v[48:49], v49
	v_cvt_f64_f32_e32 v[52:53], v53
	;; [unrolled: 1-line block ×4, first 2 shown]
	v_lshlrev_b64 v[44:45], 3, v[44:45]
	v_fma_f64 v[6:7], v[100:101], v[46:47], v[6:7]
	s_delay_alu instid0(VALU_DEP_2) | instskip(SKIP_1) | instid1(VALU_DEP_4)
	v_add_co_u32 v100, vcc_lo, s4, v44
	v_fma_f64 v[96:97], v[96:97], v[46:47], v[102:103]
	v_add_co_ci_u32_e32 v101, vcc_lo, s5, v45, vcc_lo
	s_waitcnt vmcnt(11)
	v_fma_f64 v[88:89], v[88:89], v[64:65], v[90:91]
	v_cmp_ge_i32_e32 vcc_lo, v17, v22
	v_fma_f64 v[15:16], v[92:93], v[64:65], v[15:16]
	global_load_b128 v[44:47], v[100:101], off
	s_or_b32 s10, vcc_lo, s10
	v_fma_f64 v[6:7], v[98:99], v[64:65], v[6:7]
	v_fma_f64 v[90:91], v[94:95], v[64:65], v[96:97]
	;; [unrolled: 1-line block ×3, first 2 shown]
	v_cvt_f64_f32_e32 v[88:89], v50
	v_fma_f64 v[15:16], v[52:53], v[66:67], v[15:16]
	v_cvt_f64_f32_e32 v[52:53], v54
	v_cvt_f64_f32_e32 v[50:51], v51
	;; [unrolled: 1-line block ×3, first 2 shown]
	v_fma_f64 v[6:7], v[60:61], v[66:67], v[6:7]
	v_cvt_f64_f32_e32 v[60:61], v62
	v_cvt_f64_f32_e32 v[62:63], v63
	v_fma_f64 v[56:57], v[56:57], v[66:67], v[90:91]
	global_load_b128 v[64:67], v[100:101], off offset:16
	v_cvt_f64_f32_e32 v[90:91], v58
	v_cvt_f64_f32_e32 v[58:59], v59
	s_waitcnt vmcnt(10)
	v_fma_f64 v[48:49], v[88:89], v[76:77], v[48:49]
	s_waitcnt vmcnt(8)
	v_cvt_f64_f32_e32 v[88:89], v84
	v_fma_f64 v[15:16], v[52:53], v[76:77], v[15:16]
	v_fma_f64 v[6:7], v[60:61], v[76:77], v[6:7]
	v_cvt_f64_f32_e32 v[60:61], v72
	v_fma_f64 v[52:53], v[90:91], v[76:77], v[56:57]
	v_cvt_f64_f32_e32 v[56:57], v68
	v_cvt_f64_f32_e32 v[76:77], v80
	v_fma_f64 v[48:49], v[50:51], v[78:79], v[48:49]
	v_fma_f64 v[15:16], v[54:55], v[78:79], v[15:16]
	v_cvt_f64_f32_e32 v[54:55], v73
	v_fma_f64 v[6:7], v[62:63], v[78:79], v[6:7]
	v_cvt_f64_f32_e32 v[62:63], v85
	v_fma_f64 v[50:51], v[58:59], v[78:79], v[52:53]
	v_cvt_f64_f32_e32 v[52:53], v69
	v_cvt_f64_f32_e32 v[58:59], v81
	v_cvt_f64_f32_e32 v[68:69], v86
	s_waitcnt vmcnt(7)
	v_fma_f64 v[48:49], v[56:57], v[11:12], v[48:49]
	v_fma_f64 v[15:16], v[60:61], v[11:12], v[15:16]
	v_cvt_f64_f32_e32 v[56:57], v74
	v_cvt_f64_f32_e32 v[60:61], v82
	v_fma_f64 v[6:7], v[88:89], v[11:12], v[6:7]
	v_fma_f64 v[50:51], v[76:77], v[11:12], v[50:51]
	v_cvt_f64_f32_e32 v[11:12], v70
	v_fma_f64 v[48:49], v[52:53], v[13:14], v[48:49]
	v_fma_f64 v[15:16], v[54:55], v[13:14], v[15:16]
	v_cvt_f64_f32_e32 v[52:53], v75
	v_cvt_f64_f32_e32 v[54:55], v83
	v_fma_f64 v[6:7], v[62:63], v[13:14], v[6:7]
	v_fma_f64 v[50:51], v[58:59], v[13:14], v[50:51]
	v_cvt_f64_f32_e32 v[13:14], v71
	v_cvt_f64_f32_e32 v[58:59], v87
	s_waitcnt vmcnt(6)
	v_fma_f64 v[11:12], v[11:12], v[24:25], v[48:49]
	v_fma_f64 v[15:16], v[56:57], v[24:25], v[15:16]
	;; [unrolled: 1-line block ×4, first 2 shown]
	s_waitcnt vmcnt(5)
	v_cvt_f64_f32_e32 v[24:25], v28
	s_waitcnt vmcnt(4)
	v_cvt_f64_f32_e32 v[50:51], v32
	;; [unrolled: 2-line block ×4, first 2 shown]
	v_fma_f64 v[11:12], v[13:14], v[26:27], v[11:12]
	v_fma_f64 v[13:14], v[52:53], v[26:27], v[15:16]
	;; [unrolled: 1-line block ×4, first 2 shown]
	v_cvt_f64_f32_e32 v[26:27], v29
	v_cvt_f64_f32_e32 v[28:29], v33
	;; [unrolled: 1-line block ×6, first 2 shown]
	s_waitcnt vmcnt(1)
	v_fma_f64 v[11:12], v[24:25], v[44:45], v[11:12]
	v_fma_f64 v[13:14], v[50:51], v[44:45], v[13:14]
	v_cvt_f64_f32_e32 v[24:25], v30
	v_fma_f64 v[6:7], v[60:61], v[44:45], v[6:7]
	v_fma_f64 v[15:16], v[56:57], v[44:45], v[15:16]
	v_cvt_f64_f32_e32 v[44:45], v38
	;; [unrolled: 3-line block ×3, first 2 shown]
	v_cvt_f64_f32_e32 v[28:29], v35
	v_cvt_f64_f32_e32 v[30:31], v39
	v_fma_f64 v[6:7], v[36:37], v[46:47], v[6:7]
	v_fma_f64 v[15:16], v[32:33], v[46:47], v[15:16]
	v_cvt_f64_f32_e32 v[32:33], v43
	s_waitcnt vmcnt(0)
	v_fma_f64 v[11:12], v[24:25], v[64:65], v[11:12]
	v_fma_f64 v[13:14], v[40:41], v[64:65], v[13:14]
	;; [unrolled: 1-line block ×4, first 2 shown]
	s_delay_alu instid0(VALU_DEP_4) | instskip(NEXT) | instid1(VALU_DEP_4)
	v_fma_f64 v[11:12], v[26:27], v[66:67], v[11:12]
	v_fma_f64 v[15:16], v[28:29], v[66:67], v[13:14]
	s_delay_alu instid0(VALU_DEP_4) | instskip(NEXT) | instid1(VALU_DEP_4)
	v_fma_f64 v[6:7], v[32:33], v[66:67], v[6:7]
	v_fma_f64 v[13:14], v[30:31], v[66:67], v[24:25]
	s_and_not1_b32 exec_lo, exec_lo, s10
	s_cbranch_execnz .LBB153_21
; %bb.22:
	s_or_b32 exec_lo, exec_lo, s10
.LBB153_23:
	s_delay_alu instid0(SALU_CYCLE_1)
	s_or_b32 exec_lo, exec_lo, s7
.LBB153_24:
	s_delay_alu instid0(SALU_CYCLE_1)
	s_or_b32 exec_lo, exec_lo, s6
	s_cbranch_execz .LBB153_26
	s_branch .LBB153_37
.LBB153_25:
                                        ; implicit-def: $vgpr6_vgpr7
                                        ; implicit-def: $vgpr13_vgpr14
                                        ; implicit-def: $vgpr15_vgpr16
                                        ; implicit-def: $vgpr11_vgpr12
.LBB153_26:
	v_mov_b32_e32 v6, 0
	v_mov_b32_e32 v7, 0
	s_delay_alu instid0(VALU_DEP_1)
	v_dual_mov_b32 v14, v7 :: v_dual_mov_b32 v13, v6
	v_dual_mov_b32 v16, v7 :: v_dual_mov_b32 v15, v6
	;; [unrolled: 1-line block ×3, first 2 shown]
	s_and_saveexec_b32 s3, s2
	s_cbranch_execz .LBB153_36
; %bb.27:
	v_add_nc_u32_e32 v1, v23, v21
	v_mov_b32_e32 v11, 0
	v_mov_b32_e32 v12, 0
	v_not_b32_e32 v6, v23
	s_mov_b32 s7, 0
	v_subrev_nc_u32_e32 v1, s12, v1
	s_mov_b32 s6, exec_lo
	v_dual_mov_b32 v16, v12 :: v_dual_mov_b32 v15, v11
	s_delay_alu instid0(VALU_DEP_2) | instskip(SKIP_1) | instid1(VALU_DEP_2)
	v_dual_mov_b32 v14, v12 :: v_dual_add_nc_u32 v1, 32, v1
	v_mov_b32_e32 v13, v11
	v_max_i32_e32 v1, v1, v22
	s_delay_alu instid0(VALU_DEP_1) | instskip(SKIP_1) | instid1(VALU_DEP_2)
	v_add3_u32 v1, v1, s12, v6
	v_dual_mov_b32 v6, v11 :: v_dual_mov_b32 v7, v12
	v_sub_nc_u32_e32 v17, v1, v21
	s_delay_alu instid0(VALU_DEP_1) | instskip(NEXT) | instid1(VALU_DEP_1)
	v_lshrrev_b32_e32 v1, 5, v17
	v_add_nc_u32_e32 v1, 1, v1
	s_delay_alu instid0(VALU_DEP_1) | instskip(NEXT) | instid1(VALU_DEP_1)
	v_and_b32_e32 v1, 3, v1
	v_cmpx_ne_u32_e32 0, v1
	s_cbranch_execz .LBB153_31
; %bb.28:
	v_mov_b32_e32 v6, 0
	v_dual_mov_b32 v7, 0 :: v_dual_lshlrev_b32 v18, 6, v1
	s_delay_alu instid0(VALU_DEP_1)
	v_dual_mov_b32 v14, v7 :: v_dual_mov_b32 v13, v6
	v_dual_mov_b32 v16, v7 :: v_dual_mov_b32 v15, v6
	;; [unrolled: 1-line block ×3, first 2 shown]
.LBB153_29:                             ; =>This Inner Loop Header: Depth=1
	v_ashrrev_i32_e32 v1, 31, v0
	v_subrev_nc_u32_e32 v18, 64, v18
	s_delay_alu instid0(VALU_DEP_2) | instskip(NEXT) | instid1(VALU_DEP_2)
	v_lshlrev_b64 v[19:20], 2, v[0:1]
	v_cmp_eq_u32_e64 s2, 0, v18
	v_add_nc_u32_e32 v0, 32, v0
	s_delay_alu instid0(VALU_DEP_2) | instskip(NEXT) | instid1(VALU_DEP_3)
	s_or_b32 s7, s2, s7
	v_add_co_u32 v19, vcc_lo, s8, v19
	s_delay_alu instid0(VALU_DEP_4)
	v_add_co_ci_u32_e32 v20, vcc_lo, s9, v20, vcc_lo
	global_load_b32 v1, v[19:20], off
	s_clause 0x1
	global_load_b128 v[23:26], v[4:5], off
	global_load_b128 v[27:30], v[4:5], off offset:16
	s_waitcnt vmcnt(2)
	v_subrev_nc_u32_e32 v1, s12, v1
	s_waitcnt vmcnt(1)
	v_cvt_f64_f32_e32 v[47:48], v25
	v_cvt_f64_f32_e32 v[25:26], v26
	s_waitcnt vmcnt(0)
	v_cvt_f64_f32_e32 v[49:50], v27
	v_cvt_f64_f32_e32 v[27:28], v28
	v_lshlrev_b32_e32 v19, 2, v1
	v_cvt_f64_f32_e32 v[51:52], v29
	v_cvt_f64_f32_e32 v[29:30], v30
	s_delay_alu instid0(VALU_DEP_3) | instskip(NEXT) | instid1(VALU_DEP_1)
	v_ashrrev_i32_e32 v20, 31, v19
	v_lshlrev_b64 v[19:20], 3, v[19:20]
	s_waitcnt lgkmcnt(0)
	s_delay_alu instid0(VALU_DEP_1) | instskip(NEXT) | instid1(VALU_DEP_2)
	v_add_co_u32 v19, vcc_lo, s4, v19
	v_add_co_ci_u32_e32 v20, vcc_lo, s5, v20, vcc_lo
	s_clause 0x1
	global_load_b128 v[31:34], v[19:20], off
	global_load_b128 v[35:38], v[19:20], off offset:16
	s_clause 0x1
	global_load_b128 v[39:42], v[4:5], off offset:32
	global_load_b128 v[43:46], v[4:5], off offset:48
	v_cvt_f64_f32_e32 v[19:20], v23
	v_cvt_f64_f32_e32 v[23:24], v24
	v_add_co_u32 v4, vcc_lo, 0x800, v4
	v_add_co_ci_u32_e32 v5, vcc_lo, 0, v5, vcc_lo
	s_waitcnt vmcnt(3)
	s_delay_alu instid0(VALU_DEP_4) | instskip(NEXT) | instid1(VALU_DEP_4)
	v_fma_f64 v[11:12], v[19:20], v[31:32], v[11:12]
	v_fma_f64 v[15:16], v[23:24], v[31:32], v[15:16]
	;; [unrolled: 1-line block ×4, first 2 shown]
	s_waitcnt vmcnt(1)
	v_cvt_f64_f32_e32 v[19:20], v39
	v_cvt_f64_f32_e32 v[23:24], v40
	;; [unrolled: 1-line block ×4, first 2 shown]
	s_waitcnt vmcnt(0)
	v_cvt_f64_f32_e32 v[39:40], v46
	v_fma_f64 v[11:12], v[49:50], v[33:34], v[11:12]
	v_fma_f64 v[15:16], v[27:28], v[33:34], v[15:16]
	;; [unrolled: 1-line block ×4, first 2 shown]
	v_cvt_f64_f32_e32 v[27:28], v43
	v_cvt_f64_f32_e32 v[29:30], v44
	;; [unrolled: 1-line block ×3, first 2 shown]
	v_fma_f64 v[11:12], v[19:20], v[35:36], v[11:12]
	v_fma_f64 v[15:16], v[23:24], v[35:36], v[15:16]
	;; [unrolled: 1-line block ×4, first 2 shown]
	s_delay_alu instid0(VALU_DEP_4) | instskip(NEXT) | instid1(VALU_DEP_4)
	v_fma_f64 v[11:12], v[27:28], v[37:38], v[11:12]
	v_fma_f64 v[15:16], v[29:30], v[37:38], v[15:16]
	s_delay_alu instid0(VALU_DEP_4) | instskip(NEXT) | instid1(VALU_DEP_4)
	v_fma_f64 v[13:14], v[33:34], v[37:38], v[13:14]
	v_fma_f64 v[6:7], v[39:40], v[37:38], v[6:7]
	s_and_not1_b32 exec_lo, exec_lo, s7
	s_cbranch_execnz .LBB153_29
; %bb.30:
	s_or_b32 exec_lo, exec_lo, s7
.LBB153_31:
	s_delay_alu instid0(SALU_CYCLE_1) | instskip(NEXT) | instid1(SALU_CYCLE_1)
	s_or_b32 exec_lo, exec_lo, s6
	s_mov_b32 s6, exec_lo
	v_cmpx_lt_u32_e32 0x5f, v17
	s_cbranch_execz .LBB153_35
; %bb.32:
	s_mov_b32 s7, 0
.LBB153_33:                             ; =>This Inner Loop Header: Depth=1
	v_ashrrev_i32_e32 v1, 31, v0
	s_delay_alu instid0(VALU_DEP_1) | instskip(SKIP_1) | instid1(VALU_DEP_2)
	v_lshlrev_b64 v[17:18], 2, v[0:1]
	v_add_nc_u32_e32 v0, 0x80, v0
	v_add_co_u32 v23, vcc_lo, s8, v17
	s_delay_alu instid0(VALU_DEP_3)
	v_add_co_ci_u32_e32 v24, vcc_lo, s9, v18, vcc_lo
	s_clause 0x2
	global_load_b32 v1, v[23:24], off
	global_load_b32 v47, v[23:24], off offset:128
	global_load_b32 v71, v[23:24], off offset:256
	global_load_b128 v[17:20], v[4:5], off
	global_load_b32 v91, v[23:24], off offset:384
	s_waitcnt vmcnt(4)
	v_subrev_nc_u32_e32 v1, s12, v1
	s_waitcnt vmcnt(1)
	v_cvt_f64_f32_e32 v[77:78], v17
	v_cvt_f64_f32_e32 v[79:80], v18
	s_delay_alu instid0(VALU_DEP_3) | instskip(SKIP_3) | instid1(VALU_DEP_4)
	v_lshlrev_b32_e32 v23, 2, v1
	v_subrev_nc_u32_e32 v1, s12, v47
	v_cvt_f64_f32_e32 v[81:82], v19
	v_cvt_f64_f32_e32 v[83:84], v20
	v_ashrrev_i32_e32 v24, 31, v23
	s_delay_alu instid0(VALU_DEP_4) | instskip(SKIP_1) | instid1(VALU_DEP_3)
	v_lshlrev_b32_e32 v47, 2, v1
	v_subrev_nc_u32_e32 v1, s12, v71
	v_lshlrev_b64 v[23:24], 3, v[23:24]
	s_delay_alu instid0(VALU_DEP_3) | instskip(NEXT) | instid1(VALU_DEP_3)
	v_ashrrev_i32_e32 v48, 31, v47
	v_lshlrev_b32_e32 v17, 2, v1
	s_waitcnt vmcnt(0)
	v_subrev_nc_u32_e32 v1, s12, v91
	s_delay_alu instid0(VALU_DEP_3)
	v_lshlrev_b64 v[47:48], 3, v[47:48]
	s_waitcnt lgkmcnt(0)
	v_add_co_u32 v39, vcc_lo, s4, v23
	v_add_co_ci_u32_e32 v40, vcc_lo, s5, v24, vcc_lo
	v_ashrrev_i32_e32 v18, 31, v17
	global_load_b128 v[23:26], v[4:5], off offset:16
	global_load_b128 v[27:30], v[39:40], off
	s_clause 0x1
	global_load_b128 v[31:34], v[4:5], off offset:32
	global_load_b128 v[35:38], v[4:5], off offset:48
	;; [unrolled: 1-line block ×4, first 2 shown]
	v_add_co_u32 v63, vcc_lo, s4, v47
	v_add_co_ci_u32_e32 v64, vcc_lo, s5, v48, vcc_lo
	global_load_b128 v[47:50], v[4:5], off offset:2064
	global_load_b128 v[51:54], v[63:64], off
	s_clause 0x1
	global_load_b128 v[55:58], v[4:5], off offset:2080
	global_load_b128 v[59:62], v[4:5], off offset:2096
	global_load_b128 v[63:66], v[63:64], off offset:16
	v_add_co_u32 v75, vcc_lo, 0x1000, v4
	v_add_co_ci_u32_e32 v76, vcc_lo, 0, v5, vcc_lo
	v_lshlrev_b64 v[17:18], 3, v[17:18]
	v_add_co_u32 v4, s2, 0x2000, v4
	global_load_b128 v[67:70], v[75:76], off
	v_add_co_ci_u32_e64 v5, s2, 0, v5, s2
	v_add_co_u32 v85, vcc_lo, s4, v17
	v_add_co_ci_u32_e32 v86, vcc_lo, s5, v18, vcc_lo
	global_load_b128 v[17:20], v[75:76], off offset:16
	global_load_b128 v[71:74], v[85:86], off
	s_waitcnt vmcnt(13)
	v_cvt_f64_f32_e32 v[87:88], v23
	v_cvt_f64_f32_e32 v[23:24], v24
	;; [unrolled: 1-line block ×4, first 2 shown]
	s_waitcnt vmcnt(12)
	v_fma_f64 v[77:78], v[77:78], v[27:28], v[11:12]
	v_fma_f64 v[15:16], v[79:80], v[27:28], v[15:16]
	;; [unrolled: 1-line block ×4, first 2 shown]
	global_load_b128 v[11:14], v[75:76], off offset:32
	s_waitcnt vmcnt(12)
	v_cvt_f64_f32_e32 v[81:82], v31
	v_cvt_f64_f32_e32 v[31:32], v32
	;; [unrolled: 1-line block ×4, first 2 shown]
	v_fma_f64 v[77:78], v[87:88], v[29:30], v[77:78]
	v_fma_f64 v[15:16], v[23:24], v[29:30], v[15:16]
	;; [unrolled: 1-line block ×4, first 2 shown]
	global_load_b128 v[23:26], v[75:76], off offset:48
	global_load_b128 v[27:30], v[85:86], off offset:16
	s_waitcnt vmcnt(13)
	v_cvt_f64_f32_e32 v[85:86], v35
	v_cvt_f64_f32_e32 v[35:36], v36
	;; [unrolled: 1-line block ×4, first 2 shown]
	s_waitcnt vmcnt(10)
	v_cvt_f64_f32_e32 v[89:90], v49
	v_cvt_f64_f32_e32 v[49:50], v50
	v_fma_f64 v[77:78], v[81:82], v[39:40], v[77:78]
	v_fma_f64 v[15:16], v[31:32], v[39:40], v[15:16]
	;; [unrolled: 1-line block ×4, first 2 shown]
	global_load_b128 v[31:34], v[75:76], off offset:2048
	v_cvt_f64_f32_e32 v[81:82], v43
	v_cvt_f64_f32_e32 v[43:44], v44
	v_cvt_f64_f32_e32 v[83:84], v45
	v_cvt_f64_f32_e32 v[45:46], v46
	v_lshlrev_b32_e32 v39, 2, v1
	s_delay_alu instid0(VALU_DEP_1)
	v_ashrrev_i32_e32 v40, 31, v39
	v_fma_f64 v[77:78], v[85:86], v[41:42], v[77:78]
	v_fma_f64 v[15:16], v[35:36], v[41:42], v[15:16]
	;; [unrolled: 1-line block ×4, first 2 shown]
	v_lshlrev_b64 v[35:36], 3, v[39:40]
	v_cvt_f64_f32_e32 v[87:88], v47
	v_cvt_f64_f32_e32 v[47:48], v48
	s_delay_alu instid0(VALU_DEP_3) | instskip(NEXT) | instid1(VALU_DEP_4)
	v_add_co_u32 v85, vcc_lo, s4, v35
	v_add_co_ci_u32_e32 v86, vcc_lo, s5, v36, vcc_lo
	global_load_b128 v[35:38], v[75:76], off offset:2064
	global_load_b128 v[39:42], v[85:86], off
	v_cmp_ge_i32_e32 vcc_lo, v0, v22
	s_or_b32 s7, vcc_lo, s7
	s_waitcnt vmcnt(12)
	v_fma_f64 v[77:78], v[81:82], v[51:52], v[77:78]
	v_fma_f64 v[15:16], v[43:44], v[51:52], v[15:16]
	;; [unrolled: 1-line block ×4, first 2 shown]
	global_load_b128 v[43:46], v[75:76], off offset:2080
	s_waitcnt vmcnt(12)
	v_cvt_f64_f32_e32 v[81:82], v55
	v_cvt_f64_f32_e32 v[55:56], v56
	;; [unrolled: 1-line block ×4, first 2 shown]
	v_fma_f64 v[77:78], v[87:88], v[53:54], v[77:78]
	v_fma_f64 v[15:16], v[47:48], v[53:54], v[15:16]
	;; [unrolled: 1-line block ×4, first 2 shown]
	global_load_b128 v[47:50], v[75:76], off offset:2096
	global_load_b128 v[51:54], v[85:86], off offset:16
	s_waitcnt vmcnt(13)
	v_cvt_f64_f32_e32 v[75:76], v59
	v_cvt_f64_f32_e32 v[59:60], v60
	v_cvt_f64_f32_e32 v[85:86], v61
	v_cvt_f64_f32_e32 v[61:62], v62
	s_waitcnt vmcnt(12)
	v_fma_f64 v[77:78], v[81:82], v[63:64], v[77:78]
	v_fma_f64 v[15:16], v[55:56], v[63:64], v[15:16]
	v_fma_f64 v[55:56], v[83:84], v[63:64], v[79:80]
	v_fma_f64 v[6:7], v[57:58], v[63:64], v[6:7]
	s_waitcnt vmcnt(11)
	v_cvt_f64_f32_e32 v[57:58], v67
	v_cvt_f64_f32_e32 v[63:64], v68
	v_cvt_f64_f32_e32 v[67:68], v69
	v_cvt_f64_f32_e32 v[69:70], v70
	v_fma_f64 v[75:76], v[75:76], v[65:66], v[77:78]
	v_fma_f64 v[15:16], v[59:60], v[65:66], v[15:16]
	v_fma_f64 v[55:56], v[85:86], v[65:66], v[55:56]
	v_fma_f64 v[6:7], v[61:62], v[65:66], v[6:7]
	s_waitcnt vmcnt(10)
	v_cvt_f64_f32_e32 v[59:60], v17
	v_cvt_f64_f32_e32 v[17:18], v18
	v_cvt_f64_f32_e32 v[61:62], v19
	v_cvt_f64_f32_e32 v[19:20], v20
	s_waitcnt vmcnt(9)
	v_fma_f64 v[57:58], v[57:58], v[71:72], v[75:76]
	v_fma_f64 v[15:16], v[63:64], v[71:72], v[15:16]
	v_fma_f64 v[55:56], v[67:68], v[71:72], v[55:56]
	v_fma_f64 v[6:7], v[69:70], v[71:72], v[6:7]
	s_waitcnt vmcnt(8)
	v_cvt_f64_f32_e32 v[63:64], v11
	v_cvt_f64_f32_e32 v[11:12], v12
	v_cvt_f64_f32_e32 v[65:66], v13
	v_cvt_f64_f32_e32 v[13:14], v14
	v_fma_f64 v[57:58], v[59:60], v[73:74], v[57:58]
	v_fma_f64 v[15:16], v[17:18], v[73:74], v[15:16]
	v_fma_f64 v[17:18], v[61:62], v[73:74], v[55:56]
	v_fma_f64 v[6:7], v[19:20], v[73:74], v[6:7]
	;; [unrolled: 19-line block ×4, first 2 shown]
	s_waitcnt vmcnt(1)
	v_cvt_f64_f32_e32 v[23:24], v47
	v_cvt_f64_f32_e32 v[25:26], v48
	;; [unrolled: 1-line block ×4, first 2 shown]
	s_waitcnt vmcnt(0)
	v_fma_f64 v[13:14], v[17:18], v[51:52], v[13:14]
	v_fma_f64 v[17:18], v[19:20], v[51:52], v[11:12]
	;; [unrolled: 1-line block ×4, first 2 shown]
	s_delay_alu instid0(VALU_DEP_4) | instskip(NEXT) | instid1(VALU_DEP_4)
	v_fma_f64 v[11:12], v[23:24], v[53:54], v[13:14]
	v_fma_f64 v[15:16], v[25:26], v[53:54], v[17:18]
	s_delay_alu instid0(VALU_DEP_4) | instskip(NEXT) | instid1(VALU_DEP_4)
	v_fma_f64 v[13:14], v[29:30], v[53:54], v[19:20]
	v_fma_f64 v[6:7], v[33:34], v[53:54], v[6:7]
	s_and_not1_b32 exec_lo, exec_lo, s7
	s_cbranch_execnz .LBB153_33
; %bb.34:
	s_or_b32 exec_lo, exec_lo, s7
.LBB153_35:
	s_delay_alu instid0(SALU_CYCLE_1)
	s_or_b32 exec_lo, exec_lo, s6
.LBB153_36:
	s_delay_alu instid0(SALU_CYCLE_1)
	s_or_b32 exec_lo, exec_lo, s3
.LBB153_37:
	v_mbcnt_lo_u32_b32 v24, -1, 0
	s_delay_alu instid0(VALU_DEP_1) | instskip(NEXT) | instid1(VALU_DEP_1)
	v_xor_b32_e32 v0, 16, v24
	v_cmp_gt_i32_e32 vcc_lo, 32, v0
	v_cndmask_b32_e32 v0, v24, v0, vcc_lo
	s_delay_alu instid0(VALU_DEP_1)
	v_lshlrev_b32_e32 v20, 2, v0
	ds_bpermute_b32 v0, v20, v11
	ds_bpermute_b32 v1, v20, v12
	;; [unrolled: 1-line block ×4, first 2 shown]
	s_waitcnt lgkmcnt(0)
	v_add_f64 v[0:1], v[11:12], v[0:1]
	v_add_f64 v[11:12], v[13:14], v[17:18]
	v_xor_b32_e32 v13, 8, v24
	s_delay_alu instid0(VALU_DEP_1)
	v_cmp_gt_i32_e32 vcc_lo, 32, v13
	v_cndmask_b32_e32 v13, v24, v13, vcc_lo
	ds_bpermute_b32 v4, v20, v15
	ds_bpermute_b32 v5, v20, v16
	;; [unrolled: 1-line block ×4, first 2 shown]
	s_waitcnt lgkmcnt(2)
	v_add_f64 v[4:5], v[15:16], v[4:5]
	s_waitcnt lgkmcnt(0)
	v_add_f64 v[6:7], v[6:7], v[19:20]
	v_lshlrev_b32_e32 v20, 2, v13
	ds_bpermute_b32 v13, v20, v0
	ds_bpermute_b32 v14, v20, v1
	;; [unrolled: 1-line block ×4, first 2 shown]
	s_waitcnt lgkmcnt(2)
	v_add_f64 v[0:1], v[0:1], v[13:14]
	v_xor_b32_e32 v13, 4, v24
	s_waitcnt lgkmcnt(0)
	v_add_f64 v[11:12], v[11:12], v[17:18]
	s_delay_alu instid0(VALU_DEP_2)
	v_cmp_gt_i32_e32 vcc_lo, 32, v13
	ds_bpermute_b32 v15, v20, v4
	ds_bpermute_b32 v16, v20, v5
	;; [unrolled: 1-line block ×4, first 2 shown]
	v_cndmask_b32_e32 v13, v24, v13, vcc_lo
	s_waitcnt lgkmcnt(2)
	v_add_f64 v[4:5], v[4:5], v[15:16]
	s_waitcnt lgkmcnt(0)
	v_add_f64 v[6:7], v[6:7], v[19:20]
	v_lshlrev_b32_e32 v20, 2, v13
	ds_bpermute_b32 v13, v20, v0
	ds_bpermute_b32 v14, v20, v1
	;; [unrolled: 1-line block ×4, first 2 shown]
	s_waitcnt lgkmcnt(2)
	v_add_f64 v[0:1], v[0:1], v[13:14]
	s_waitcnt lgkmcnt(0)
	v_add_f64 v[13:14], v[11:12], v[17:18]
	ds_bpermute_b32 v15, v20, v4
	ds_bpermute_b32 v16, v20, v5
	;; [unrolled: 1-line block ×4, first 2 shown]
	s_waitcnt lgkmcnt(2)
	v_add_f64 v[4:5], v[4:5], v[15:16]
	s_waitcnt lgkmcnt(0)
	v_add_f64 v[15:16], v[6:7], v[19:20]
	v_xor_b32_e32 v6, 2, v24
	s_delay_alu instid0(VALU_DEP_1) | instskip(SKIP_1) | instid1(VALU_DEP_1)
	v_cmp_gt_i32_e32 vcc_lo, 32, v6
	v_cndmask_b32_e32 v6, v24, v6, vcc_lo
	v_lshlrev_b32_e32 v11, 2, v6
	ds_bpermute_b32 v6, v11, v0
	ds_bpermute_b32 v7, v11, v1
	;; [unrolled: 1-line block ×8, first 2 shown]
	s_waitcnt lgkmcnt(6)
	v_add_f64 v[11:12], v[0:1], v[6:7]
	s_waitcnt lgkmcnt(4)
	v_add_f64 v[0:1], v[13:14], v[19:20]
	v_xor_b32_e32 v13, 1, v24
	s_delay_alu instid0(VALU_DEP_1)
	v_cmp_gt_i32_e32 vcc_lo, 32, v13
	v_cndmask_b32_e32 v13, v24, v13, vcc_lo
	v_cmp_eq_u32_e32 vcc_lo, 31, v21
	s_waitcnt lgkmcnt(2)
	v_add_f64 v[6:7], v[4:5], v[17:18]
	s_waitcnt lgkmcnt(0)
	v_add_f64 v[4:5], v[15:16], v[22:23]
	v_lshlrev_b32_e32 v14, 2, v13
	ds_bpermute_b32 v19, v14, v11
	ds_bpermute_b32 v20, v14, v12
	;; [unrolled: 1-line block ×8, first 2 shown]
	s_and_b32 exec_lo, exec_lo, vcc_lo
	s_cbranch_execz .LBB153_10
; %bb.38:
	s_waitcnt lgkmcnt(6)
	v_add_f64 v[11:12], v[11:12], v[19:20]
	s_waitcnt lgkmcnt(2)
	v_add_f64 v[6:7], v[6:7], v[17:18]
	v_add_f64 v[0:1], v[0:1], v[15:16]
	s_waitcnt lgkmcnt(0)
	v_add_f64 v[13:14], v[4:5], v[13:14]
	s_load_b64 s[0:1], s[0:1], 0x50
	v_lshlrev_b32_e32 v10, 2, v10
	s_mov_b32 s2, exec_lo
	v_mul_f64 v[4:5], v[2:3], v[11:12]
	v_mul_f64 v[6:7], v[2:3], v[6:7]
	;; [unrolled: 1-line block ×4, first 2 shown]
	v_cmpx_eq_f64_e32 0, v[8:9]
	s_xor_b32 s2, exec_lo, s2
	s_cbranch_execz .LBB153_40
; %bb.39:
	v_ashrrev_i32_e32 v11, 31, v10
	s_delay_alu instid0(VALU_DEP_1) | instskip(SKIP_1) | instid1(VALU_DEP_1)
	v_lshlrev_b64 v[8:9], 3, v[10:11]
                                        ; implicit-def: $vgpr10
	s_waitcnt lgkmcnt(0)
	v_add_co_u32 v8, vcc_lo, s0, v8
	s_delay_alu instid0(VALU_DEP_2)
	v_add_co_ci_u32_e32 v9, vcc_lo, s1, v9, vcc_lo
	s_clause 0x1
	global_store_b128 v[8:9], v[4:7], off
	global_store_b128 v[8:9], v[0:3], off offset:16
                                        ; implicit-def: $vgpr8_vgpr9
                                        ; implicit-def: $vgpr4_vgpr5
                                        ; implicit-def: $vgpr0_vgpr1
.LBB153_40:
	s_and_not1_saveexec_b32 s2, s2
	s_cbranch_execz .LBB153_10
; %bb.41:
	v_ashrrev_i32_e32 v11, 31, v10
	s_delay_alu instid0(VALU_DEP_1) | instskip(SKIP_1) | instid1(VALU_DEP_1)
	v_lshlrev_b64 v[10:11], 3, v[10:11]
	s_waitcnt lgkmcnt(0)
	v_add_co_u32 v18, vcc_lo, s0, v10
	s_delay_alu instid0(VALU_DEP_2)
	v_add_co_ci_u32_e32 v19, vcc_lo, s1, v11, vcc_lo
	s_clause 0x1
	global_load_b128 v[10:13], v[18:19], off
	global_load_b128 v[14:17], v[18:19], off offset:16
	s_waitcnt vmcnt(1)
	v_fma_f64 v[4:5], v[8:9], v[10:11], v[4:5]
	v_fma_f64 v[6:7], v[8:9], v[12:13], v[6:7]
	s_waitcnt vmcnt(0)
	v_fma_f64 v[0:1], v[8:9], v[14:15], v[0:1]
	v_fma_f64 v[2:3], v[8:9], v[16:17], v[2:3]
	s_clause 0x1
	global_store_b128 v[18:19], v[4:7], off
	global_store_b128 v[18:19], v[0:3], off offset:16
	s_nop 0
	s_sendmsg sendmsg(MSG_DEALLOC_VGPRS)
	s_endpgm
	.section	.rodata,"a",@progbits
	.p2align	6, 0x0
	.amdhsa_kernel _ZN9rocsparseL18bsrxmvn_4x4_kernelILj128ELj32EdiifddEEvT3_20rocsparse_direction_NS_24const_host_device_scalarIT1_EES1_PKS1_PKT2_SA_S7_PKT4_PKT5_S5_PT6_21rocsparse_index_base_b
		.amdhsa_group_segment_fixed_size 0
		.amdhsa_private_segment_fixed_size 0
		.amdhsa_kernarg_size 96
		.amdhsa_user_sgpr_count 15
		.amdhsa_user_sgpr_dispatch_ptr 0
		.amdhsa_user_sgpr_queue_ptr 0
		.amdhsa_user_sgpr_kernarg_segment_ptr 1
		.amdhsa_user_sgpr_dispatch_id 0
		.amdhsa_user_sgpr_private_segment_size 0
		.amdhsa_wavefront_size32 1
		.amdhsa_uses_dynamic_stack 0
		.amdhsa_enable_private_segment 0
		.amdhsa_system_sgpr_workgroup_id_x 1
		.amdhsa_system_sgpr_workgroup_id_y 0
		.amdhsa_system_sgpr_workgroup_id_z 0
		.amdhsa_system_sgpr_workgroup_info 0
		.amdhsa_system_vgpr_workitem_id 0
		.amdhsa_next_free_vgpr 105
		.amdhsa_next_free_sgpr 16
		.amdhsa_reserve_vcc 1
		.amdhsa_float_round_mode_32 0
		.amdhsa_float_round_mode_16_64 0
		.amdhsa_float_denorm_mode_32 3
		.amdhsa_float_denorm_mode_16_64 3
		.amdhsa_dx10_clamp 1
		.amdhsa_ieee_mode 1
		.amdhsa_fp16_overflow 0
		.amdhsa_workgroup_processor_mode 1
		.amdhsa_memory_ordered 1
		.amdhsa_forward_progress 0
		.amdhsa_shared_vgpr_count 0
		.amdhsa_exception_fp_ieee_invalid_op 0
		.amdhsa_exception_fp_denorm_src 0
		.amdhsa_exception_fp_ieee_div_zero 0
		.amdhsa_exception_fp_ieee_overflow 0
		.amdhsa_exception_fp_ieee_underflow 0
		.amdhsa_exception_fp_ieee_inexact 0
		.amdhsa_exception_int_div_zero 0
	.end_amdhsa_kernel
	.section	.text._ZN9rocsparseL18bsrxmvn_4x4_kernelILj128ELj32EdiifddEEvT3_20rocsparse_direction_NS_24const_host_device_scalarIT1_EES1_PKS1_PKT2_SA_S7_PKT4_PKT5_S5_PT6_21rocsparse_index_base_b,"axG",@progbits,_ZN9rocsparseL18bsrxmvn_4x4_kernelILj128ELj32EdiifddEEvT3_20rocsparse_direction_NS_24const_host_device_scalarIT1_EES1_PKS1_PKT2_SA_S7_PKT4_PKT5_S5_PT6_21rocsparse_index_base_b,comdat
.Lfunc_end153:
	.size	_ZN9rocsparseL18bsrxmvn_4x4_kernelILj128ELj32EdiifddEEvT3_20rocsparse_direction_NS_24const_host_device_scalarIT1_EES1_PKS1_PKT2_SA_S7_PKT4_PKT5_S5_PT6_21rocsparse_index_base_b, .Lfunc_end153-_ZN9rocsparseL18bsrxmvn_4x4_kernelILj128ELj32EdiifddEEvT3_20rocsparse_direction_NS_24const_host_device_scalarIT1_EES1_PKS1_PKT2_SA_S7_PKT4_PKT5_S5_PT6_21rocsparse_index_base_b
                                        ; -- End function
	.section	.AMDGPU.csdata,"",@progbits
; Kernel info:
; codeLenInByte = 5560
; NumSgprs: 18
; NumVgprs: 105
; ScratchSize: 0
; MemoryBound: 0
; FloatMode: 240
; IeeeMode: 1
; LDSByteSize: 0 bytes/workgroup (compile time only)
; SGPRBlocks: 2
; VGPRBlocks: 13
; NumSGPRsForWavesPerEU: 18
; NumVGPRsForWavesPerEU: 105
; Occupancy: 12
; WaveLimiterHint : 1
; COMPUTE_PGM_RSRC2:SCRATCH_EN: 0
; COMPUTE_PGM_RSRC2:USER_SGPR: 15
; COMPUTE_PGM_RSRC2:TRAP_HANDLER: 0
; COMPUTE_PGM_RSRC2:TGID_X_EN: 1
; COMPUTE_PGM_RSRC2:TGID_Y_EN: 0
; COMPUTE_PGM_RSRC2:TGID_Z_EN: 0
; COMPUTE_PGM_RSRC2:TIDIG_COMP_CNT: 0
	.section	.text._ZN9rocsparseL18bsrxmvn_4x4_kernelILj128ELj64EdiifddEEvT3_20rocsparse_direction_NS_24const_host_device_scalarIT1_EES1_PKS1_PKT2_SA_S7_PKT4_PKT5_S5_PT6_21rocsparse_index_base_b,"axG",@progbits,_ZN9rocsparseL18bsrxmvn_4x4_kernelILj128ELj64EdiifddEEvT3_20rocsparse_direction_NS_24const_host_device_scalarIT1_EES1_PKS1_PKT2_SA_S7_PKT4_PKT5_S5_PT6_21rocsparse_index_base_b,comdat
	.globl	_ZN9rocsparseL18bsrxmvn_4x4_kernelILj128ELj64EdiifddEEvT3_20rocsparse_direction_NS_24const_host_device_scalarIT1_EES1_PKS1_PKT2_SA_S7_PKT4_PKT5_S5_PT6_21rocsparse_index_base_b ; -- Begin function _ZN9rocsparseL18bsrxmvn_4x4_kernelILj128ELj64EdiifddEEvT3_20rocsparse_direction_NS_24const_host_device_scalarIT1_EES1_PKS1_PKT2_SA_S7_PKT4_PKT5_S5_PT6_21rocsparse_index_base_b
	.p2align	8
	.type	_ZN9rocsparseL18bsrxmvn_4x4_kernelILj128ELj64EdiifddEEvT3_20rocsparse_direction_NS_24const_host_device_scalarIT1_EES1_PKS1_PKT2_SA_S7_PKT4_PKT5_S5_PT6_21rocsparse_index_base_b,@function
_ZN9rocsparseL18bsrxmvn_4x4_kernelILj128ELj64EdiifddEEvT3_20rocsparse_direction_NS_24const_host_device_scalarIT1_EES1_PKS1_PKT2_SA_S7_PKT4_PKT5_S5_PT6_21rocsparse_index_base_b: ; @_ZN9rocsparseL18bsrxmvn_4x4_kernelILj128ELj64EdiifddEEvT3_20rocsparse_direction_NS_24const_host_device_scalarIT1_EES1_PKS1_PKT2_SA_S7_PKT4_PKT5_S5_PT6_21rocsparse_index_base_b
; %bb.0:
	s_clause 0x2
	s_load_b64 s[12:13], s[0:1], 0x58
	s_load_b64 s[4:5], s[0:1], 0x8
	;; [unrolled: 1-line block ×3, first 2 shown]
	s_waitcnt lgkmcnt(0)
	s_bitcmp1_b32 s13, 0
	v_dual_mov_b32 v2, s4 :: v_dual_mov_b32 v3, s5
	s_cselect_b32 s6, -1, 0
	s_delay_alu instid0(SALU_CYCLE_1)
	s_and_b32 vcc_lo, exec_lo, s6
	s_xor_b32 s6, s6, -1
	s_cbranch_vccnz .LBB154_2
; %bb.1:
	v_dual_mov_b32 v1, s4 :: v_dual_mov_b32 v2, s5
	flat_load_b64 v[2:3], v[1:2]
.LBB154_2:
	v_dual_mov_b32 v9, s3 :: v_dual_mov_b32 v8, s2
	s_and_not1_b32 vcc_lo, exec_lo, s6
	s_cbranch_vccnz .LBB154_4
; %bb.3:
	v_dual_mov_b32 v5, s3 :: v_dual_mov_b32 v4, s2
	flat_load_b64 v[8:9], v[4:5]
.LBB154_4:
	s_waitcnt vmcnt(0) lgkmcnt(0)
	v_cmp_neq_f64_e32 vcc_lo, 0, v[2:3]
	v_cmp_neq_f64_e64 s2, 1.0, v[8:9]
	s_delay_alu instid0(VALU_DEP_1) | instskip(NEXT) | instid1(SALU_CYCLE_1)
	s_or_b32 s2, vcc_lo, s2
	s_and_saveexec_b32 s3, s2
	s_cbranch_execz .LBB154_10
; %bb.5:
	s_clause 0x1
	s_load_b64 s[4:5], s[0:1], 0x18
	s_load_b64 s[2:3], s[0:1], 0x0
	v_lshrrev_b32_e32 v1, 6, v0
	s_delay_alu instid0(VALU_DEP_1)
	v_lshl_or_b32 v10, s15, 1, v1
	s_waitcnt lgkmcnt(0)
	s_cmp_lg_u64 s[4:5], 0
	s_cbranch_scc0 .LBB154_11
; %bb.6:
	s_load_b32 s6, s[0:1], 0x10
	s_mov_b32 s7, 0
                                        ; implicit-def: $vgpr1
	s_waitcnt lgkmcnt(0)
	v_cmp_gt_i32_e32 vcc_lo, s6, v10
	s_mov_b32 s6, 0
	s_and_saveexec_b32 s8, vcc_lo
	s_delay_alu instid0(SALU_CYCLE_1)
	s_xor_b32 s8, exec_lo, s8
	s_cbranch_execz .LBB154_8
; %bb.7:
	v_ashrrev_i32_e32 v11, 31, v10
	s_mov_b32 s6, exec_lo
	s_delay_alu instid0(VALU_DEP_1) | instskip(NEXT) | instid1(VALU_DEP_1)
	v_lshlrev_b64 v[4:5], 2, v[10:11]
	v_add_co_u32 v4, vcc_lo, s4, v4
	s_delay_alu instid0(VALU_DEP_2)
	v_add_co_ci_u32_e32 v5, vcc_lo, s5, v5, vcc_lo
	global_load_b32 v1, v[4:5], off
	s_waitcnt vmcnt(0)
	v_subrev_nc_u32_e32 v1, s12, v1
.LBB154_8:
	s_or_b32 exec_lo, exec_lo, s8
	s_delay_alu instid0(SALU_CYCLE_1)
	s_and_b32 vcc_lo, exec_lo, s7
	s_cbranch_vccz .LBB154_12
.LBB154_9:
	v_cmp_gt_i32_e32 vcc_lo, s2, v10
	s_and_not1_b32 s2, s6, exec_lo
	s_and_b32 s4, vcc_lo, exec_lo
	s_delay_alu instid0(SALU_CYCLE_1) | instskip(NEXT) | instid1(SALU_CYCLE_1)
	s_or_b32 s6, s2, s4
	s_and_b32 exec_lo, exec_lo, s6
	s_cbranch_execnz .LBB154_13
.LBB154_10:
	s_nop 0
	s_sendmsg sendmsg(MSG_DEALLOC_VGPRS)
	s_endpgm
.LBB154_11:
	s_mov_b32 s6, 0
                                        ; implicit-def: $vgpr1
	s_cbranch_execnz .LBB154_9
.LBB154_12:
	s_delay_alu instid0(VALU_DEP_1)
	v_mov_b32_e32 v10, v1
	s_and_b32 exec_lo, exec_lo, s6
	s_cbranch_execz .LBB154_10
.LBB154_13:
	s_load_b256 s[4:11], s[0:1], 0x20
	s_delay_alu instid0(VALU_DEP_1) | instskip(SKIP_1) | instid1(VALU_DEP_2)
	v_ashrrev_i32_e32 v11, 31, v10
	v_and_b32_e32 v21, 63, v0
	v_lshlrev_b64 v[4:5], 2, v[10:11]
	s_waitcnt lgkmcnt(0)
	s_delay_alu instid0(VALU_DEP_1) | instskip(NEXT) | instid1(VALU_DEP_2)
	v_add_co_u32 v6, vcc_lo, s4, v4
	v_add_co_ci_u32_e32 v7, vcc_lo, s5, v5, vcc_lo
	v_add_co_u32 v1, vcc_lo, s6, v4
	v_add_co_ci_u32_e32 v4, vcc_lo, s7, v5, vcc_lo
	global_load_b32 v23, v[6:7], off
	v_add_co_u32 v6, vcc_lo, v6, 4
	v_add_co_ci_u32_e32 v5, vcc_lo, 0, v7, vcc_lo
	s_cmp_eq_u64 s[6:7], 0
	s_load_b64 s[4:5], s[0:1], 0x40
	s_cselect_b32 vcc_lo, -1, 0
	s_cmp_eq_u32 s3, 1
	v_dual_cndmask_b32 v5, v4, v5 :: v_dual_cndmask_b32 v4, v1, v6
	global_load_b32 v6, v[4:5], off
	s_waitcnt vmcnt(1)
	v_subrev_nc_u32_e32 v0, s12, v23
	s_delay_alu instid0(VALU_DEP_1) | instskip(NEXT) | instid1(VALU_DEP_1)
	v_add_nc_u32_e32 v0, v0, v21
	v_ashrrev_i32_e32 v1, 31, v0
	s_waitcnt vmcnt(0)
	v_subrev_nc_u32_e32 v22, s12, v6
	s_delay_alu instid0(VALU_DEP_2) | instskip(NEXT) | instid1(VALU_DEP_2)
	v_lshlrev_b64 v[4:5], 6, v[0:1]
	v_cmp_lt_i32_e64 s2, v0, v22
	s_delay_alu instid0(VALU_DEP_2) | instskip(NEXT) | instid1(VALU_DEP_3)
	v_add_co_u32 v4, vcc_lo, s10, v4
	v_add_co_ci_u32_e32 v5, vcc_lo, s11, v5, vcc_lo
	s_cbranch_scc1 .LBB154_25
; %bb.14:
	v_mov_b32_e32 v6, 0
	v_mov_b32_e32 v7, 0
	s_delay_alu instid0(VALU_DEP_1)
	v_dual_mov_b32 v12, v7 :: v_dual_mov_b32 v11, v6
	v_dual_mov_b32 v16, v7 :: v_dual_mov_b32 v15, v6
	;; [unrolled: 1-line block ×3, first 2 shown]
	s_and_saveexec_b32 s6, s2
	s_cbranch_execz .LBB154_24
; %bb.15:
	v_add_nc_u32_e32 v1, v23, v21
	v_mov_b32_e32 v13, 0
	v_mov_b32_e32 v14, 0
	v_not_b32_e32 v6, v23
	s_delay_alu instid0(VALU_DEP_3) | instskip(SKIP_4) | instid1(VALU_DEP_2)
	v_mov_b32_e32 v11, v13
	v_subrev_nc_u32_e32 v1, s12, v1
	v_dual_mov_b32 v20, v5 :: v_dual_mov_b32 v19, v4
	s_mov_b32 s10, 0
	s_mov_b32 s7, exec_lo
	v_dual_mov_b32 v16, v14 :: v_dual_add_nc_u32 v1, 64, v1
	v_dual_mov_b32 v15, v13 :: v_dual_mov_b32 v12, v14
	v_mov_b32_e32 v17, v0
	s_delay_alu instid0(VALU_DEP_3) | instskip(NEXT) | instid1(VALU_DEP_1)
	v_max_i32_e32 v1, v1, v22
	v_add3_u32 v1, v1, s12, v6
	s_delay_alu instid0(VALU_DEP_1) | instskip(NEXT) | instid1(VALU_DEP_1)
	v_sub_nc_u32_e32 v1, v1, v21
	v_lshrrev_b32_e32 v6, 6, v1
	s_delay_alu instid0(VALU_DEP_1) | instskip(NEXT) | instid1(VALU_DEP_1)
	v_add_nc_u32_e32 v6, 1, v6
	v_and_b32_e32 v18, 3, v6
	v_dual_mov_b32 v6, v13 :: v_dual_mov_b32 v7, v14
	s_delay_alu instid0(VALU_DEP_2)
	v_cmpx_ne_u32_e32 0, v18
	s_cbranch_execz .LBB154_19
; %bb.16:
	v_mov_b32_e32 v6, 0
	v_dual_mov_b32 v7, 0 :: v_dual_lshlrev_b32 v24, 6, v18
	v_dual_mov_b32 v20, v5 :: v_dual_mov_b32 v17, v0
	s_delay_alu instid0(VALU_DEP_2) | instskip(NEXT) | instid1(VALU_DEP_4)
	v_dual_mov_b32 v19, v4 :: v_dual_mov_b32 v12, v7
	v_dual_mov_b32 v11, v6 :: v_dual_mov_b32 v16, v7
	;; [unrolled: 1-line block ×3, first 2 shown]
	v_mov_b32_e32 v13, v6
.LBB154_17:                             ; =>This Inner Loop Header: Depth=1
	v_ashrrev_i32_e32 v18, 31, v17
	v_subrev_nc_u32_e32 v24, 64, v24
	s_delay_alu instid0(VALU_DEP_2) | instskip(NEXT) | instid1(VALU_DEP_2)
	v_lshlrev_b64 v[25:26], 2, v[17:18]
	v_cmp_eq_u32_e64 s3, 0, v24
	v_add_nc_u32_e32 v17, 64, v17
	s_delay_alu instid0(VALU_DEP_2) | instskip(NEXT) | instid1(VALU_DEP_3)
	s_or_b32 s10, s3, s10
	v_add_co_u32 v25, vcc_lo, s8, v25
	s_delay_alu instid0(VALU_DEP_4)
	v_add_co_ci_u32_e32 v26, vcc_lo, s9, v26, vcc_lo
	global_load_b32 v18, v[25:26], off
	s_clause 0x3
	global_load_b128 v[25:28], v[19:20], off
	global_load_b128 v[29:32], v[19:20], off offset:16
	global_load_b128 v[33:36], v[19:20], off offset:32
	;; [unrolled: 1-line block ×3, first 2 shown]
	s_waitcnt vmcnt(4)
	v_subrev_nc_u32_e32 v18, s12, v18
	s_waitcnt vmcnt(3)
	v_cvt_f64_f32_e32 v[49:50], v25
	s_waitcnt vmcnt(2)
	v_cvt_f64_f32_e32 v[51:52], v29
	;; [unrolled: 2-line block ×4, first 2 shown]
	v_lshlrev_b32_e32 v41, 2, v18
	v_cvt_f64_f32_e32 v[25:26], v26
	v_cvt_f64_f32_e32 v[29:30], v30
	;; [unrolled: 1-line block ×4, first 2 shown]
	v_ashrrev_i32_e32 v42, 31, v41
	s_delay_alu instid0(VALU_DEP_1) | instskip(SKIP_1) | instid1(VALU_DEP_1)
	v_lshlrev_b64 v[41:42], 3, v[41:42]
	s_waitcnt lgkmcnt(0)
	v_add_co_u32 v45, vcc_lo, s4, v41
	s_delay_alu instid0(VALU_DEP_2)
	v_add_co_ci_u32_e32 v46, vcc_lo, s5, v42, vcc_lo
	v_add_co_u32 v19, vcc_lo, 0x1000, v19
	s_clause 0x1
	global_load_b128 v[41:44], v[45:46], off
	global_load_b128 v[45:48], v[45:46], off offset:16
	v_add_co_ci_u32_e32 v20, vcc_lo, 0, v20, vcc_lo
	s_waitcnt vmcnt(1)
	v_fma_f64 v[13:14], v[49:50], v[41:42], v[13:14]
	v_fma_f64 v[15:16], v[51:52], v[41:42], v[15:16]
	;; [unrolled: 1-line block ×4, first 2 shown]
	v_cvt_f64_f32_e32 v[41:42], v27
	v_cvt_f64_f32_e32 v[49:50], v31
	;; [unrolled: 1-line block ×4, first 2 shown]
	v_fma_f64 v[13:14], v[25:26], v[43:44], v[13:14]
	v_fma_f64 v[15:16], v[29:30], v[43:44], v[15:16]
	;; [unrolled: 1-line block ×4, first 2 shown]
	v_cvt_f64_f32_e32 v[25:26], v28
	v_cvt_f64_f32_e32 v[27:28], v32
	v_cvt_f64_f32_e32 v[29:30], v36
	v_cvt_f64_f32_e32 v[31:32], v40
	s_waitcnt vmcnt(0)
	v_fma_f64 v[13:14], v[41:42], v[45:46], v[13:14]
	v_fma_f64 v[15:16], v[49:50], v[45:46], v[15:16]
	;; [unrolled: 1-line block ×4, first 2 shown]
	s_delay_alu instid0(VALU_DEP_4) | instskip(NEXT) | instid1(VALU_DEP_4)
	v_fma_f64 v[13:14], v[25:26], v[47:48], v[13:14]
	v_fma_f64 v[15:16], v[27:28], v[47:48], v[15:16]
	s_delay_alu instid0(VALU_DEP_4) | instskip(NEXT) | instid1(VALU_DEP_4)
	v_fma_f64 v[11:12], v[29:30], v[47:48], v[11:12]
	v_fma_f64 v[6:7], v[31:32], v[47:48], v[6:7]
	s_and_not1_b32 exec_lo, exec_lo, s10
	s_cbranch_execnz .LBB154_17
; %bb.18:
	s_or_b32 exec_lo, exec_lo, s10
.LBB154_19:
	s_delay_alu instid0(SALU_CYCLE_1) | instskip(NEXT) | instid1(SALU_CYCLE_1)
	s_or_b32 exec_lo, exec_lo, s7
	s_mov_b32 s7, exec_lo
	v_cmpx_lt_u32_e32 0xbf, v1
	s_cbranch_execz .LBB154_23
; %bb.20:
	s_mov_b32 s10, 0
.LBB154_21:                             ; =>This Inner Loop Header: Depth=1
	v_ashrrev_i32_e32 v18, 31, v17
	s_delay_alu instid0(VALU_DEP_1) | instskip(SKIP_1) | instid1(VALU_DEP_2)
	v_lshlrev_b64 v[24:25], 2, v[17:18]
	v_add_nc_u32_e32 v17, 0x100, v17
	v_add_co_u32 v40, vcc_lo, s8, v24
	s_delay_alu instid0(VALU_DEP_3)
	v_add_co_ci_u32_e32 v41, vcc_lo, s9, v25, vcc_lo
	s_clause 0x1
	global_load_b32 v1, v[40:41], off
	global_load_b32 v18, v[40:41], off offset:256
	s_clause 0x3
	global_load_b128 v[24:27], v[19:20], off
	global_load_b128 v[28:31], v[19:20], off offset:16
	global_load_b128 v[32:35], v[19:20], off offset:32
	global_load_b128 v[36:39], v[19:20], off offset:48
	s_clause 0x1
	global_load_b32 v90, v[40:41], off offset:512
	global_load_b32 v104, v[40:41], off offset:768
	s_waitcnt vmcnt(7)
	v_subrev_nc_u32_e32 v1, s12, v1
	s_waitcnt vmcnt(5)
	v_cvt_f64_f32_e32 v[88:89], v24
	s_waitcnt vmcnt(4)
	v_cvt_f64_f32_e32 v[92:93], v28
	;; [unrolled: 2-line block ×3, first 2 shown]
	v_lshlrev_b32_e32 v40, 2, v1
	v_subrev_nc_u32_e32 v1, s12, v18
	s_waitcnt vmcnt(2)
	v_cvt_f64_f32_e32 v[96:97], v36
	v_cvt_f64_f32_e32 v[24:25], v25
	;; [unrolled: 1-line block ×3, first 2 shown]
	v_ashrrev_i32_e32 v41, 31, v40
	v_lshlrev_b32_e32 v64, 2, v1
	s_waitcnt vmcnt(1)
	v_subrev_nc_u32_e32 v1, s12, v90
	v_cvt_f64_f32_e32 v[32:33], v33
	v_cvt_f64_f32_e32 v[36:37], v37
	v_lshlrev_b64 v[40:41], 3, v[40:41]
	v_ashrrev_i32_e32 v65, 31, v64
	v_lshlrev_b32_e32 v90, 2, v1
	v_cvt_f64_f32_e32 v[100:101], v39
	s_waitcnt vmcnt(0)
	v_subrev_nc_u32_e32 v1, s12, v104
	v_lshlrev_b64 v[64:65], 3, v[64:65]
	s_waitcnt lgkmcnt(0)
	v_add_co_u32 v44, vcc_lo, s4, v40
	v_add_co_ci_u32_e32 v45, vcc_lo, s5, v41, vcc_lo
	v_add_co_u32 v72, vcc_lo, v19, 0x2000
	s_clause 0x1
	global_load_b128 v[40:43], v[44:45], off
	global_load_b128 v[44:47], v[44:45], off offset:16
	v_add_co_ci_u32_e32 v73, vcc_lo, 0, v20, vcc_lo
	v_add_co_u32 v60, vcc_lo, 0x1000, v19
	v_add_co_ci_u32_e32 v61, vcc_lo, 0, v20, vcc_lo
	s_clause 0x3
	global_load_b128 v[48:51], v[72:73], off offset:-4096
	global_load_b128 v[52:55], v[60:61], off offset:16
	global_load_b128 v[56:59], v[60:61], off offset:32
	;; [unrolled: 1-line block ×3, first 2 shown]
	v_add_co_u32 v68, vcc_lo, s4, v64
	v_add_co_ci_u32_e32 v69, vcc_lo, s5, v65, vcc_lo
	s_clause 0x1
	global_load_b128 v[64:67], v[68:69], off
	global_load_b128 v[68:71], v[68:69], off offset:16
	v_add_co_u32 v84, vcc_lo, 0x2000, v19
	v_add_co_ci_u32_e32 v85, vcc_lo, 0, v20, vcc_lo
	s_clause 0x3
	global_load_b128 v[72:75], v[72:73], off
	global_load_b128 v[76:79], v[84:85], off offset:16
	global_load_b128 v[80:83], v[84:85], off offset:32
	;; [unrolled: 1-line block ×3, first 2 shown]
	v_ashrrev_i32_e32 v91, 31, v90
	s_delay_alu instid0(VALU_DEP_1) | instskip(NEXT) | instid1(VALU_DEP_1)
	v_lshlrev_b64 v[90:91], 3, v[90:91]
	v_add_co_u32 v98, vcc_lo, s4, v90
	s_delay_alu instid0(VALU_DEP_2)
	v_add_co_ci_u32_e32 v99, vcc_lo, s5, v91, vcc_lo
	s_waitcnt vmcnt(11)
	v_fma_f64 v[13:14], v[88:89], v[40:41], v[13:14]
	global_load_b128 v[88:91], v[98:99], off
	v_fma_f64 v[15:16], v[92:93], v[40:41], v[15:16]
	v_fma_f64 v[11:12], v[94:95], v[40:41], v[11:12]
	;; [unrolled: 1-line block ×3, first 2 shown]
	v_cvt_f64_f32_e32 v[40:41], v26
	v_cvt_f64_f32_e32 v[92:93], v34
	;; [unrolled: 1-line block ×4, first 2 shown]
	s_waitcnt vmcnt(9)
	v_cvt_f64_f32_e32 v[102:103], v52
	v_cvt_f64_f32_e32 v[52:53], v53
	v_fma_f64 v[24:25], v[24:25], v[42:43], v[13:14]
	v_fma_f64 v[15:16], v[28:29], v[42:43], v[15:16]
	v_cvt_f64_f32_e32 v[28:29], v30
	v_fma_f64 v[32:33], v[32:33], v[42:43], v[11:12]
	global_load_b128 v[11:14], v[98:99], off offset:16
	v_fma_f64 v[6:7], v[36:37], v[42:43], v[6:7]
	v_cvt_f64_f32_e32 v[36:37], v38
	v_cvt_f64_f32_e32 v[42:43], v27
	v_fma_f64 v[40:41], v[40:41], v[44:45], v[24:25]
	v_fma_f64 v[15:16], v[28:29], v[44:45], v[15:16]
	v_fma_f64 v[92:93], v[92:93], v[44:45], v[32:33]
	v_fma_f64 v[6:7], v[36:37], v[44:45], v[6:7]
	v_add_co_u32 v36, vcc_lo, 0x3000, v19
	v_add_co_ci_u32_e32 v37, vcc_lo, 0, v20, vcc_lo
	s_clause 0x3
	global_load_b128 v[24:27], v[36:37], off
	global_load_b128 v[28:31], v[36:37], off offset:16
	global_load_b128 v[32:35], v[36:37], off offset:32
	;; [unrolled: 1-line block ×3, first 2 shown]
	v_cvt_f64_f32_e32 v[44:45], v48
	v_cvt_f64_f32_e32 v[48:49], v49
	v_add_co_u32 v19, s3, 0x4000, v19
	s_delay_alu instid0(VALU_DEP_1)
	v_add_co_ci_u32_e64 v20, s3, 0, v20, s3
	v_fma_f64 v[98:99], v[42:43], v[46:47], v[40:41]
	v_lshlrev_b32_e32 v40, 2, v1
	v_fma_f64 v[15:16], v[94:95], v[46:47], v[15:16]
	s_waitcnt vmcnt(13)
	v_cvt_f64_f32_e32 v[94:95], v56
	v_fma_f64 v[92:93], v[96:97], v[46:47], v[92:93]
	s_waitcnt vmcnt(12)
	v_cvt_f64_f32_e32 v[96:97], v60
	v_fma_f64 v[6:7], v[100:101], v[46:47], v[6:7]
	v_ashrrev_i32_e32 v41, 31, v40
	v_cvt_f64_f32_e32 v[56:57], v57
	v_cvt_f64_f32_e32 v[60:61], v61
	s_delay_alu instid0(VALU_DEP_3) | instskip(NEXT) | instid1(VALU_DEP_1)
	v_lshlrev_b64 v[40:41], 3, v[40:41]
	v_add_co_u32 v46, vcc_lo, s4, v40
	s_delay_alu instid0(VALU_DEP_2)
	v_add_co_ci_u32_e32 v47, vcc_lo, s5, v41, vcc_lo
	v_cmp_ge_i32_e32 vcc_lo, v17, v22
	global_load_b128 v[40:43], v[46:47], off
	s_or_b32 s10, vcc_lo, s10
	s_waitcnt vmcnt(12)
	v_fma_f64 v[44:45], v[44:45], v[64:65], v[98:99]
	v_fma_f64 v[15:16], v[102:103], v[64:65], v[15:16]
	;; [unrolled: 1-line block ×4, first 2 shown]
	v_cvt_f64_f32_e32 v[64:65], v50
	v_cvt_f64_f32_e32 v[50:51], v51
	v_fma_f64 v[48:49], v[48:49], v[66:67], v[44:45]
	global_load_b128 v[44:47], v[46:47], off offset:16
	v_fma_f64 v[15:16], v[52:53], v[66:67], v[15:16]
	v_cvt_f64_f32_e32 v[52:53], v54
	v_fma_f64 v[56:57], v[56:57], v[66:67], v[92:93]
	v_cvt_f64_f32_e32 v[92:93], v58
	;; [unrolled: 2-line block ×3, first 2 shown]
	v_cvt_f64_f32_e32 v[54:55], v55
	v_cvt_f64_f32_e32 v[58:59], v59
	;; [unrolled: 1-line block ×3, first 2 shown]
	s_waitcnt vmcnt(8)
	v_cvt_f64_f32_e32 v[66:67], v84
	v_fma_f64 v[48:49], v[64:65], v[68:69], v[48:49]
	v_cvt_f64_f32_e32 v[64:65], v80
	v_fma_f64 v[15:16], v[52:53], v[68:69], v[15:16]
	v_fma_f64 v[52:53], v[92:93], v[68:69], v[56:57]
	v_cvt_f64_f32_e32 v[56:57], v72
	v_fma_f64 v[6:7], v[60:61], v[68:69], v[6:7]
	v_cvt_f64_f32_e32 v[60:61], v76
	v_fma_f64 v[48:49], v[50:51], v[70:71], v[48:49]
	v_fma_f64 v[15:16], v[54:55], v[70:71], v[15:16]
	v_cvt_f64_f32_e32 v[54:55], v77
	v_fma_f64 v[50:51], v[58:59], v[70:71], v[52:53]
	v_cvt_f64_f32_e32 v[52:53], v73
	;; [unrolled: 2-line block ×3, first 2 shown]
	v_cvt_f64_f32_e32 v[62:63], v85
	s_waitcnt vmcnt(7)
	v_fma_f64 v[48:49], v[56:57], v[88:89], v[48:49]
	v_fma_f64 v[15:16], v[60:61], v[88:89], v[15:16]
	;; [unrolled: 1-line block ×4, first 2 shown]
	v_cvt_f64_f32_e32 v[56:57], v74
	v_cvt_f64_f32_e32 v[60:61], v78
	;; [unrolled: 1-line block ×4, first 2 shown]
	v_fma_f64 v[48:49], v[52:53], v[90:91], v[48:49]
	v_fma_f64 v[15:16], v[54:55], v[90:91], v[15:16]
	;; [unrolled: 1-line block ×4, first 2 shown]
	v_cvt_f64_f32_e32 v[52:53], v75
	v_cvt_f64_f32_e32 v[54:55], v79
	;; [unrolled: 1-line block ×4, first 2 shown]
	s_waitcnt vmcnt(6)
	v_fma_f64 v[48:49], v[56:57], v[11:12], v[48:49]
	v_fma_f64 v[15:16], v[60:61], v[11:12], v[15:16]
	v_fma_f64 v[50:51], v[64:65], v[11:12], v[50:51]
	v_fma_f64 v[6:7], v[66:67], v[11:12], v[6:7]
	s_waitcnt vmcnt(5)
	v_cvt_f64_f32_e32 v[11:12], v24
	s_waitcnt vmcnt(4)
	v_cvt_f64_f32_e32 v[56:57], v28
	;; [unrolled: 2-line block ×4, first 2 shown]
	v_fma_f64 v[48:49], v[52:53], v[13:14], v[48:49]
	v_fma_f64 v[15:16], v[54:55], v[13:14], v[15:16]
	;; [unrolled: 1-line block ×4, first 2 shown]
	v_cvt_f64_f32_e32 v[13:14], v25
	v_cvt_f64_f32_e32 v[24:25], v29
	;; [unrolled: 1-line block ×5, first 2 shown]
	s_waitcnt vmcnt(1)
	v_fma_f64 v[11:12], v[11:12], v[40:41], v[48:49]
	v_fma_f64 v[15:16], v[56:57], v[40:41], v[15:16]
	;; [unrolled: 1-line block ×4, first 2 shown]
	v_cvt_f64_f32_e32 v[40:41], v26
	v_cvt_f64_f32_e32 v[48:49], v30
	;; [unrolled: 1-line block ×3, first 2 shown]
	v_fma_f64 v[11:12], v[13:14], v[42:43], v[11:12]
	v_fma_f64 v[13:14], v[24:25], v[42:43], v[15:16]
	;; [unrolled: 1-line block ×4, first 2 shown]
	v_cvt_f64_f32_e32 v[24:25], v27
	v_cvt_f64_f32_e32 v[26:27], v31
	;; [unrolled: 1-line block ×4, first 2 shown]
	s_waitcnt vmcnt(0)
	v_fma_f64 v[11:12], v[40:41], v[44:45], v[11:12]
	v_fma_f64 v[32:33], v[48:49], v[44:45], v[13:14]
	;; [unrolled: 1-line block ×4, first 2 shown]
	s_delay_alu instid0(VALU_DEP_4) | instskip(NEXT) | instid1(VALU_DEP_4)
	v_fma_f64 v[13:14], v[24:25], v[46:47], v[11:12]
	v_fma_f64 v[15:16], v[26:27], v[46:47], v[32:33]
	s_delay_alu instid0(VALU_DEP_4) | instskip(NEXT) | instid1(VALU_DEP_4)
	v_fma_f64 v[11:12], v[28:29], v[46:47], v[34:35]
	v_fma_f64 v[6:7], v[30:31], v[46:47], v[6:7]
	s_and_not1_b32 exec_lo, exec_lo, s10
	s_cbranch_execnz .LBB154_21
; %bb.22:
	s_or_b32 exec_lo, exec_lo, s10
.LBB154_23:
	s_delay_alu instid0(SALU_CYCLE_1)
	s_or_b32 exec_lo, exec_lo, s7
.LBB154_24:
	s_delay_alu instid0(SALU_CYCLE_1)
	s_or_b32 exec_lo, exec_lo, s6
	s_cbranch_execz .LBB154_26
	s_branch .LBB154_37
.LBB154_25:
                                        ; implicit-def: $vgpr6_vgpr7
                                        ; implicit-def: $vgpr11_vgpr12
                                        ; implicit-def: $vgpr15_vgpr16
                                        ; implicit-def: $vgpr13_vgpr14
.LBB154_26:
	v_mov_b32_e32 v6, 0
	v_mov_b32_e32 v7, 0
	s_delay_alu instid0(VALU_DEP_1)
	v_dual_mov_b32 v12, v7 :: v_dual_mov_b32 v11, v6
	v_dual_mov_b32 v16, v7 :: v_dual_mov_b32 v15, v6
	;; [unrolled: 1-line block ×3, first 2 shown]
	s_and_saveexec_b32 s3, s2
	s_cbranch_execz .LBB154_36
; %bb.27:
	v_add_nc_u32_e32 v1, v23, v21
	v_mov_b32_e32 v13, 0
	v_mov_b32_e32 v14, 0
	v_not_b32_e32 v6, v23
	s_delay_alu instid0(VALU_DEP_3) | instskip(SKIP_4) | instid1(VALU_DEP_2)
	v_mov_b32_e32 v11, v13
	v_subrev_nc_u32_e32 v1, s12, v1
	s_mov_b32 s7, 0
	s_mov_b32 s6, exec_lo
	v_dual_mov_b32 v16, v14 :: v_dual_mov_b32 v15, v13
	v_dual_mov_b32 v12, v14 :: v_dual_add_nc_u32 v1, 64, v1
	s_delay_alu instid0(VALU_DEP_1) | instskip(NEXT) | instid1(VALU_DEP_1)
	v_max_i32_e32 v1, v1, v22
	v_add3_u32 v1, v1, s12, v6
	v_dual_mov_b32 v6, v13 :: v_dual_mov_b32 v7, v14
	s_delay_alu instid0(VALU_DEP_2) | instskip(NEXT) | instid1(VALU_DEP_1)
	v_sub_nc_u32_e32 v17, v1, v21
	v_lshrrev_b32_e32 v1, 6, v17
	s_delay_alu instid0(VALU_DEP_1) | instskip(NEXT) | instid1(VALU_DEP_1)
	v_add_nc_u32_e32 v1, 1, v1
	v_and_b32_e32 v1, 3, v1
	s_delay_alu instid0(VALU_DEP_1)
	v_cmpx_ne_u32_e32 0, v1
	s_cbranch_execz .LBB154_31
; %bb.28:
	v_mov_b32_e32 v6, 0
	v_dual_mov_b32 v7, 0 :: v_dual_lshlrev_b32 v18, 6, v1
	s_delay_alu instid0(VALU_DEP_1)
	v_dual_mov_b32 v12, v7 :: v_dual_mov_b32 v11, v6
	v_dual_mov_b32 v16, v7 :: v_dual_mov_b32 v15, v6
	;; [unrolled: 1-line block ×3, first 2 shown]
.LBB154_29:                             ; =>This Inner Loop Header: Depth=1
	v_ashrrev_i32_e32 v1, 31, v0
	v_subrev_nc_u32_e32 v18, 64, v18
	s_delay_alu instid0(VALU_DEP_2) | instskip(NEXT) | instid1(VALU_DEP_2)
	v_lshlrev_b64 v[19:20], 2, v[0:1]
	v_cmp_eq_u32_e64 s2, 0, v18
	v_add_nc_u32_e32 v0, 64, v0
	s_delay_alu instid0(VALU_DEP_2) | instskip(NEXT) | instid1(VALU_DEP_3)
	s_or_b32 s7, s2, s7
	v_add_co_u32 v19, vcc_lo, s8, v19
	s_delay_alu instid0(VALU_DEP_4)
	v_add_co_ci_u32_e32 v20, vcc_lo, s9, v20, vcc_lo
	global_load_b32 v1, v[19:20], off
	s_clause 0x1
	global_load_b128 v[23:26], v[4:5], off
	global_load_b128 v[27:30], v[4:5], off offset:16
	s_waitcnt vmcnt(2)
	v_subrev_nc_u32_e32 v1, s12, v1
	s_waitcnt vmcnt(1)
	v_cvt_f64_f32_e32 v[47:48], v25
	v_cvt_f64_f32_e32 v[25:26], v26
	s_waitcnt vmcnt(0)
	v_cvt_f64_f32_e32 v[49:50], v27
	v_cvt_f64_f32_e32 v[27:28], v28
	v_lshlrev_b32_e32 v19, 2, v1
	v_cvt_f64_f32_e32 v[51:52], v29
	v_cvt_f64_f32_e32 v[29:30], v30
	s_delay_alu instid0(VALU_DEP_3) | instskip(NEXT) | instid1(VALU_DEP_1)
	v_ashrrev_i32_e32 v20, 31, v19
	v_lshlrev_b64 v[19:20], 3, v[19:20]
	s_waitcnt lgkmcnt(0)
	s_delay_alu instid0(VALU_DEP_1) | instskip(NEXT) | instid1(VALU_DEP_2)
	v_add_co_u32 v19, vcc_lo, s4, v19
	v_add_co_ci_u32_e32 v20, vcc_lo, s5, v20, vcc_lo
	s_clause 0x1
	global_load_b128 v[31:34], v[19:20], off
	global_load_b128 v[35:38], v[19:20], off offset:16
	s_clause 0x1
	global_load_b128 v[39:42], v[4:5], off offset:32
	global_load_b128 v[43:46], v[4:5], off offset:48
	v_cvt_f64_f32_e32 v[19:20], v23
	v_cvt_f64_f32_e32 v[23:24], v24
	v_add_co_u32 v4, vcc_lo, 0x1000, v4
	v_add_co_ci_u32_e32 v5, vcc_lo, 0, v5, vcc_lo
	s_waitcnt vmcnt(3)
	s_delay_alu instid0(VALU_DEP_4) | instskip(NEXT) | instid1(VALU_DEP_4)
	v_fma_f64 v[13:14], v[19:20], v[31:32], v[13:14]
	v_fma_f64 v[15:16], v[23:24], v[31:32], v[15:16]
	;; [unrolled: 1-line block ×4, first 2 shown]
	s_waitcnt vmcnt(1)
	v_cvt_f64_f32_e32 v[19:20], v39
	v_cvt_f64_f32_e32 v[23:24], v40
	;; [unrolled: 1-line block ×4, first 2 shown]
	s_waitcnt vmcnt(0)
	v_cvt_f64_f32_e32 v[39:40], v46
	v_fma_f64 v[13:14], v[49:50], v[33:34], v[13:14]
	v_fma_f64 v[15:16], v[27:28], v[33:34], v[15:16]
	;; [unrolled: 1-line block ×4, first 2 shown]
	v_cvt_f64_f32_e32 v[27:28], v43
	v_cvt_f64_f32_e32 v[29:30], v44
	v_cvt_f64_f32_e32 v[33:34], v45
	v_fma_f64 v[13:14], v[19:20], v[35:36], v[13:14]
	v_fma_f64 v[15:16], v[23:24], v[35:36], v[15:16]
	;; [unrolled: 1-line block ×4, first 2 shown]
	s_delay_alu instid0(VALU_DEP_4) | instskip(NEXT) | instid1(VALU_DEP_4)
	v_fma_f64 v[13:14], v[27:28], v[37:38], v[13:14]
	v_fma_f64 v[15:16], v[29:30], v[37:38], v[15:16]
	s_delay_alu instid0(VALU_DEP_4) | instskip(NEXT) | instid1(VALU_DEP_4)
	v_fma_f64 v[11:12], v[33:34], v[37:38], v[11:12]
	v_fma_f64 v[6:7], v[39:40], v[37:38], v[6:7]
	s_and_not1_b32 exec_lo, exec_lo, s7
	s_cbranch_execnz .LBB154_29
; %bb.30:
	s_or_b32 exec_lo, exec_lo, s7
.LBB154_31:
	s_delay_alu instid0(SALU_CYCLE_1) | instskip(NEXT) | instid1(SALU_CYCLE_1)
	s_or_b32 exec_lo, exec_lo, s6
	s_mov_b32 s6, exec_lo
	v_cmpx_lt_u32_e32 0xbf, v17
	s_cbranch_execz .LBB154_35
; %bb.32:
	s_mov_b32 s7, 0
.LBB154_33:                             ; =>This Inner Loop Header: Depth=1
	v_ashrrev_i32_e32 v1, 31, v0
	s_delay_alu instid0(VALU_DEP_1) | instskip(SKIP_1) | instid1(VALU_DEP_2)
	v_lshlrev_b64 v[17:18], 2, v[0:1]
	v_add_nc_u32_e32 v0, 0x100, v0
	v_add_co_u32 v23, vcc_lo, s8, v17
	s_delay_alu instid0(VALU_DEP_3)
	v_add_co_ci_u32_e32 v24, vcc_lo, s9, v18, vcc_lo
	s_clause 0x2
	global_load_b32 v1, v[23:24], off
	global_load_b32 v47, v[23:24], off offset:256
	global_load_b32 v71, v[23:24], off offset:512
	global_load_b128 v[17:20], v[4:5], off
	global_load_b32 v91, v[23:24], off offset:768
	s_waitcnt vmcnt(4)
	v_subrev_nc_u32_e32 v1, s12, v1
	s_waitcnt vmcnt(1)
	v_cvt_f64_f32_e32 v[77:78], v17
	v_cvt_f64_f32_e32 v[79:80], v18
	s_delay_alu instid0(VALU_DEP_3) | instskip(SKIP_3) | instid1(VALU_DEP_4)
	v_lshlrev_b32_e32 v23, 2, v1
	v_subrev_nc_u32_e32 v1, s12, v47
	v_cvt_f64_f32_e32 v[81:82], v19
	v_cvt_f64_f32_e32 v[83:84], v20
	v_ashrrev_i32_e32 v24, 31, v23
	s_delay_alu instid0(VALU_DEP_4) | instskip(SKIP_1) | instid1(VALU_DEP_3)
	v_lshlrev_b32_e32 v47, 2, v1
	v_subrev_nc_u32_e32 v1, s12, v71
	v_lshlrev_b64 v[23:24], 3, v[23:24]
	s_delay_alu instid0(VALU_DEP_3) | instskip(NEXT) | instid1(VALU_DEP_3)
	v_ashrrev_i32_e32 v48, 31, v47
	v_lshlrev_b32_e32 v17, 2, v1
	s_waitcnt vmcnt(0)
	v_subrev_nc_u32_e32 v1, s12, v91
	s_delay_alu instid0(VALU_DEP_3)
	v_lshlrev_b64 v[47:48], 3, v[47:48]
	s_waitcnt lgkmcnt(0)
	v_add_co_u32 v39, vcc_lo, s4, v23
	v_add_co_ci_u32_e32 v40, vcc_lo, s5, v24, vcc_lo
	v_add_co_u32 v67, vcc_lo, v4, 0x2000
	global_load_b128 v[23:26], v[4:5], off offset:16
	global_load_b128 v[27:30], v[39:40], off
	s_clause 0x1
	global_load_b128 v[31:34], v[4:5], off offset:32
	global_load_b128 v[35:38], v[4:5], off offset:48
	global_load_b128 v[39:42], v[39:40], off offset:16
	v_add_co_ci_u32_e32 v68, vcc_lo, 0, v5, vcc_lo
	v_add_co_u32 v59, vcc_lo, 0x1000, v4
	v_add_co_ci_u32_e32 v60, vcc_lo, 0, v5, vcc_lo
	global_load_b128 v[43:46], v[67:68], off offset:-4096
	v_add_co_u32 v63, vcc_lo, s4, v47
	v_add_co_ci_u32_e32 v64, vcc_lo, s5, v48, vcc_lo
	global_load_b128 v[47:50], v[59:60], off offset:16
	global_load_b128 v[51:54], v[63:64], off
	s_clause 0x1
	global_load_b128 v[55:58], v[59:60], off offset:32
	global_load_b128 v[59:62], v[59:60], off offset:48
	;; [unrolled: 1-line block ×3, first 2 shown]
	global_load_b128 v[67:70], v[67:68], off
	v_ashrrev_i32_e32 v18, 31, v17
	v_add_co_u32 v75, vcc_lo, 0x2000, v4
	v_add_co_ci_u32_e32 v76, vcc_lo, 0, v5, vcc_lo
	s_delay_alu instid0(VALU_DEP_3) | instskip(NEXT) | instid1(VALU_DEP_1)
	v_lshlrev_b64 v[17:18], 3, v[17:18]
	v_add_co_u32 v85, vcc_lo, s4, v17
	s_delay_alu instid0(VALU_DEP_2)
	v_add_co_ci_u32_e32 v86, vcc_lo, s5, v18, vcc_lo
	global_load_b128 v[17:20], v[75:76], off offset:16
	global_load_b128 v[71:74], v[85:86], off
	s_waitcnt vmcnt(13)
	v_cvt_f64_f32_e32 v[87:88], v23
	v_cvt_f64_f32_e32 v[23:24], v24
	;; [unrolled: 1-line block ×4, first 2 shown]
	s_waitcnt vmcnt(12)
	v_fma_f64 v[77:78], v[77:78], v[27:28], v[13:14]
	v_fma_f64 v[15:16], v[79:80], v[27:28], v[15:16]
	;; [unrolled: 1-line block ×4, first 2 shown]
	global_load_b128 v[11:14], v[75:76], off offset:32
	s_waitcnt vmcnt(12)
	v_cvt_f64_f32_e32 v[81:82], v31
	v_cvt_f64_f32_e32 v[31:32], v32
	;; [unrolled: 1-line block ×4, first 2 shown]
	v_fma_f64 v[77:78], v[87:88], v[29:30], v[77:78]
	v_fma_f64 v[15:16], v[23:24], v[29:30], v[15:16]
	;; [unrolled: 1-line block ×4, first 2 shown]
	global_load_b128 v[23:26], v[75:76], off offset:48
	global_load_b128 v[27:30], v[85:86], off offset:16
	s_waitcnt vmcnt(13)
	v_cvt_f64_f32_e32 v[75:76], v35
	v_cvt_f64_f32_e32 v[35:36], v36
	;; [unrolled: 1-line block ×4, first 2 shown]
	s_waitcnt vmcnt(11)
	v_cvt_f64_f32_e32 v[87:88], v45
	v_cvt_f64_f32_e32 v[45:46], v46
	s_waitcnt vmcnt(10)
	v_cvt_f64_f32_e32 v[89:90], v49
	v_cvt_f64_f32_e32 v[49:50], v50
	v_fma_f64 v[77:78], v[81:82], v[39:40], v[77:78]
	v_fma_f64 v[15:16], v[31:32], v[39:40], v[15:16]
	;; [unrolled: 1-line block ×4, first 2 shown]
	v_add_co_u32 v81, vcc_lo, 0x3000, v4
	v_add_co_ci_u32_e32 v82, vcc_lo, 0, v5, vcc_lo
	v_cvt_f64_f32_e32 v[83:84], v43
	v_cvt_f64_f32_e32 v[43:44], v44
	v_lshlrev_b32_e32 v39, 2, v1
	global_load_b128 v[31:34], v[81:82], off
	v_add_co_u32 v4, s2, 0x4000, v4
	s_delay_alu instid0(VALU_DEP_1)
	v_add_co_ci_u32_e64 v5, s2, 0, v5, s2
	v_ashrrev_i32_e32 v40, 31, v39
	v_fma_f64 v[75:76], v[75:76], v[41:42], v[77:78]
	v_fma_f64 v[15:16], v[35:36], v[41:42], v[15:16]
	;; [unrolled: 1-line block ×4, first 2 shown]
	v_lshlrev_b64 v[35:36], 3, v[39:40]
	v_cvt_f64_f32_e32 v[85:86], v47
	v_cvt_f64_f32_e32 v[47:48], v48
	s_delay_alu instid0(VALU_DEP_3) | instskip(NEXT) | instid1(VALU_DEP_4)
	v_add_co_u32 v79, vcc_lo, s4, v35
	v_add_co_ci_u32_e32 v80, vcc_lo, s5, v36, vcc_lo
	global_load_b128 v[35:38], v[81:82], off offset:16
	global_load_b128 v[39:42], v[79:80], off
	v_cmp_ge_i32_e32 vcc_lo, v0, v22
	s_or_b32 s7, vcc_lo, s7
	s_waitcnt vmcnt(12)
	v_fma_f64 v[75:76], v[83:84], v[51:52], v[75:76]
	v_fma_f64 v[15:16], v[43:44], v[51:52], v[15:16]
	;; [unrolled: 1-line block ×4, first 2 shown]
	global_load_b128 v[43:46], v[81:82], off offset:32
	s_waitcnt vmcnt(12)
	v_cvt_f64_f32_e32 v[83:84], v55
	v_cvt_f64_f32_e32 v[55:56], v56
	;; [unrolled: 1-line block ×4, first 2 shown]
	v_fma_f64 v[75:76], v[85:86], v[53:54], v[75:76]
	v_fma_f64 v[15:16], v[47:48], v[53:54], v[15:16]
	v_fma_f64 v[77:78], v[89:90], v[53:54], v[77:78]
	v_fma_f64 v[6:7], v[49:50], v[53:54], v[6:7]
	global_load_b128 v[47:50], v[81:82], off offset:48
	global_load_b128 v[51:54], v[79:80], off offset:16
	s_waitcnt vmcnt(13)
	v_cvt_f64_f32_e32 v[79:80], v59
	v_cvt_f64_f32_e32 v[59:60], v60
	v_cvt_f64_f32_e32 v[81:82], v61
	v_cvt_f64_f32_e32 v[61:62], v62
	s_waitcnt vmcnt(12)
	v_fma_f64 v[75:76], v[83:84], v[63:64], v[75:76]
	v_fma_f64 v[15:16], v[55:56], v[63:64], v[15:16]
	v_fma_f64 v[55:56], v[87:88], v[63:64], v[77:78]
	v_fma_f64 v[6:7], v[57:58], v[63:64], v[6:7]
	s_waitcnt vmcnt(11)
	v_cvt_f64_f32_e32 v[57:58], v67
	v_cvt_f64_f32_e32 v[63:64], v68
	v_cvt_f64_f32_e32 v[67:68], v69
	v_cvt_f64_f32_e32 v[69:70], v70
	v_fma_f64 v[75:76], v[79:80], v[65:66], v[75:76]
	v_fma_f64 v[15:16], v[59:60], v[65:66], v[15:16]
	v_fma_f64 v[55:56], v[81:82], v[65:66], v[55:56]
	v_fma_f64 v[6:7], v[61:62], v[65:66], v[6:7]
	s_waitcnt vmcnt(10)
	v_cvt_f64_f32_e32 v[59:60], v17
	v_cvt_f64_f32_e32 v[17:18], v18
	v_cvt_f64_f32_e32 v[61:62], v19
	v_cvt_f64_f32_e32 v[19:20], v20
	s_waitcnt vmcnt(9)
	v_fma_f64 v[57:58], v[57:58], v[71:72], v[75:76]
	v_fma_f64 v[15:16], v[63:64], v[71:72], v[15:16]
	v_fma_f64 v[55:56], v[67:68], v[71:72], v[55:56]
	v_fma_f64 v[6:7], v[69:70], v[71:72], v[6:7]
	s_waitcnt vmcnt(8)
	v_cvt_f64_f32_e32 v[63:64], v11
	v_cvt_f64_f32_e32 v[11:12], v12
	v_cvt_f64_f32_e32 v[65:66], v13
	v_cvt_f64_f32_e32 v[13:14], v14
	v_fma_f64 v[57:58], v[59:60], v[73:74], v[57:58]
	v_fma_f64 v[15:16], v[17:18], v[73:74], v[15:16]
	v_fma_f64 v[17:18], v[61:62], v[73:74], v[55:56]
	v_fma_f64 v[6:7], v[19:20], v[73:74], v[6:7]
	;; [unrolled: 19-line block ×4, first 2 shown]
	s_waitcnt vmcnt(1)
	v_cvt_f64_f32_e32 v[23:24], v47
	v_cvt_f64_f32_e32 v[25:26], v48
	;; [unrolled: 1-line block ×4, first 2 shown]
	s_waitcnt vmcnt(0)
	v_fma_f64 v[13:14], v[17:18], v[51:52], v[13:14]
	v_fma_f64 v[11:12], v[19:20], v[51:52], v[11:12]
	;; [unrolled: 1-line block ×4, first 2 shown]
	s_delay_alu instid0(VALU_DEP_4) | instskip(NEXT) | instid1(VALU_DEP_4)
	v_fma_f64 v[13:14], v[23:24], v[53:54], v[13:14]
	v_fma_f64 v[15:16], v[25:26], v[53:54], v[11:12]
	s_delay_alu instid0(VALU_DEP_4) | instskip(NEXT) | instid1(VALU_DEP_4)
	v_fma_f64 v[11:12], v[29:30], v[53:54], v[17:18]
	v_fma_f64 v[6:7], v[33:34], v[53:54], v[6:7]
	s_and_not1_b32 exec_lo, exec_lo, s7
	s_cbranch_execnz .LBB154_33
; %bb.34:
	s_or_b32 exec_lo, exec_lo, s7
.LBB154_35:
	s_delay_alu instid0(SALU_CYCLE_1)
	s_or_b32 exec_lo, exec_lo, s6
.LBB154_36:
	s_delay_alu instid0(SALU_CYCLE_1)
	s_or_b32 exec_lo, exec_lo, s3
.LBB154_37:
	v_mbcnt_lo_u32_b32 v24, -1, 0
	s_delay_alu instid0(VALU_DEP_1) | instskip(NEXT) | instid1(VALU_DEP_1)
	v_or_b32_e32 v0, 32, v24
	v_cmp_gt_i32_e32 vcc_lo, 32, v0
	v_cndmask_b32_e32 v0, v24, v0, vcc_lo
	s_delay_alu instid0(VALU_DEP_1)
	v_lshlrev_b32_e32 v20, 2, v0
	ds_bpermute_b32 v0, v20, v13
	ds_bpermute_b32 v1, v20, v14
	s_waitcnt lgkmcnt(0)
	v_add_f64 v[0:1], v[13:14], v[0:1]
	v_xor_b32_e32 v13, 16, v24
	s_delay_alu instid0(VALU_DEP_1)
	v_cmp_gt_i32_e32 vcc_lo, 32, v13
	v_cndmask_b32_e32 v13, v24, v13, vcc_lo
	ds_bpermute_b32 v4, v20, v15
	ds_bpermute_b32 v5, v20, v16
	;; [unrolled: 1-line block ×6, first 2 shown]
	s_waitcnt lgkmcnt(4)
	v_add_f64 v[4:5], v[15:16], v[4:5]
	s_waitcnt lgkmcnt(2)
	v_add_f64 v[11:12], v[11:12], v[17:18]
	;; [unrolled: 2-line block ×3, first 2 shown]
	v_lshlrev_b32_e32 v20, 2, v13
	ds_bpermute_b32 v13, v20, v0
	ds_bpermute_b32 v14, v20, v1
	s_waitcnt lgkmcnt(0)
	v_add_f64 v[0:1], v[0:1], v[13:14]
	v_xor_b32_e32 v13, 8, v24
	s_delay_alu instid0(VALU_DEP_1)
	v_cmp_gt_i32_e32 vcc_lo, 32, v13
	ds_bpermute_b32 v15, v20, v4
	ds_bpermute_b32 v16, v20, v5
	;; [unrolled: 1-line block ×6, first 2 shown]
	v_cndmask_b32_e32 v13, v24, v13, vcc_lo
	s_waitcnt lgkmcnt(4)
	v_add_f64 v[4:5], v[4:5], v[15:16]
	s_waitcnt lgkmcnt(2)
	v_add_f64 v[11:12], v[11:12], v[17:18]
	;; [unrolled: 2-line block ×3, first 2 shown]
	v_lshlrev_b32_e32 v20, 2, v13
	ds_bpermute_b32 v13, v20, v0
	ds_bpermute_b32 v14, v20, v1
	s_waitcnt lgkmcnt(0)
	v_add_f64 v[0:1], v[0:1], v[13:14]
	v_xor_b32_e32 v13, 4, v24
	s_delay_alu instid0(VALU_DEP_1)
	v_cmp_gt_i32_e32 vcc_lo, 32, v13
	ds_bpermute_b32 v15, v20, v4
	ds_bpermute_b32 v16, v20, v5
	;; [unrolled: 1-line block ×6, first 2 shown]
	v_cndmask_b32_e32 v13, v24, v13, vcc_lo
	s_waitcnt lgkmcnt(4)
	v_add_f64 v[4:5], v[4:5], v[15:16]
	s_waitcnt lgkmcnt(2)
	v_add_f64 v[11:12], v[11:12], v[17:18]
	;; [unrolled: 2-line block ×3, first 2 shown]
	v_lshlrev_b32_e32 v20, 2, v13
	ds_bpermute_b32 v13, v20, v0
	ds_bpermute_b32 v14, v20, v1
	s_waitcnt lgkmcnt(0)
	v_add_f64 v[0:1], v[0:1], v[13:14]
	ds_bpermute_b32 v15, v20, v4
	ds_bpermute_b32 v16, v20, v5
	;; [unrolled: 1-line block ×6, first 2 shown]
	s_waitcnt lgkmcnt(4)
	v_add_f64 v[4:5], v[4:5], v[15:16]
	s_waitcnt lgkmcnt(2)
	v_add_f64 v[13:14], v[11:12], v[17:18]
	;; [unrolled: 2-line block ×3, first 2 shown]
	v_xor_b32_e32 v6, 2, v24
	s_delay_alu instid0(VALU_DEP_1) | instskip(SKIP_1) | instid1(VALU_DEP_1)
	v_cmp_gt_i32_e32 vcc_lo, 32, v6
	v_cndmask_b32_e32 v6, v24, v6, vcc_lo
	v_lshlrev_b32_e32 v11, 2, v6
	ds_bpermute_b32 v6, v11, v0
	ds_bpermute_b32 v7, v11, v1
	;; [unrolled: 1-line block ×8, first 2 shown]
	s_waitcnt lgkmcnt(6)
	v_add_f64 v[11:12], v[0:1], v[6:7]
	s_waitcnt lgkmcnt(4)
	v_add_f64 v[6:7], v[4:5], v[17:18]
	;; [unrolled: 2-line block ×3, first 2 shown]
	v_xor_b32_e32 v13, 1, v24
	s_waitcnt lgkmcnt(0)
	v_add_f64 v[4:5], v[15:16], v[22:23]
	s_delay_alu instid0(VALU_DEP_2) | instskip(SKIP_2) | instid1(VALU_DEP_2)
	v_cmp_gt_i32_e32 vcc_lo, 32, v13
	v_cndmask_b32_e32 v13, v24, v13, vcc_lo
	v_cmp_eq_u32_e32 vcc_lo, 63, v21
	v_lshlrev_b32_e32 v14, 2, v13
	ds_bpermute_b32 v19, v14, v11
	ds_bpermute_b32 v20, v14, v12
	;; [unrolled: 1-line block ×8, first 2 shown]
	s_and_b32 exec_lo, exec_lo, vcc_lo
	s_cbranch_execz .LBB154_10
; %bb.38:
	s_waitcnt lgkmcnt(6)
	v_add_f64 v[11:12], v[11:12], v[19:20]
	s_waitcnt lgkmcnt(4)
	v_add_f64 v[6:7], v[6:7], v[17:18]
	;; [unrolled: 2-line block ×4, first 2 shown]
	s_load_b64 s[0:1], s[0:1], 0x50
	v_lshlrev_b32_e32 v10, 2, v10
	s_mov_b32 s2, exec_lo
	v_mul_f64 v[4:5], v[2:3], v[11:12]
	v_mul_f64 v[6:7], v[2:3], v[6:7]
	;; [unrolled: 1-line block ×4, first 2 shown]
	v_cmpx_eq_f64_e32 0, v[8:9]
	s_xor_b32 s2, exec_lo, s2
	s_cbranch_execz .LBB154_40
; %bb.39:
	v_ashrrev_i32_e32 v11, 31, v10
	s_delay_alu instid0(VALU_DEP_1) | instskip(SKIP_1) | instid1(VALU_DEP_1)
	v_lshlrev_b64 v[8:9], 3, v[10:11]
                                        ; implicit-def: $vgpr10
	s_waitcnt lgkmcnt(0)
	v_add_co_u32 v8, vcc_lo, s0, v8
	s_delay_alu instid0(VALU_DEP_2)
	v_add_co_ci_u32_e32 v9, vcc_lo, s1, v9, vcc_lo
	s_clause 0x1
	global_store_b128 v[8:9], v[4:7], off
	global_store_b128 v[8:9], v[0:3], off offset:16
                                        ; implicit-def: $vgpr8_vgpr9
                                        ; implicit-def: $vgpr4_vgpr5
                                        ; implicit-def: $vgpr0_vgpr1
.LBB154_40:
	s_and_not1_saveexec_b32 s2, s2
	s_cbranch_execz .LBB154_10
; %bb.41:
	v_ashrrev_i32_e32 v11, 31, v10
	s_delay_alu instid0(VALU_DEP_1) | instskip(SKIP_1) | instid1(VALU_DEP_1)
	v_lshlrev_b64 v[10:11], 3, v[10:11]
	s_waitcnt lgkmcnt(0)
	v_add_co_u32 v18, vcc_lo, s0, v10
	s_delay_alu instid0(VALU_DEP_2)
	v_add_co_ci_u32_e32 v19, vcc_lo, s1, v11, vcc_lo
	s_clause 0x1
	global_load_b128 v[10:13], v[18:19], off
	global_load_b128 v[14:17], v[18:19], off offset:16
	s_waitcnt vmcnt(1)
	v_fma_f64 v[4:5], v[8:9], v[10:11], v[4:5]
	v_fma_f64 v[6:7], v[8:9], v[12:13], v[6:7]
	s_waitcnt vmcnt(0)
	v_fma_f64 v[0:1], v[8:9], v[14:15], v[0:1]
	v_fma_f64 v[2:3], v[8:9], v[16:17], v[2:3]
	s_clause 0x1
	global_store_b128 v[18:19], v[4:7], off
	global_store_b128 v[18:19], v[0:3], off offset:16
	s_nop 0
	s_sendmsg sendmsg(MSG_DEALLOC_VGPRS)
	s_endpgm
	.section	.rodata,"a",@progbits
	.p2align	6, 0x0
	.amdhsa_kernel _ZN9rocsparseL18bsrxmvn_4x4_kernelILj128ELj64EdiifddEEvT3_20rocsparse_direction_NS_24const_host_device_scalarIT1_EES1_PKS1_PKT2_SA_S7_PKT4_PKT5_S5_PT6_21rocsparse_index_base_b
		.amdhsa_group_segment_fixed_size 0
		.amdhsa_private_segment_fixed_size 0
		.amdhsa_kernarg_size 96
		.amdhsa_user_sgpr_count 15
		.amdhsa_user_sgpr_dispatch_ptr 0
		.amdhsa_user_sgpr_queue_ptr 0
		.amdhsa_user_sgpr_kernarg_segment_ptr 1
		.amdhsa_user_sgpr_dispatch_id 0
		.amdhsa_user_sgpr_private_segment_size 0
		.amdhsa_wavefront_size32 1
		.amdhsa_uses_dynamic_stack 0
		.amdhsa_enable_private_segment 0
		.amdhsa_system_sgpr_workgroup_id_x 1
		.amdhsa_system_sgpr_workgroup_id_y 0
		.amdhsa_system_sgpr_workgroup_id_z 0
		.amdhsa_system_sgpr_workgroup_info 0
		.amdhsa_system_vgpr_workitem_id 0
		.amdhsa_next_free_vgpr 105
		.amdhsa_next_free_sgpr 16
		.amdhsa_reserve_vcc 1
		.amdhsa_float_round_mode_32 0
		.amdhsa_float_round_mode_16_64 0
		.amdhsa_float_denorm_mode_32 3
		.amdhsa_float_denorm_mode_16_64 3
		.amdhsa_dx10_clamp 1
		.amdhsa_ieee_mode 1
		.amdhsa_fp16_overflow 0
		.amdhsa_workgroup_processor_mode 1
		.amdhsa_memory_ordered 1
		.amdhsa_forward_progress 0
		.amdhsa_shared_vgpr_count 0
		.amdhsa_exception_fp_ieee_invalid_op 0
		.amdhsa_exception_fp_denorm_src 0
		.amdhsa_exception_fp_ieee_div_zero 0
		.amdhsa_exception_fp_ieee_overflow 0
		.amdhsa_exception_fp_ieee_underflow 0
		.amdhsa_exception_fp_ieee_inexact 0
		.amdhsa_exception_int_div_zero 0
	.end_amdhsa_kernel
	.section	.text._ZN9rocsparseL18bsrxmvn_4x4_kernelILj128ELj64EdiifddEEvT3_20rocsparse_direction_NS_24const_host_device_scalarIT1_EES1_PKS1_PKT2_SA_S7_PKT4_PKT5_S5_PT6_21rocsparse_index_base_b,"axG",@progbits,_ZN9rocsparseL18bsrxmvn_4x4_kernelILj128ELj64EdiifddEEvT3_20rocsparse_direction_NS_24const_host_device_scalarIT1_EES1_PKS1_PKT2_SA_S7_PKT4_PKT5_S5_PT6_21rocsparse_index_base_b,comdat
.Lfunc_end154:
	.size	_ZN9rocsparseL18bsrxmvn_4x4_kernelILj128ELj64EdiifddEEvT3_20rocsparse_direction_NS_24const_host_device_scalarIT1_EES1_PKS1_PKT2_SA_S7_PKT4_PKT5_S5_PT6_21rocsparse_index_base_b, .Lfunc_end154-_ZN9rocsparseL18bsrxmvn_4x4_kernelILj128ELj64EdiifddEEvT3_20rocsparse_direction_NS_24const_host_device_scalarIT1_EES1_PKS1_PKT2_SA_S7_PKT4_PKT5_S5_PT6_21rocsparse_index_base_b
                                        ; -- End function
	.section	.AMDGPU.csdata,"",@progbits
; Kernel info:
; codeLenInByte = 5804
; NumSgprs: 18
; NumVgprs: 105
; ScratchSize: 0
; MemoryBound: 0
; FloatMode: 240
; IeeeMode: 1
; LDSByteSize: 0 bytes/workgroup (compile time only)
; SGPRBlocks: 2
; VGPRBlocks: 13
; NumSGPRsForWavesPerEU: 18
; NumVGPRsForWavesPerEU: 105
; Occupancy: 12
; WaveLimiterHint : 1
; COMPUTE_PGM_RSRC2:SCRATCH_EN: 0
; COMPUTE_PGM_RSRC2:USER_SGPR: 15
; COMPUTE_PGM_RSRC2:TRAP_HANDLER: 0
; COMPUTE_PGM_RSRC2:TGID_X_EN: 1
; COMPUTE_PGM_RSRC2:TGID_Y_EN: 0
; COMPUTE_PGM_RSRC2:TGID_Z_EN: 0
; COMPUTE_PGM_RSRC2:TIDIG_COMP_CNT: 0
	.section	.text._ZN9rocsparseL18bsrxmvn_4x4_kernelILj128ELj4EdlifddEEvT3_20rocsparse_direction_NS_24const_host_device_scalarIT1_EES1_PKS1_PKT2_SA_S7_PKT4_PKT5_S5_PT6_21rocsparse_index_base_b,"axG",@progbits,_ZN9rocsparseL18bsrxmvn_4x4_kernelILj128ELj4EdlifddEEvT3_20rocsparse_direction_NS_24const_host_device_scalarIT1_EES1_PKS1_PKT2_SA_S7_PKT4_PKT5_S5_PT6_21rocsparse_index_base_b,comdat
	.globl	_ZN9rocsparseL18bsrxmvn_4x4_kernelILj128ELj4EdlifddEEvT3_20rocsparse_direction_NS_24const_host_device_scalarIT1_EES1_PKS1_PKT2_SA_S7_PKT4_PKT5_S5_PT6_21rocsparse_index_base_b ; -- Begin function _ZN9rocsparseL18bsrxmvn_4x4_kernelILj128ELj4EdlifddEEvT3_20rocsparse_direction_NS_24const_host_device_scalarIT1_EES1_PKS1_PKT2_SA_S7_PKT4_PKT5_S5_PT6_21rocsparse_index_base_b
	.p2align	8
	.type	_ZN9rocsparseL18bsrxmvn_4x4_kernelILj128ELj4EdlifddEEvT3_20rocsparse_direction_NS_24const_host_device_scalarIT1_EES1_PKS1_PKT2_SA_S7_PKT4_PKT5_S5_PT6_21rocsparse_index_base_b,@function
_ZN9rocsparseL18bsrxmvn_4x4_kernelILj128ELj4EdlifddEEvT3_20rocsparse_direction_NS_24const_host_device_scalarIT1_EES1_PKS1_PKT2_SA_S7_PKT4_PKT5_S5_PT6_21rocsparse_index_base_b: ; @_ZN9rocsparseL18bsrxmvn_4x4_kernelILj128ELj4EdlifddEEvT3_20rocsparse_direction_NS_24const_host_device_scalarIT1_EES1_PKS1_PKT2_SA_S7_PKT4_PKT5_S5_PT6_21rocsparse_index_base_b
; %bb.0:
	s_clause 0x2
	s_load_b64 s[12:13], s[0:1], 0x58
	s_load_b64 s[4:5], s[0:1], 0x8
	;; [unrolled: 1-line block ×3, first 2 shown]
	s_waitcnt lgkmcnt(0)
	s_bitcmp1_b32 s13, 0
	v_dual_mov_b32 v2, s4 :: v_dual_mov_b32 v3, s5
	s_cselect_b32 s6, -1, 0
	s_delay_alu instid0(SALU_CYCLE_1)
	s_and_b32 vcc_lo, exec_lo, s6
	s_xor_b32 s6, s6, -1
	s_cbranch_vccnz .LBB155_2
; %bb.1:
	v_dual_mov_b32 v1, s4 :: v_dual_mov_b32 v2, s5
	flat_load_b64 v[2:3], v[1:2]
.LBB155_2:
	v_dual_mov_b32 v9, s3 :: v_dual_mov_b32 v8, s2
	s_and_not1_b32 vcc_lo, exec_lo, s6
	s_cbranch_vccnz .LBB155_4
; %bb.3:
	v_dual_mov_b32 v5, s3 :: v_dual_mov_b32 v4, s2
	flat_load_b64 v[8:9], v[4:5]
.LBB155_4:
	s_waitcnt vmcnt(0) lgkmcnt(0)
	v_cmp_neq_f64_e32 vcc_lo, 0, v[2:3]
	v_cmp_neq_f64_e64 s2, 1.0, v[8:9]
	s_delay_alu instid0(VALU_DEP_1) | instskip(NEXT) | instid1(SALU_CYCLE_1)
	s_or_b32 s2, vcc_lo, s2
	s_and_saveexec_b32 s3, s2
	s_cbranch_execz .LBB155_10
; %bb.5:
	s_clause 0x1
	s_load_b64 s[4:5], s[0:1], 0x18
	s_load_b64 s[2:3], s[0:1], 0x0
	v_lshrrev_b32_e32 v1, 2, v0
	s_delay_alu instid0(VALU_DEP_1)
	v_lshl_or_b32 v10, s15, 5, v1
	s_waitcnt lgkmcnt(0)
	s_cmp_lg_u64 s[4:5], 0
	s_cbranch_scc0 .LBB155_11
; %bb.6:
	s_load_b32 s6, s[0:1], 0x10
	s_mov_b32 s7, 0
                                        ; implicit-def: $vgpr1
	s_waitcnt lgkmcnt(0)
	v_cmp_gt_i32_e32 vcc_lo, s6, v10
	s_mov_b32 s6, 0
	s_and_saveexec_b32 s8, vcc_lo
	s_delay_alu instid0(SALU_CYCLE_1)
	s_xor_b32 s8, exec_lo, s8
	s_cbranch_execz .LBB155_8
; %bb.7:
	v_ashrrev_i32_e32 v11, 31, v10
	s_mov_b32 s6, exec_lo
	s_delay_alu instid0(VALU_DEP_1) | instskip(NEXT) | instid1(VALU_DEP_1)
	v_lshlrev_b64 v[4:5], 2, v[10:11]
	v_add_co_u32 v4, vcc_lo, s4, v4
	s_delay_alu instid0(VALU_DEP_2)
	v_add_co_ci_u32_e32 v5, vcc_lo, s5, v5, vcc_lo
	global_load_b32 v1, v[4:5], off
	s_waitcnt vmcnt(0)
	v_subrev_nc_u32_e32 v1, s12, v1
.LBB155_8:
	s_or_b32 exec_lo, exec_lo, s8
	s_delay_alu instid0(SALU_CYCLE_1)
	s_and_b32 vcc_lo, exec_lo, s7
	s_cbranch_vccz .LBB155_12
.LBB155_9:
	v_cmp_gt_i32_e32 vcc_lo, s2, v10
	s_and_not1_b32 s2, s6, exec_lo
	s_and_b32 s4, vcc_lo, exec_lo
	s_delay_alu instid0(SALU_CYCLE_1) | instskip(NEXT) | instid1(SALU_CYCLE_1)
	s_or_b32 s6, s2, s4
	s_and_b32 exec_lo, exec_lo, s6
	s_cbranch_execnz .LBB155_13
.LBB155_10:
	s_nop 0
	s_sendmsg sendmsg(MSG_DEALLOC_VGPRS)
	s_endpgm
.LBB155_11:
	s_mov_b32 s6, 0
                                        ; implicit-def: $vgpr1
	s_cbranch_execnz .LBB155_9
.LBB155_12:
	s_delay_alu instid0(VALU_DEP_1)
	v_mov_b32_e32 v10, v1
	s_and_b32 exec_lo, exec_lo, s6
	s_cbranch_execz .LBB155_10
.LBB155_13:
	s_load_b256 s[4:11], s[0:1], 0x20
	s_delay_alu instid0(VALU_DEP_1) | instskip(SKIP_1) | instid1(VALU_DEP_2)
	v_ashrrev_i32_e32 v11, 31, v10
	v_and_b32_e32 v31, 3, v0
	v_lshlrev_b64 v[4:5], 3, v[10:11]
	s_waitcnt lgkmcnt(0)
	s_delay_alu instid0(VALU_DEP_1) | instskip(NEXT) | instid1(VALU_DEP_2)
	v_add_co_u32 v6, vcc_lo, s4, v4
	v_add_co_ci_u32_e32 v7, vcc_lo, s5, v5, vcc_lo
	v_add_co_u32 v1, vcc_lo, s6, v4
	v_add_co_ci_u32_e32 v4, vcc_lo, s7, v5, vcc_lo
	s_delay_alu instid0(VALU_DEP_4)
	v_add_co_u32 v11, vcc_lo, v6, 8
	global_load_b64 v[19:20], v[6:7], off
	v_add_co_ci_u32_e32 v5, vcc_lo, 0, v7, vcc_lo
	s_cmp_eq_u64 s[6:7], 0
	s_load_b64 s[4:5], s[0:1], 0x40
	s_cselect_b32 vcc_lo, -1, 0
	s_cmp_eq_u32 s3, 1
	v_dual_cndmask_b32 v5, v4, v5 :: v_dual_cndmask_b32 v4, v1, v11
	global_load_b64 v[4:5], v[4:5], off
	s_waitcnt vmcnt(1)
	v_sub_co_u32 v0, vcc_lo, v19, s12
	v_subrev_co_ci_u32_e32 v1, vcc_lo, 0, v20, vcc_lo
	s_delay_alu instid0(VALU_DEP_2) | instskip(NEXT) | instid1(VALU_DEP_2)
	v_add_co_u32 v0, vcc_lo, v0, v31
	v_add_co_ci_u32_e32 v1, vcc_lo, 0, v1, vcc_lo
	s_delay_alu instid0(VALU_DEP_1) | instskip(SKIP_3) | instid1(VALU_DEP_3)
	v_lshlrev_b64 v[6:7], 6, v[0:1]
	s_waitcnt vmcnt(0)
	v_sub_co_u32 v4, vcc_lo, v4, s12
	v_subrev_co_ci_u32_e32 v5, vcc_lo, 0, v5, vcc_lo
	v_add_co_u32 v6, vcc_lo, s10, v6
	s_delay_alu instid0(VALU_DEP_2)
	v_cmp_lt_i64_e64 s2, v[0:1], v[4:5]
	v_add_co_ci_u32_e32 v7, vcc_lo, s11, v7, vcc_lo
	s_cbranch_scc1 .LBB155_25
; %bb.14:
	v_mov_b32_e32 v11, 0
	v_mov_b32_e32 v12, 0
	s_delay_alu instid0(VALU_DEP_1)
	v_dual_mov_b32 v16, v12 :: v_dual_mov_b32 v15, v11
	v_dual_mov_b32 v18, v12 :: v_dual_mov_b32 v17, v11
	v_dual_mov_b32 v14, v12 :: v_dual_mov_b32 v13, v11
	s_and_saveexec_b32 s6, s2
	s_cbranch_execz .LBB155_24
; %bb.15:
	v_or_b32_e32 v11, 4, v31
	v_not_b32_e32 v14, v19
	v_not_b32_e32 v13, v20
	s_mov_b32 s10, 0
	s_mov_b32 s7, exec_lo
	v_sub_co_u32 v11, s3, v11, s12
	s_delay_alu instid0(VALU_DEP_1) | instskip(SKIP_1) | instid1(VALU_DEP_3)
	v_sub_co_ci_u32_e64 v12, null, 0, 0, s3
	v_sub_co_u32 v15, s3, s12, v31
	v_add_co_u32 v11, vcc_lo, v11, v19
	s_delay_alu instid0(VALU_DEP_3) | instskip(SKIP_2) | instid1(VALU_DEP_3)
	v_add_co_ci_u32_e32 v12, vcc_lo, v12, v20, vcc_lo
	v_sub_co_ci_u32_e64 v16, null, 0, 0, s3
	v_mov_b32_e32 v22, v1
	v_cmp_gt_i64_e32 vcc_lo, v[11:12], v[4:5]
	v_dual_mov_b32 v24, v7 :: v_dual_mov_b32 v23, v6
	v_dual_cndmask_b32 v12, v5, v12 :: v_dual_cndmask_b32 v11, v4, v11
	v_add_co_u32 v14, vcc_lo, v15, v14
	v_add_co_ci_u32_e32 v13, vcc_lo, v16, v13, vcc_lo
	s_delay_alu instid0(VALU_DEP_2) | instskip(NEXT) | instid1(VALU_DEP_2)
	v_add_co_u32 v25, vcc_lo, v14, v11
	v_add_co_ci_u32_e32 v26, vcc_lo, v13, v12, vcc_lo
	v_mov_b32_e32 v13, 0
	s_delay_alu instid0(VALU_DEP_3) | instskip(SKIP_1) | instid1(VALU_DEP_1)
	v_lshrrev_b32_e32 v11, 2, v25
	v_dual_mov_b32 v14, 0 :: v_dual_mov_b32 v21, v0
	v_dual_mov_b32 v16, v14 :: v_dual_add_nc_u32 v11, 1, v11
	s_delay_alu instid0(VALU_DEP_4) | instskip(SKIP_1) | instid1(VALU_DEP_3)
	v_dual_mov_b32 v18, v14 :: v_dual_mov_b32 v15, v13
	v_mov_b32_e32 v17, v13
	v_and_b32_e32 v27, 3, v11
	v_dual_mov_b32 v11, v13 :: v_dual_mov_b32 v12, v14
	s_delay_alu instid0(VALU_DEP_2)
	v_cmpx_ne_u32_e32 0, v27
	s_cbranch_execz .LBB155_19
; %bb.16:
	v_lshlrev_b64 v[13:14], 2, v[0:1]
	v_dual_mov_b32 v28, 0 :: v_dual_mov_b32 v11, 0
	v_dual_mov_b32 v12, 0 :: v_dual_lshlrev_b32 v27, 4, v27
	v_dual_mov_b32 v24, v7 :: v_dual_mov_b32 v23, v6
	s_delay_alu instid0(VALU_DEP_4)
	v_add_co_u32 v29, vcc_lo, s8, v13
	v_add_co_ci_u32_e32 v30, vcc_lo, s9, v14, vcc_lo
	v_dual_mov_b32 v22, v1 :: v_dual_mov_b32 v21, v0
	v_dual_mov_b32 v16, v12 :: v_dual_mov_b32 v15, v11
	;; [unrolled: 1-line block ×4, first 2 shown]
.LBB155_17:                             ; =>This Inner Loop Header: Depth=1
	global_load_b32 v48, v[29:30], off
	s_clause 0x3
	global_load_b128 v[32:35], v[23:24], off
	global_load_b128 v[36:39], v[23:24], off offset:16
	global_load_b128 v[40:43], v[23:24], off offset:32
	;; [unrolled: 1-line block ×3, first 2 shown]
	v_add_co_u32 v29, s3, v29, 16
	s_delay_alu instid0(VALU_DEP_1)
	v_add_co_ci_u32_e64 v30, s3, 0, v30, s3
	s_waitcnt vmcnt(4)
	v_subrev_nc_u32_e32 v48, s12, v48
	s_waitcnt vmcnt(3)
	v_cvt_f64_f32_e32 v[56:57], v32
	s_waitcnt vmcnt(2)
	v_cvt_f64_f32_e32 v[58:59], v36
	s_waitcnt vmcnt(1)
	v_cvt_f64_f32_e32 v[60:61], v40
	s_waitcnt vmcnt(0)
	v_cvt_f64_f32_e32 v[62:63], v44
	v_lshlrev_b32_e32 v48, 2, v48
	v_cvt_f64_f32_e32 v[32:33], v33
	v_cvt_f64_f32_e32 v[36:37], v37
	;; [unrolled: 1-line block ×4, first 2 shown]
	v_ashrrev_i32_e32 v49, 31, v48
	s_delay_alu instid0(VALU_DEP_1) | instskip(SKIP_1) | instid1(VALU_DEP_1)
	v_lshlrev_b64 v[48:49], 3, v[48:49]
	s_waitcnt lgkmcnt(0)
	v_add_co_u32 v52, vcc_lo, s4, v48
	s_delay_alu instid0(VALU_DEP_2)
	v_add_co_ci_u32_e32 v53, vcc_lo, s5, v49, vcc_lo
	v_add_co_u32 v23, vcc_lo, 0x100, v23
	v_add_co_ci_u32_e32 v24, vcc_lo, 0, v24, vcc_lo
	s_clause 0x1
	global_load_b128 v[48:51], v[52:53], off
	global_load_b128 v[52:55], v[52:53], off offset:16
	v_add_co_u32 v27, vcc_lo, v27, -16
	v_add_co_ci_u32_e32 v28, vcc_lo, -1, v28, vcc_lo
	v_add_co_u32 v21, vcc_lo, v21, 4
	v_add_co_ci_u32_e32 v22, vcc_lo, 0, v22, vcc_lo
	s_delay_alu instid0(VALU_DEP_3)
	v_cmp_eq_u64_e32 vcc_lo, 0, v[27:28]
	s_or_b32 s10, vcc_lo, s10
	s_waitcnt vmcnt(1)
	v_fma_f64 v[13:14], v[56:57], v[48:49], v[13:14]
	v_fma_f64 v[17:18], v[58:59], v[48:49], v[17:18]
	;; [unrolled: 1-line block ×4, first 2 shown]
	v_cvt_f64_f32_e32 v[48:49], v34
	v_cvt_f64_f32_e32 v[56:57], v38
	;; [unrolled: 1-line block ×4, first 2 shown]
	v_fma_f64 v[13:14], v[32:33], v[50:51], v[13:14]
	v_fma_f64 v[17:18], v[36:37], v[50:51], v[17:18]
	;; [unrolled: 1-line block ×4, first 2 shown]
	v_cvt_f64_f32_e32 v[32:33], v35
	v_cvt_f64_f32_e32 v[34:35], v39
	;; [unrolled: 1-line block ×4, first 2 shown]
	s_waitcnt vmcnt(0)
	v_fma_f64 v[13:14], v[48:49], v[52:53], v[13:14]
	v_fma_f64 v[17:18], v[56:57], v[52:53], v[17:18]
	;; [unrolled: 1-line block ×4, first 2 shown]
	s_delay_alu instid0(VALU_DEP_4) | instskip(NEXT) | instid1(VALU_DEP_4)
	v_fma_f64 v[13:14], v[32:33], v[54:55], v[13:14]
	v_fma_f64 v[17:18], v[34:35], v[54:55], v[17:18]
	s_delay_alu instid0(VALU_DEP_4) | instskip(NEXT) | instid1(VALU_DEP_4)
	v_fma_f64 v[15:16], v[36:37], v[54:55], v[15:16]
	v_fma_f64 v[11:12], v[38:39], v[54:55], v[11:12]
	s_and_not1_b32 exec_lo, exec_lo, s10
	s_cbranch_execnz .LBB155_17
; %bb.18:
	s_or_b32 exec_lo, exec_lo, s10
.LBB155_19:
	s_delay_alu instid0(SALU_CYCLE_1) | instskip(NEXT) | instid1(SALU_CYCLE_1)
	s_or_b32 exec_lo, exec_lo, s7
	s_mov_b32 s7, exec_lo
	v_cmpx_lt_u64_e32 11, v[25:26]
	s_cbranch_execz .LBB155_23
; %bb.20:
	v_lshlrev_b64 v[25:26], 2, v[21:22]
	s_mov_b32 s10, 0
	s_delay_alu instid0(VALU_DEP_1) | instskip(NEXT) | instid1(VALU_DEP_2)
	v_add_co_u32 v25, vcc_lo, v25, s8
	v_add_co_ci_u32_e32 v26, vcc_lo, s9, v26, vcc_lo
	s_delay_alu instid0(VALU_DEP_2) | instskip(NEXT) | instid1(VALU_DEP_2)
	v_add_co_u32 v25, vcc_lo, v25, 32
	v_add_co_ci_u32_e32 v26, vcc_lo, 0, v26, vcc_lo
.LBB155_21:                             ; =>This Inner Loop Header: Depth=1
	s_clause 0x2
	global_load_b32 v44, v[25:26], off offset:-32
	global_load_b32 v68, v[25:26], off offset:-16
	global_load_b32 v92, v[25:26], off
	s_clause 0x3
	global_load_b128 v[27:30], v[23:24], off
	global_load_b128 v[32:35], v[23:24], off offset:16
	global_load_b128 v[36:39], v[23:24], off offset:32
	;; [unrolled: 1-line block ×3, first 2 shown]
	global_load_b32 v106, v[25:26], off offset:16
	v_add_co_u32 v25, s3, v25, 64
	s_delay_alu instid0(VALU_DEP_1)
	v_add_co_ci_u32_e64 v26, s3, 0, v26, s3
	s_waitcnt vmcnt(7)
	v_subrev_nc_u32_e32 v44, s12, v44
	s_waitcnt vmcnt(6)
	v_subrev_nc_u32_e32 v68, s12, v68
	;; [unrolled: 2-line block ×3, first 2 shown]
	s_waitcnt vmcnt(4)
	v_cvt_f64_f32_e32 v[96:97], v27
	s_waitcnt vmcnt(3)
	v_cvt_f64_f32_e32 v[98:99], v32
	v_lshlrev_b32_e32 v44, 2, v44
	v_lshlrev_b32_e32 v68, 2, v68
	v_lshlrev_b32_e32 v92, 2, v92
	s_waitcnt vmcnt(2)
	v_cvt_f64_f32_e32 v[100:101], v36
	s_waitcnt vmcnt(1)
	v_cvt_f64_f32_e32 v[102:103], v40
	v_ashrrev_i32_e32 v45, 31, v44
	v_ashrrev_i32_e32 v69, 31, v68
	;; [unrolled: 1-line block ×3, first 2 shown]
	v_cvt_f64_f32_e32 v[27:28], v28
	v_cvt_f64_f32_e32 v[32:33], v33
	v_lshlrev_b64 v[44:45], 3, v[44:45]
	v_lshlrev_b64 v[68:69], 3, v[68:69]
	;; [unrolled: 1-line block ×3, first 2 shown]
	v_cvt_f64_f32_e32 v[36:37], v37
	v_cvt_f64_f32_e32 v[40:41], v41
	s_waitcnt vmcnt(0)
	v_subrev_nc_u32_e32 v110, s12, v106
	s_waitcnt lgkmcnt(0)
	v_add_co_u32 v48, vcc_lo, s4, v44
	v_add_co_ci_u32_e32 v49, vcc_lo, s5, v45, vcc_lo
	v_add_co_u32 v72, vcc_lo, s4, v68
	v_add_co_ci_u32_e32 v73, vcc_lo, s5, v69, vcc_lo
	s_clause 0x1
	global_load_b128 v[44:47], v[48:49], off
	global_load_b128 v[48:51], v[48:49], off offset:16
	s_clause 0x3
	global_load_b128 v[52:55], v[23:24], off offset:256
	global_load_b128 v[56:59], v[23:24], off offset:272
	;; [unrolled: 1-line block ×4, first 2 shown]
	v_add_co_u32 v104, vcc_lo, s4, v92
	s_clause 0x1
	global_load_b128 v[68:71], v[72:73], off
	global_load_b128 v[72:75], v[72:73], off offset:16
	s_clause 0x3
	global_load_b128 v[76:79], v[23:24], off offset:512
	global_load_b128 v[80:83], v[23:24], off offset:528
	global_load_b128 v[84:87], v[23:24], off offset:544
	global_load_b128 v[88:91], v[23:24], off offset:560
	v_add_co_ci_u32_e32 v105, vcc_lo, s5, v93, vcc_lo
	v_lshlrev_b32_e32 v110, 2, v110
	global_load_b128 v[92:95], v[104:105], off
	v_ashrrev_i32_e32 v111, 31, v110
	s_waitcnt vmcnt(12)
	v_fma_f64 v[13:14], v[96:97], v[44:45], v[13:14]
	v_fma_f64 v[17:18], v[98:99], v[44:45], v[17:18]
	;; [unrolled: 1-line block ×4, first 2 shown]
	v_cvt_f64_f32_e32 v[44:45], v29
	v_cvt_f64_f32_e32 v[96:97], v34
	;; [unrolled: 1-line block ×6, first 2 shown]
	s_waitcnt vmcnt(8)
	v_cvt_f64_f32_e32 v[106:107], v60
	s_waitcnt vmcnt(7)
	v_cvt_f64_f32_e32 v[108:109], v64
	v_cvt_f64_f32_e32 v[60:61], v61
	;; [unrolled: 1-line block ×3, first 2 shown]
	v_fma_f64 v[27:28], v[27:28], v[46:47], v[13:14]
	v_fma_f64 v[17:18], v[32:33], v[46:47], v[17:18]
	;; [unrolled: 1-line block ×4, first 2 shown]
	global_load_b128 v[11:14], v[104:105], off offset:16
	v_cvt_f64_f32_e32 v[40:41], v30
	v_cvt_f64_f32_e32 v[46:47], v35
	;; [unrolled: 1-line block ×4, first 2 shown]
	v_fma_f64 v[44:45], v[44:45], v[48:49], v[27:28]
	v_fma_f64 v[96:97], v[96:97], v[48:49], v[17:18]
	;; [unrolled: 1-line block ×4, first 2 shown]
	s_clause 0x3
	global_load_b128 v[15:18], v[23:24], off offset:768
	global_load_b128 v[27:30], v[23:24], off offset:784
	;; [unrolled: 1-line block ×4, first 2 shown]
	v_cvt_f64_f32_e32 v[100:101], v52
	v_cvt_f64_f32_e32 v[52:53], v53
	v_fma_f64 v[44:45], v[40:41], v[50:51], v[44:45]
	v_fma_f64 v[46:47], v[46:47], v[50:51], v[96:97]
	v_fma_f64 v[96:97], v[102:103], v[50:51], v[98:99]
	v_fma_f64 v[48:49], v[42:43], v[50:51], v[48:49]
	v_lshlrev_b64 v[40:41], 3, v[110:111]
	v_cvt_f64_f32_e32 v[98:99], v58
	v_cvt_f64_f32_e32 v[102:103], v66
	s_delay_alu instid0(VALU_DEP_3) | instskip(NEXT) | instid1(VALU_DEP_4)
	v_add_co_u32 v50, vcc_lo, s4, v40
	v_add_co_ci_u32_e32 v51, vcc_lo, s5, v41, vcc_lo
	v_add_co_u32 v21, vcc_lo, v21, 16
	v_add_co_ci_u32_e32 v22, vcc_lo, 0, v22, vcc_lo
	global_load_b128 v[40:43], v[50:51], off
	v_add_co_u32 v23, vcc_lo, 0x400, v23
	v_add_co_ci_u32_e32 v24, vcc_lo, 0, v24, vcc_lo
	v_cmp_ge_i64_e32 vcc_lo, v[21:22], v[4:5]
	s_or_b32 s10, vcc_lo, s10
	s_waitcnt vmcnt(12)
	v_fma_f64 v[44:45], v[100:101], v[68:69], v[44:45]
	v_fma_f64 v[46:47], v[104:105], v[68:69], v[46:47]
	;; [unrolled: 1-line block ×4, first 2 shown]
	v_cvt_f64_f32_e32 v[68:69], v54
	v_cvt_f64_f32_e32 v[100:101], v62
	v_fma_f64 v[52:53], v[52:53], v[70:71], v[44:45]
	v_fma_f64 v[56:57], v[56:57], v[70:71], v[46:47]
	global_load_b128 v[44:47], v[50:51], off offset:16
	v_fma_f64 v[60:61], v[60:61], v[70:71], v[96:97]
	v_fma_f64 v[48:49], v[64:65], v[70:71], v[48:49]
	v_cvt_f64_f32_e32 v[50:51], v55
	v_cvt_f64_f32_e32 v[54:55], v59
	;; [unrolled: 1-line block ×4, first 2 shown]
	s_waitcnt vmcnt(11)
	v_cvt_f64_f32_e32 v[64:65], v76
	s_waitcnt vmcnt(10)
	v_cvt_f64_f32_e32 v[66:67], v80
	;; [unrolled: 2-line block ×3, first 2 shown]
	v_fma_f64 v[52:53], v[68:69], v[72:73], v[52:53]
	v_fma_f64 v[56:57], v[98:99], v[72:73], v[56:57]
	v_cvt_f64_f32_e32 v[68:69], v84
	v_fma_f64 v[60:61], v[100:101], v[72:73], v[60:61]
	v_fma_f64 v[48:49], v[102:103], v[72:73], v[48:49]
	;; [unrolled: 1-line block ×4, first 2 shown]
	v_cvt_f64_f32_e32 v[56:57], v77
	v_fma_f64 v[54:55], v[58:59], v[74:75], v[60:61]
	v_fma_f64 v[48:49], v[62:63], v[74:75], v[48:49]
	v_cvt_f64_f32_e32 v[58:59], v81
	v_cvt_f64_f32_e32 v[60:61], v85
	;; [unrolled: 1-line block ×3, first 2 shown]
	s_waitcnt vmcnt(7)
	v_fma_f64 v[50:51], v[64:65], v[92:93], v[50:51]
	v_fma_f64 v[52:53], v[66:67], v[92:93], v[52:53]
	v_cvt_f64_f32_e32 v[64:65], v78
	v_fma_f64 v[54:55], v[68:69], v[92:93], v[54:55]
	v_fma_f64 v[48:49], v[70:71], v[92:93], v[48:49]
	v_cvt_f64_f32_e32 v[66:67], v82
	v_cvt_f64_f32_e32 v[68:69], v86
	;; [unrolled: 1-line block ×3, first 2 shown]
	v_fma_f64 v[50:51], v[56:57], v[94:95], v[50:51]
	v_fma_f64 v[52:53], v[58:59], v[94:95], v[52:53]
	v_cvt_f64_f32_e32 v[56:57], v79
	v_fma_f64 v[54:55], v[60:61], v[94:95], v[54:55]
	v_fma_f64 v[48:49], v[62:63], v[94:95], v[48:49]
	v_cvt_f64_f32_e32 v[58:59], v83
	v_cvt_f64_f32_e32 v[60:61], v87
	;; [unrolled: 1-line block ×3, first 2 shown]
	s_waitcnt vmcnt(6)
	v_fma_f64 v[50:51], v[64:65], v[11:12], v[50:51]
	v_fma_f64 v[52:53], v[66:67], v[11:12], v[52:53]
	v_fma_f64 v[54:55], v[68:69], v[11:12], v[54:55]
	v_fma_f64 v[11:12], v[70:71], v[11:12], v[48:49]
	s_waitcnt vmcnt(5)
	v_cvt_f64_f32_e32 v[48:49], v15
	s_waitcnt vmcnt(4)
	v_cvt_f64_f32_e32 v[64:65], v27
	;; [unrolled: 2-line block ×4, first 2 shown]
	v_fma_f64 v[50:51], v[56:57], v[13:14], v[50:51]
	v_fma_f64 v[52:53], v[58:59], v[13:14], v[52:53]
	v_cvt_f64_f32_e32 v[56:57], v38
	v_fma_f64 v[54:55], v[60:61], v[13:14], v[54:55]
	v_fma_f64 v[11:12], v[62:63], v[13:14], v[11:12]
	v_cvt_f64_f32_e32 v[13:14], v16
	v_cvt_f64_f32_e32 v[15:16], v28
	;; [unrolled: 1-line block ×4, first 2 shown]
	s_waitcnt vmcnt(1)
	v_fma_f64 v[36:37], v[48:49], v[40:41], v[50:51]
	v_fma_f64 v[48:49], v[64:65], v[40:41], v[52:53]
	v_cvt_f64_f32_e32 v[52:53], v29
	v_fma_f64 v[50:51], v[66:67], v[40:41], v[54:55]
	v_fma_f64 v[11:12], v[68:69], v[40:41], v[11:12]
	v_cvt_f64_f32_e32 v[40:41], v17
	v_cvt_f64_f32_e32 v[54:55], v34
	;; [unrolled: 1-line block ×4, first 2 shown]
	v_fma_f64 v[13:14], v[13:14], v[42:43], v[36:37]
	v_fma_f64 v[15:16], v[15:16], v[42:43], v[48:49]
	;; [unrolled: 1-line block ×4, first 2 shown]
	v_cvt_f64_f32_e32 v[32:33], v35
	v_cvt_f64_f32_e32 v[34:35], v39
	s_waitcnt vmcnt(0)
	v_fma_f64 v[13:14], v[40:41], v[44:45], v[13:14]
	v_fma_f64 v[15:16], v[52:53], v[44:45], v[15:16]
	;; [unrolled: 1-line block ×4, first 2 shown]
	s_delay_alu instid0(VALU_DEP_4) | instskip(NEXT) | instid1(VALU_DEP_4)
	v_fma_f64 v[13:14], v[17:18], v[46:47], v[13:14]
	v_fma_f64 v[17:18], v[29:30], v[46:47], v[15:16]
	s_delay_alu instid0(VALU_DEP_4) | instskip(NEXT) | instid1(VALU_DEP_4)
	v_fma_f64 v[15:16], v[32:33], v[46:47], v[27:28]
	v_fma_f64 v[11:12], v[34:35], v[46:47], v[11:12]
	s_and_not1_b32 exec_lo, exec_lo, s10
	s_cbranch_execnz .LBB155_21
; %bb.22:
	s_or_b32 exec_lo, exec_lo, s10
.LBB155_23:
	s_delay_alu instid0(SALU_CYCLE_1)
	s_or_b32 exec_lo, exec_lo, s7
.LBB155_24:
	s_delay_alu instid0(SALU_CYCLE_1)
	s_or_b32 exec_lo, exec_lo, s6
	s_cbranch_execz .LBB155_26
	s_branch .LBB155_37
.LBB155_25:
                                        ; implicit-def: $vgpr11_vgpr12
                                        ; implicit-def: $vgpr15_vgpr16
                                        ; implicit-def: $vgpr17_vgpr18
                                        ; implicit-def: $vgpr13_vgpr14
.LBB155_26:
	v_mov_b32_e32 v11, 0
	v_mov_b32_e32 v12, 0
	s_delay_alu instid0(VALU_DEP_1)
	v_dual_mov_b32 v16, v12 :: v_dual_mov_b32 v15, v11
	v_dual_mov_b32 v18, v12 :: v_dual_mov_b32 v17, v11
	;; [unrolled: 1-line block ×3, first 2 shown]
	s_and_saveexec_b32 s3, s2
	s_cbranch_execz .LBB155_36
; %bb.27:
	v_or_b32_e32 v11, 4, v31
	v_not_b32_e32 v14, v19
	v_not_b32_e32 v13, v20
	s_mov_b32 s7, 0
	s_mov_b32 s6, exec_lo
	v_sub_co_u32 v11, s2, v11, s12
	s_delay_alu instid0(VALU_DEP_1) | instskip(SKIP_1) | instid1(VALU_DEP_3)
	v_sub_co_ci_u32_e64 v12, null, 0, 0, s2
	v_sub_co_u32 v15, s2, s12, v31
	v_add_co_u32 v11, vcc_lo, v11, v19
	s_delay_alu instid0(VALU_DEP_3) | instskip(SKIP_1) | instid1(VALU_DEP_2)
	v_add_co_ci_u32_e32 v12, vcc_lo, v12, v20, vcc_lo
	v_sub_co_ci_u32_e64 v16, null, 0, 0, s2
	v_cmp_gt_i64_e32 vcc_lo, v[11:12], v[4:5]
	v_dual_cndmask_b32 v12, v5, v12 :: v_dual_cndmask_b32 v11, v4, v11
	v_add_co_u32 v14, vcc_lo, v15, v14
	s_delay_alu instid0(VALU_DEP_4) | instskip(NEXT) | instid1(VALU_DEP_2)
	v_add_co_ci_u32_e32 v13, vcc_lo, v16, v13, vcc_lo
	v_add_co_u32 v19, vcc_lo, v14, v11
	s_delay_alu instid0(VALU_DEP_2) | instskip(SKIP_1) | instid1(VALU_DEP_3)
	v_add_co_ci_u32_e32 v20, vcc_lo, v13, v12, vcc_lo
	v_mov_b32_e32 v13, 0
	v_lshrrev_b32_e32 v11, 2, v19
	s_delay_alu instid0(VALU_DEP_1) | instskip(NEXT) | instid1(VALU_DEP_1)
	v_dual_mov_b32 v14, 0 :: v_dual_add_nc_u32 v11, 1, v11
	v_dual_mov_b32 v18, v14 :: v_dual_mov_b32 v17, v13
	v_dual_mov_b32 v16, v14 :: v_dual_mov_b32 v15, v13
	s_delay_alu instid0(VALU_DEP_3) | instskip(SKIP_1) | instid1(VALU_DEP_2)
	v_and_b32_e32 v21, 3, v11
	v_dual_mov_b32 v11, v13 :: v_dual_mov_b32 v12, v14
	v_cmpx_ne_u32_e32 0, v21
	s_cbranch_execz .LBB155_31
; %bb.28:
	v_lshlrev_b64 v[13:14], 2, v[0:1]
	v_dual_mov_b32 v22, 0 :: v_dual_mov_b32 v11, 0
	v_dual_mov_b32 v12, 0 :: v_dual_lshlrev_b32 v21, 4, v21
	s_delay_alu instid0(VALU_DEP_3) | instskip(NEXT) | instid1(VALU_DEP_4)
	v_add_co_u32 v23, vcc_lo, s8, v13
	v_add_co_ci_u32_e32 v24, vcc_lo, s9, v14, vcc_lo
	s_delay_alu instid0(VALU_DEP_3)
	v_dual_mov_b32 v16, v12 :: v_dual_mov_b32 v15, v11
	v_dual_mov_b32 v18, v12 :: v_dual_mov_b32 v17, v11
	;; [unrolled: 1-line block ×3, first 2 shown]
.LBB155_29:                             ; =>This Inner Loop Header: Depth=1
	global_load_b32 v29, v[23:24], off
	s_clause 0x1
	global_load_b128 v[25:28], v[6:7], off
	global_load_b128 v[32:35], v[6:7], off offset:16
	v_add_co_u32 v23, s2, v23, 16
	s_delay_alu instid0(VALU_DEP_1)
	v_add_co_ci_u32_e64 v24, s2, 0, v24, s2
	s_waitcnt vmcnt(2)
	v_subrev_nc_u32_e32 v29, s12, v29
	s_waitcnt vmcnt(1)
	v_cvt_f64_f32_e32 v[52:53], v27
	v_cvt_f64_f32_e32 v[27:28], v28
	s_waitcnt vmcnt(0)
	v_cvt_f64_f32_e32 v[54:55], v32
	v_cvt_f64_f32_e32 v[32:33], v33
	v_lshlrev_b32_e32 v29, 2, v29
	v_cvt_f64_f32_e32 v[56:57], v34
	v_cvt_f64_f32_e32 v[34:35], v35
	s_delay_alu instid0(VALU_DEP_3) | instskip(NEXT) | instid1(VALU_DEP_1)
	v_ashrrev_i32_e32 v30, 31, v29
	v_lshlrev_b64 v[29:30], 3, v[29:30]
	s_waitcnt lgkmcnt(0)
	s_delay_alu instid0(VALU_DEP_1) | instskip(NEXT) | instid1(VALU_DEP_2)
	v_add_co_u32 v29, vcc_lo, s4, v29
	v_add_co_ci_u32_e32 v30, vcc_lo, s5, v30, vcc_lo
	s_clause 0x1
	global_load_b128 v[36:39], v[29:30], off
	global_load_b128 v[40:43], v[29:30], off offset:16
	s_clause 0x1
	global_load_b128 v[44:47], v[6:7], off offset:32
	global_load_b128 v[48:51], v[6:7], off offset:48
	v_cvt_f64_f32_e32 v[29:30], v25
	v_cvt_f64_f32_e32 v[25:26], v26
	v_add_co_u32 v6, vcc_lo, 0x100, v6
	v_add_co_ci_u32_e32 v7, vcc_lo, 0, v7, vcc_lo
	v_add_co_u32 v21, vcc_lo, v21, -16
	v_add_co_ci_u32_e32 v22, vcc_lo, -1, v22, vcc_lo
	v_add_co_u32 v0, vcc_lo, v0, 4
	v_add_co_ci_u32_e32 v1, vcc_lo, 0, v1, vcc_lo
	s_delay_alu instid0(VALU_DEP_3)
	v_cmp_eq_u64_e32 vcc_lo, 0, v[21:22]
	s_or_b32 s7, vcc_lo, s7
	s_waitcnt vmcnt(3)
	v_fma_f64 v[13:14], v[29:30], v[36:37], v[13:14]
	v_fma_f64 v[17:18], v[25:26], v[36:37], v[17:18]
	;; [unrolled: 1-line block ×4, first 2 shown]
	s_waitcnt vmcnt(1)
	v_cvt_f64_f32_e32 v[25:26], v44
	v_cvt_f64_f32_e32 v[27:28], v45
	v_cvt_f64_f32_e32 v[29:30], v46
	v_cvt_f64_f32_e32 v[36:37], v47
	s_waitcnt vmcnt(0)
	v_cvt_f64_f32_e32 v[44:45], v51
	v_fma_f64 v[13:14], v[54:55], v[38:39], v[13:14]
	v_fma_f64 v[17:18], v[32:33], v[38:39], v[17:18]
	;; [unrolled: 1-line block ×4, first 2 shown]
	v_cvt_f64_f32_e32 v[32:33], v48
	v_cvt_f64_f32_e32 v[34:35], v49
	;; [unrolled: 1-line block ×3, first 2 shown]
	v_fma_f64 v[13:14], v[25:26], v[40:41], v[13:14]
	v_fma_f64 v[17:18], v[27:28], v[40:41], v[17:18]
	;; [unrolled: 1-line block ×4, first 2 shown]
	s_delay_alu instid0(VALU_DEP_4) | instskip(NEXT) | instid1(VALU_DEP_4)
	v_fma_f64 v[13:14], v[32:33], v[42:43], v[13:14]
	v_fma_f64 v[17:18], v[34:35], v[42:43], v[17:18]
	s_delay_alu instid0(VALU_DEP_4) | instskip(NEXT) | instid1(VALU_DEP_4)
	v_fma_f64 v[15:16], v[38:39], v[42:43], v[15:16]
	v_fma_f64 v[11:12], v[44:45], v[42:43], v[11:12]
	s_and_not1_b32 exec_lo, exec_lo, s7
	s_cbranch_execnz .LBB155_29
; %bb.30:
	s_or_b32 exec_lo, exec_lo, s7
.LBB155_31:
	s_delay_alu instid0(SALU_CYCLE_1) | instskip(NEXT) | instid1(SALU_CYCLE_1)
	s_or_b32 exec_lo, exec_lo, s6
	s_mov_b32 s6, exec_lo
	v_cmpx_lt_u64_e32 11, v[19:20]
	s_cbranch_execz .LBB155_35
; %bb.32:
	v_lshlrev_b64 v[19:20], 2, v[0:1]
	s_mov_b32 s7, 0
	s_delay_alu instid0(VALU_DEP_1) | instskip(NEXT) | instid1(VALU_DEP_2)
	v_add_co_u32 v19, vcc_lo, v19, s8
	v_add_co_ci_u32_e32 v20, vcc_lo, s9, v20, vcc_lo
	s_delay_alu instid0(VALU_DEP_2) | instskip(NEXT) | instid1(VALU_DEP_2)
	v_add_co_u32 v19, vcc_lo, v19, 32
	v_add_co_ci_u32_e32 v20, vcc_lo, 0, v20, vcc_lo
.LBB155_33:                             ; =>This Inner Loop Header: Depth=1
	s_clause 0x2
	global_load_b32 v25, v[19:20], off offset:-32
	global_load_b32 v52, v[19:20], off offset:-16
	global_load_b32 v76, v[19:20], off
	global_load_b128 v[21:24], v[6:7], off
	global_load_b32 v92, v[19:20], off offset:16
	v_add_co_u32 v19, s2, v19, 64
	s_delay_alu instid0(VALU_DEP_1)
	v_add_co_ci_u32_e64 v20, s2, 0, v20, s2
	s_waitcnt vmcnt(4)
	v_subrev_nc_u32_e32 v25, s12, v25
	s_waitcnt vmcnt(2)
	v_subrev_nc_u32_e32 v76, s12, v76
	s_waitcnt vmcnt(1)
	v_cvt_f64_f32_e32 v[80:81], v22
	v_cvt_f64_f32_e32 v[82:83], v23
	v_lshlrev_b32_e32 v25, 2, v25
	v_cvt_f64_f32_e32 v[84:85], v24
	s_delay_alu instid0(VALU_DEP_2) | instskip(NEXT) | instid1(VALU_DEP_1)
	v_ashrrev_i32_e32 v26, 31, v25
	v_lshlrev_b64 v[25:26], 3, v[25:26]
	s_waitcnt lgkmcnt(0)
	s_delay_alu instid0(VALU_DEP_1) | instskip(NEXT) | instid1(VALU_DEP_2)
	v_add_co_u32 v29, vcc_lo, s4, v25
	v_add_co_ci_u32_e32 v30, vcc_lo, s5, v26, vcc_lo
	global_load_b128 v[25:28], v[6:7], off offset:16
	global_load_b128 v[32:35], v[29:30], off
	s_clause 0x1
	global_load_b128 v[36:39], v[6:7], off offset:32
	global_load_b128 v[40:43], v[6:7], off offset:48
	global_load_b128 v[44:47], v[29:30], off offset:16
	global_load_b128 v[48:51], v[6:7], off offset:256
	v_subrev_nc_u32_e32 v29, s12, v52
	s_delay_alu instid0(VALU_DEP_1) | instskip(NEXT) | instid1(VALU_DEP_1)
	v_lshlrev_b32_e32 v29, 2, v29
	v_ashrrev_i32_e32 v30, 31, v29
	s_delay_alu instid0(VALU_DEP_1) | instskip(NEXT) | instid1(VALU_DEP_1)
	v_lshlrev_b64 v[29:30], 3, v[29:30]
	v_add_co_u32 v29, vcc_lo, s4, v29
	s_delay_alu instid0(VALU_DEP_2)
	v_add_co_ci_u32_e32 v30, vcc_lo, s5, v30, vcc_lo
	global_load_b128 v[52:55], v[6:7], off offset:272
	global_load_b128 v[56:59], v[29:30], off
	s_clause 0x1
	global_load_b128 v[60:63], v[6:7], off offset:288
	global_load_b128 v[64:67], v[6:7], off offset:304
	;; [unrolled: 1-line block ×4, first 2 shown]
	v_cvt_f64_f32_e32 v[29:30], v21
	v_lshlrev_b32_e32 v21, 2, v76
	s_delay_alu instid0(VALU_DEP_1) | instskip(NEXT) | instid1(VALU_DEP_1)
	v_ashrrev_i32_e32 v22, 31, v21
	v_lshlrev_b64 v[21:22], 3, v[21:22]
	s_delay_alu instid0(VALU_DEP_1) | instskip(NEXT) | instid1(VALU_DEP_2)
	v_add_co_u32 v86, vcc_lo, s4, v21
	v_add_co_ci_u32_e32 v87, vcc_lo, s5, v22, vcc_lo
	global_load_b128 v[21:24], v[6:7], off offset:528
	global_load_b128 v[76:79], v[86:87], off
	s_waitcnt vmcnt(13)
	v_cvt_f64_f32_e32 v[88:89], v25
	v_cvt_f64_f32_e32 v[25:26], v26
	v_cvt_f64_f32_e32 v[90:91], v27
	v_cvt_f64_f32_e32 v[27:28], v28
	s_waitcnt vmcnt(12)
	v_fma_f64 v[29:30], v[29:30], v[32:33], v[13:14]
	v_fma_f64 v[17:18], v[80:81], v[32:33], v[17:18]
	;; [unrolled: 1-line block ×4, first 2 shown]
	global_load_b128 v[11:14], v[6:7], off offset:544
	s_waitcnt vmcnt(12)
	v_cvt_f64_f32_e32 v[80:81], v36
	v_cvt_f64_f32_e32 v[36:37], v37
	;; [unrolled: 1-line block ×4, first 2 shown]
	v_fma_f64 v[29:30], v[88:89], v[34:35], v[29:30]
	v_fma_f64 v[84:85], v[25:26], v[34:35], v[17:18]
	;; [unrolled: 1-line block ×4, first 2 shown]
	global_load_b128 v[15:18], v[6:7], off offset:560
	global_load_b128 v[25:28], v[86:87], off offset:16
	s_waitcnt vmcnt(13)
	v_cvt_f64_f32_e32 v[86:87], v40
	v_cvt_f64_f32_e32 v[40:41], v41
	;; [unrolled: 1-line block ×4, first 2 shown]
	s_waitcnt vmcnt(12)
	v_fma_f64 v[29:30], v[80:81], v[44:45], v[29:30]
	v_fma_f64 v[36:37], v[36:37], v[44:45], v[84:85]
	;; [unrolled: 1-line block ×4, first 2 shown]
	global_load_b128 v[32:35], v[6:7], off offset:768
	v_subrev_nc_u32_e32 v84, s12, v92
	s_waitcnt vmcnt(12)
	v_cvt_f64_f32_e32 v[44:45], v48
	v_cvt_f64_f32_e32 v[48:49], v49
	;; [unrolled: 1-line block ×4, first 2 shown]
	v_lshlrev_b32_e32 v84, 2, v84
	s_waitcnt vmcnt(11)
	v_cvt_f64_f32_e32 v[88:89], v52
	v_cvt_f64_f32_e32 v[52:53], v53
	s_delay_alu instid0(VALU_DEP_3)
	v_ashrrev_i32_e32 v85, 31, v84
	v_fma_f64 v[29:30], v[86:87], v[46:47], v[29:30]
	v_fma_f64 v[86:87], v[40:41], v[46:47], v[36:37]
	;; [unrolled: 1-line block ×4, first 2 shown]
	v_lshlrev_b64 v[36:37], 3, v[84:85]
	v_cvt_f64_f32_e32 v[90:91], v54
	v_cvt_f64_f32_e32 v[54:55], v55
	s_delay_alu instid0(VALU_DEP_3) | instskip(NEXT) | instid1(VALU_DEP_4)
	v_add_co_u32 v84, vcc_lo, s4, v36
	v_add_co_ci_u32_e32 v85, vcc_lo, s5, v37, vcc_lo
	global_load_b128 v[36:39], v[6:7], off offset:784
	global_load_b128 v[40:43], v[84:85], off
	v_add_co_u32 v0, vcc_lo, v0, 16
	v_add_co_ci_u32_e32 v1, vcc_lo, 0, v1, vcc_lo
	s_waitcnt vmcnt(12)
	v_fma_f64 v[29:30], v[44:45], v[56:57], v[29:30]
	v_fma_f64 v[48:49], v[48:49], v[56:57], v[86:87]
	;; [unrolled: 1-line block ×4, first 2 shown]
	global_load_b128 v[44:47], v[6:7], off offset:800
	s_waitcnt vmcnt(12)
	v_cvt_f64_f32_e32 v[56:57], v60
	v_cvt_f64_f32_e32 v[60:61], v61
	;; [unrolled: 1-line block ×4, first 2 shown]
	v_fma_f64 v[29:30], v[88:89], v[58:59], v[29:30]
	v_fma_f64 v[86:87], v[52:53], v[58:59], v[48:49]
	;; [unrolled: 1-line block ×4, first 2 shown]
	global_load_b128 v[48:51], v[6:7], off offset:816
	global_load_b128 v[52:55], v[84:85], off offset:16
	s_waitcnt vmcnt(13)
	v_cvt_f64_f32_e32 v[84:85], v64
	v_cvt_f64_f32_e32 v[64:65], v65
	;; [unrolled: 1-line block ×4, first 2 shown]
	v_add_co_u32 v6, vcc_lo, 0x400, v6
	v_add_co_ci_u32_e32 v7, vcc_lo, 0, v7, vcc_lo
	v_cmp_ge_i64_e32 vcc_lo, v[0:1], v[4:5]
	s_or_b32 s7, vcc_lo, s7
	s_waitcnt vmcnt(12)
	v_fma_f64 v[29:30], v[56:57], v[68:69], v[29:30]
	v_fma_f64 v[56:57], v[60:61], v[68:69], v[86:87]
	v_fma_f64 v[60:61], v[82:83], v[68:69], v[80:81]
	v_fma_f64 v[58:59], v[62:63], v[68:69], v[58:59]
	s_waitcnt vmcnt(11)
	v_cvt_f64_f32_e32 v[62:63], v72
	v_cvt_f64_f32_e32 v[68:69], v73
	v_cvt_f64_f32_e32 v[72:73], v74
	v_cvt_f64_f32_e32 v[74:75], v75
	v_fma_f64 v[29:30], v[84:85], v[70:71], v[29:30]
	v_fma_f64 v[56:57], v[64:65], v[70:71], v[56:57]
	v_fma_f64 v[60:61], v[88:89], v[70:71], v[60:61]
	v_fma_f64 v[58:59], v[66:67], v[70:71], v[58:59]
	s_waitcnt vmcnt(10)
	v_cvt_f64_f32_e32 v[64:65], v21
	v_cvt_f64_f32_e32 v[21:22], v22
	v_cvt_f64_f32_e32 v[66:67], v23
	v_cvt_f64_f32_e32 v[23:24], v24
	s_waitcnt vmcnt(9)
	v_fma_f64 v[29:30], v[62:63], v[76:77], v[29:30]
	v_fma_f64 v[56:57], v[68:69], v[76:77], v[56:57]
	v_fma_f64 v[60:61], v[72:73], v[76:77], v[60:61]
	v_fma_f64 v[58:59], v[74:75], v[76:77], v[58:59]
	s_waitcnt vmcnt(8)
	v_cvt_f64_f32_e32 v[62:63], v11
	v_cvt_f64_f32_e32 v[11:12], v12
	v_cvt_f64_f32_e32 v[68:69], v13
	v_cvt_f64_f32_e32 v[13:14], v14
	v_fma_f64 v[29:30], v[64:65], v[78:79], v[29:30]
	v_fma_f64 v[21:22], v[21:22], v[78:79], v[56:57]
	v_fma_f64 v[56:57], v[66:67], v[78:79], v[60:61]
	v_fma_f64 v[23:24], v[23:24], v[78:79], v[58:59]
	s_waitcnt vmcnt(7)
	v_cvt_f64_f32_e32 v[58:59], v15
	v_cvt_f64_f32_e32 v[15:16], v16
	v_cvt_f64_f32_e32 v[60:61], v17
	v_cvt_f64_f32_e32 v[17:18], v18
	;; [unrolled: 19-line block ×4, first 2 shown]
	s_waitcnt vmcnt(0)
	v_fma_f64 v[17:18], v[25:26], v[52:53], v[17:18]
	v_fma_f64 v[11:12], v[29:30], v[52:53], v[11:12]
	;; [unrolled: 1-line block ×4, first 2 shown]
	s_delay_alu instid0(VALU_DEP_4) | instskip(NEXT) | instid1(VALU_DEP_4)
	v_fma_f64 v[13:14], v[21:22], v[54:55], v[17:18]
	v_fma_f64 v[17:18], v[23:24], v[54:55], v[11:12]
	s_delay_alu instid0(VALU_DEP_4) | instskip(NEXT) | instid1(VALU_DEP_4)
	v_fma_f64 v[15:16], v[27:28], v[54:55], v[15:16]
	v_fma_f64 v[11:12], v[36:37], v[54:55], v[25:26]
	s_and_not1_b32 exec_lo, exec_lo, s7
	s_cbranch_execnz .LBB155_33
; %bb.34:
	s_or_b32 exec_lo, exec_lo, s7
.LBB155_35:
	s_delay_alu instid0(SALU_CYCLE_1)
	s_or_b32 exec_lo, exec_lo, s6
.LBB155_36:
	s_delay_alu instid0(SALU_CYCLE_1)
	s_or_b32 exec_lo, exec_lo, s3
.LBB155_37:
	v_mbcnt_lo_u32_b32 v23, -1, 0
	s_delay_alu instid0(VALU_DEP_1) | instskip(NEXT) | instid1(VALU_DEP_1)
	v_xor_b32_e32 v0, 2, v23
	v_cmp_gt_i32_e32 vcc_lo, 32, v0
	v_cndmask_b32_e32 v0, v23, v0, vcc_lo
	s_delay_alu instid0(VALU_DEP_1)
	v_lshlrev_b32_e32 v6, 2, v0
	ds_bpermute_b32 v0, v6, v13
	ds_bpermute_b32 v1, v6, v14
	;; [unrolled: 1-line block ×8, first 2 shown]
	s_waitcnt lgkmcnt(0)
	v_add_f64 v[13:14], v[13:14], v[0:1]
	v_add_f64 v[6:7], v[17:18], v[4:5]
	;; [unrolled: 1-line block ×4, first 2 shown]
	v_xor_b32_e32 v11, 1, v23
	s_delay_alu instid0(VALU_DEP_1) | instskip(SKIP_2) | instid1(VALU_DEP_2)
	v_cmp_gt_i32_e32 vcc_lo, 32, v11
	v_cndmask_b32_e32 v11, v23, v11, vcc_lo
	v_cmp_eq_u32_e32 vcc_lo, 3, v31
	v_lshlrev_b32_e32 v12, 2, v11
	ds_bpermute_b32 v19, v12, v13
	ds_bpermute_b32 v20, v12, v14
	;; [unrolled: 1-line block ×8, first 2 shown]
	s_and_b32 exec_lo, exec_lo, vcc_lo
	s_cbranch_execz .LBB155_10
; %bb.38:
	s_waitcnt lgkmcnt(6)
	v_add_f64 v[13:14], v[13:14], v[19:20]
	s_waitcnt lgkmcnt(4)
	v_add_f64 v[6:7], v[6:7], v[17:18]
	;; [unrolled: 2-line block ×4, first 2 shown]
	s_load_b64 s[0:1], s[0:1], 0x50
	v_lshlrev_b32_e32 v10, 2, v10
	s_mov_b32 s2, exec_lo
	v_mul_f64 v[4:5], v[2:3], v[13:14]
	v_mul_f64 v[6:7], v[2:3], v[6:7]
	;; [unrolled: 1-line block ×4, first 2 shown]
	v_cmpx_eq_f64_e32 0, v[8:9]
	s_xor_b32 s2, exec_lo, s2
	s_cbranch_execz .LBB155_40
; %bb.39:
	v_ashrrev_i32_e32 v11, 31, v10
	s_delay_alu instid0(VALU_DEP_1) | instskip(SKIP_1) | instid1(VALU_DEP_1)
	v_lshlrev_b64 v[8:9], 3, v[10:11]
                                        ; implicit-def: $vgpr10
	s_waitcnt lgkmcnt(0)
	v_add_co_u32 v8, vcc_lo, s0, v8
	s_delay_alu instid0(VALU_DEP_2)
	v_add_co_ci_u32_e32 v9, vcc_lo, s1, v9, vcc_lo
	s_clause 0x1
	global_store_b128 v[8:9], v[4:7], off
	global_store_b128 v[8:9], v[0:3], off offset:16
                                        ; implicit-def: $vgpr8_vgpr9
                                        ; implicit-def: $vgpr4_vgpr5
                                        ; implicit-def: $vgpr0_vgpr1
.LBB155_40:
	s_and_not1_saveexec_b32 s2, s2
	s_cbranch_execz .LBB155_10
; %bb.41:
	v_ashrrev_i32_e32 v11, 31, v10
	s_delay_alu instid0(VALU_DEP_1) | instskip(SKIP_1) | instid1(VALU_DEP_1)
	v_lshlrev_b64 v[10:11], 3, v[10:11]
	s_waitcnt lgkmcnt(0)
	v_add_co_u32 v18, vcc_lo, s0, v10
	s_delay_alu instid0(VALU_DEP_2)
	v_add_co_ci_u32_e32 v19, vcc_lo, s1, v11, vcc_lo
	s_clause 0x1
	global_load_b128 v[10:13], v[18:19], off
	global_load_b128 v[14:17], v[18:19], off offset:16
	s_waitcnt vmcnt(1)
	v_fma_f64 v[4:5], v[8:9], v[10:11], v[4:5]
	v_fma_f64 v[6:7], v[8:9], v[12:13], v[6:7]
	s_waitcnt vmcnt(0)
	v_fma_f64 v[0:1], v[8:9], v[14:15], v[0:1]
	v_fma_f64 v[2:3], v[8:9], v[16:17], v[2:3]
	s_clause 0x1
	global_store_b128 v[18:19], v[4:7], off
	global_store_b128 v[18:19], v[0:3], off offset:16
	s_nop 0
	s_sendmsg sendmsg(MSG_DEALLOC_VGPRS)
	s_endpgm
	.section	.rodata,"a",@progbits
	.p2align	6, 0x0
	.amdhsa_kernel _ZN9rocsparseL18bsrxmvn_4x4_kernelILj128ELj4EdlifddEEvT3_20rocsparse_direction_NS_24const_host_device_scalarIT1_EES1_PKS1_PKT2_SA_S7_PKT4_PKT5_S5_PT6_21rocsparse_index_base_b
		.amdhsa_group_segment_fixed_size 0
		.amdhsa_private_segment_fixed_size 0
		.amdhsa_kernarg_size 96
		.amdhsa_user_sgpr_count 15
		.amdhsa_user_sgpr_dispatch_ptr 0
		.amdhsa_user_sgpr_queue_ptr 0
		.amdhsa_user_sgpr_kernarg_segment_ptr 1
		.amdhsa_user_sgpr_dispatch_id 0
		.amdhsa_user_sgpr_private_segment_size 0
		.amdhsa_wavefront_size32 1
		.amdhsa_uses_dynamic_stack 0
		.amdhsa_enable_private_segment 0
		.amdhsa_system_sgpr_workgroup_id_x 1
		.amdhsa_system_sgpr_workgroup_id_y 0
		.amdhsa_system_sgpr_workgroup_id_z 0
		.amdhsa_system_sgpr_workgroup_info 0
		.amdhsa_system_vgpr_workitem_id 0
		.amdhsa_next_free_vgpr 112
		.amdhsa_next_free_sgpr 16
		.amdhsa_reserve_vcc 1
		.amdhsa_float_round_mode_32 0
		.amdhsa_float_round_mode_16_64 0
		.amdhsa_float_denorm_mode_32 3
		.amdhsa_float_denorm_mode_16_64 3
		.amdhsa_dx10_clamp 1
		.amdhsa_ieee_mode 1
		.amdhsa_fp16_overflow 0
		.amdhsa_workgroup_processor_mode 1
		.amdhsa_memory_ordered 1
		.amdhsa_forward_progress 0
		.amdhsa_shared_vgpr_count 0
		.amdhsa_exception_fp_ieee_invalid_op 0
		.amdhsa_exception_fp_denorm_src 0
		.amdhsa_exception_fp_ieee_div_zero 0
		.amdhsa_exception_fp_ieee_overflow 0
		.amdhsa_exception_fp_ieee_underflow 0
		.amdhsa_exception_fp_ieee_inexact 0
		.amdhsa_exception_int_div_zero 0
	.end_amdhsa_kernel
	.section	.text._ZN9rocsparseL18bsrxmvn_4x4_kernelILj128ELj4EdlifddEEvT3_20rocsparse_direction_NS_24const_host_device_scalarIT1_EES1_PKS1_PKT2_SA_S7_PKT4_PKT5_S5_PT6_21rocsparse_index_base_b,"axG",@progbits,_ZN9rocsparseL18bsrxmvn_4x4_kernelILj128ELj4EdlifddEEvT3_20rocsparse_direction_NS_24const_host_device_scalarIT1_EES1_PKS1_PKT2_SA_S7_PKT4_PKT5_S5_PT6_21rocsparse_index_base_b,comdat
.Lfunc_end155:
	.size	_ZN9rocsparseL18bsrxmvn_4x4_kernelILj128ELj4EdlifddEEvT3_20rocsparse_direction_NS_24const_host_device_scalarIT1_EES1_PKS1_PKT2_SA_S7_PKT4_PKT5_S5_PT6_21rocsparse_index_base_b, .Lfunc_end155-_ZN9rocsparseL18bsrxmvn_4x4_kernelILj128ELj4EdlifddEEvT3_20rocsparse_direction_NS_24const_host_device_scalarIT1_EES1_PKS1_PKT2_SA_S7_PKT4_PKT5_S5_PT6_21rocsparse_index_base_b
                                        ; -- End function
	.section	.AMDGPU.csdata,"",@progbits
; Kernel info:
; codeLenInByte = 5388
; NumSgprs: 18
; NumVgprs: 112
; ScratchSize: 0
; MemoryBound: 0
; FloatMode: 240
; IeeeMode: 1
; LDSByteSize: 0 bytes/workgroup (compile time only)
; SGPRBlocks: 2
; VGPRBlocks: 13
; NumSGPRsForWavesPerEU: 18
; NumVGPRsForWavesPerEU: 112
; Occupancy: 12
; WaveLimiterHint : 1
; COMPUTE_PGM_RSRC2:SCRATCH_EN: 0
; COMPUTE_PGM_RSRC2:USER_SGPR: 15
; COMPUTE_PGM_RSRC2:TRAP_HANDLER: 0
; COMPUTE_PGM_RSRC2:TGID_X_EN: 1
; COMPUTE_PGM_RSRC2:TGID_Y_EN: 0
; COMPUTE_PGM_RSRC2:TGID_Z_EN: 0
; COMPUTE_PGM_RSRC2:TIDIG_COMP_CNT: 0
	.section	.text._ZN9rocsparseL18bsrxmvn_4x4_kernelILj128ELj8EdlifddEEvT3_20rocsparse_direction_NS_24const_host_device_scalarIT1_EES1_PKS1_PKT2_SA_S7_PKT4_PKT5_S5_PT6_21rocsparse_index_base_b,"axG",@progbits,_ZN9rocsparseL18bsrxmvn_4x4_kernelILj128ELj8EdlifddEEvT3_20rocsparse_direction_NS_24const_host_device_scalarIT1_EES1_PKS1_PKT2_SA_S7_PKT4_PKT5_S5_PT6_21rocsparse_index_base_b,comdat
	.globl	_ZN9rocsparseL18bsrxmvn_4x4_kernelILj128ELj8EdlifddEEvT3_20rocsparse_direction_NS_24const_host_device_scalarIT1_EES1_PKS1_PKT2_SA_S7_PKT4_PKT5_S5_PT6_21rocsparse_index_base_b ; -- Begin function _ZN9rocsparseL18bsrxmvn_4x4_kernelILj128ELj8EdlifddEEvT3_20rocsparse_direction_NS_24const_host_device_scalarIT1_EES1_PKS1_PKT2_SA_S7_PKT4_PKT5_S5_PT6_21rocsparse_index_base_b
	.p2align	8
	.type	_ZN9rocsparseL18bsrxmvn_4x4_kernelILj128ELj8EdlifddEEvT3_20rocsparse_direction_NS_24const_host_device_scalarIT1_EES1_PKS1_PKT2_SA_S7_PKT4_PKT5_S5_PT6_21rocsparse_index_base_b,@function
_ZN9rocsparseL18bsrxmvn_4x4_kernelILj128ELj8EdlifddEEvT3_20rocsparse_direction_NS_24const_host_device_scalarIT1_EES1_PKS1_PKT2_SA_S7_PKT4_PKT5_S5_PT6_21rocsparse_index_base_b: ; @_ZN9rocsparseL18bsrxmvn_4x4_kernelILj128ELj8EdlifddEEvT3_20rocsparse_direction_NS_24const_host_device_scalarIT1_EES1_PKS1_PKT2_SA_S7_PKT4_PKT5_S5_PT6_21rocsparse_index_base_b
; %bb.0:
	s_clause 0x2
	s_load_b64 s[12:13], s[0:1], 0x58
	s_load_b64 s[4:5], s[0:1], 0x8
	;; [unrolled: 1-line block ×3, first 2 shown]
	s_waitcnt lgkmcnt(0)
	s_bitcmp1_b32 s13, 0
	v_dual_mov_b32 v2, s4 :: v_dual_mov_b32 v3, s5
	s_cselect_b32 s6, -1, 0
	s_delay_alu instid0(SALU_CYCLE_1)
	s_and_b32 vcc_lo, exec_lo, s6
	s_xor_b32 s6, s6, -1
	s_cbranch_vccnz .LBB156_2
; %bb.1:
	v_dual_mov_b32 v1, s4 :: v_dual_mov_b32 v2, s5
	flat_load_b64 v[2:3], v[1:2]
.LBB156_2:
	v_dual_mov_b32 v9, s3 :: v_dual_mov_b32 v8, s2
	s_and_not1_b32 vcc_lo, exec_lo, s6
	s_cbranch_vccnz .LBB156_4
; %bb.3:
	v_dual_mov_b32 v5, s3 :: v_dual_mov_b32 v4, s2
	flat_load_b64 v[8:9], v[4:5]
.LBB156_4:
	s_waitcnt vmcnt(0) lgkmcnt(0)
	v_cmp_neq_f64_e32 vcc_lo, 0, v[2:3]
	v_cmp_neq_f64_e64 s2, 1.0, v[8:9]
	s_delay_alu instid0(VALU_DEP_1) | instskip(NEXT) | instid1(SALU_CYCLE_1)
	s_or_b32 s2, vcc_lo, s2
	s_and_saveexec_b32 s3, s2
	s_cbranch_execz .LBB156_10
; %bb.5:
	s_clause 0x1
	s_load_b64 s[4:5], s[0:1], 0x18
	s_load_b64 s[2:3], s[0:1], 0x0
	v_lshrrev_b32_e32 v1, 3, v0
	s_delay_alu instid0(VALU_DEP_1)
	v_lshl_or_b32 v10, s15, 4, v1
	s_waitcnt lgkmcnt(0)
	s_cmp_lg_u64 s[4:5], 0
	s_cbranch_scc0 .LBB156_11
; %bb.6:
	s_load_b32 s6, s[0:1], 0x10
	s_mov_b32 s7, 0
                                        ; implicit-def: $vgpr1
	s_waitcnt lgkmcnt(0)
	v_cmp_gt_i32_e32 vcc_lo, s6, v10
	s_mov_b32 s6, 0
	s_and_saveexec_b32 s8, vcc_lo
	s_delay_alu instid0(SALU_CYCLE_1)
	s_xor_b32 s8, exec_lo, s8
	s_cbranch_execz .LBB156_8
; %bb.7:
	v_ashrrev_i32_e32 v11, 31, v10
	s_mov_b32 s6, exec_lo
	s_delay_alu instid0(VALU_DEP_1) | instskip(NEXT) | instid1(VALU_DEP_1)
	v_lshlrev_b64 v[4:5], 2, v[10:11]
	v_add_co_u32 v4, vcc_lo, s4, v4
	s_delay_alu instid0(VALU_DEP_2)
	v_add_co_ci_u32_e32 v5, vcc_lo, s5, v5, vcc_lo
	global_load_b32 v1, v[4:5], off
	s_waitcnt vmcnt(0)
	v_subrev_nc_u32_e32 v1, s12, v1
.LBB156_8:
	s_or_b32 exec_lo, exec_lo, s8
	s_delay_alu instid0(SALU_CYCLE_1)
	s_and_b32 vcc_lo, exec_lo, s7
	s_cbranch_vccz .LBB156_12
.LBB156_9:
	v_cmp_gt_i32_e32 vcc_lo, s2, v10
	s_and_not1_b32 s2, s6, exec_lo
	s_and_b32 s4, vcc_lo, exec_lo
	s_delay_alu instid0(SALU_CYCLE_1) | instskip(NEXT) | instid1(SALU_CYCLE_1)
	s_or_b32 s6, s2, s4
	s_and_b32 exec_lo, exec_lo, s6
	s_cbranch_execnz .LBB156_13
.LBB156_10:
	s_nop 0
	s_sendmsg sendmsg(MSG_DEALLOC_VGPRS)
	s_endpgm
.LBB156_11:
	s_mov_b32 s6, 0
                                        ; implicit-def: $vgpr1
	s_cbranch_execnz .LBB156_9
.LBB156_12:
	s_delay_alu instid0(VALU_DEP_1)
	v_mov_b32_e32 v10, v1
	s_and_b32 exec_lo, exec_lo, s6
	s_cbranch_execz .LBB156_10
.LBB156_13:
	s_load_b256 s[4:11], s[0:1], 0x20
	s_delay_alu instid0(VALU_DEP_1) | instskip(SKIP_1) | instid1(VALU_DEP_2)
	v_ashrrev_i32_e32 v11, 31, v10
	v_and_b32_e32 v31, 7, v0
	v_lshlrev_b64 v[4:5], 3, v[10:11]
	s_waitcnt lgkmcnt(0)
	s_delay_alu instid0(VALU_DEP_1) | instskip(NEXT) | instid1(VALU_DEP_2)
	v_add_co_u32 v6, vcc_lo, s4, v4
	v_add_co_ci_u32_e32 v7, vcc_lo, s5, v5, vcc_lo
	v_add_co_u32 v1, vcc_lo, s6, v4
	v_add_co_ci_u32_e32 v4, vcc_lo, s7, v5, vcc_lo
	s_delay_alu instid0(VALU_DEP_4)
	v_add_co_u32 v11, vcc_lo, v6, 8
	global_load_b64 v[19:20], v[6:7], off
	v_add_co_ci_u32_e32 v5, vcc_lo, 0, v7, vcc_lo
	s_cmp_eq_u64 s[6:7], 0
	s_load_b64 s[4:5], s[0:1], 0x40
	s_cselect_b32 vcc_lo, -1, 0
	s_cmp_eq_u32 s3, 1
	v_dual_cndmask_b32 v5, v4, v5 :: v_dual_cndmask_b32 v4, v1, v11
	global_load_b64 v[4:5], v[4:5], off
	s_waitcnt vmcnt(1)
	v_sub_co_u32 v0, vcc_lo, v19, s12
	v_subrev_co_ci_u32_e32 v1, vcc_lo, 0, v20, vcc_lo
	s_delay_alu instid0(VALU_DEP_2) | instskip(NEXT) | instid1(VALU_DEP_2)
	v_add_co_u32 v0, vcc_lo, v0, v31
	v_add_co_ci_u32_e32 v1, vcc_lo, 0, v1, vcc_lo
	s_delay_alu instid0(VALU_DEP_1) | instskip(SKIP_3) | instid1(VALU_DEP_3)
	v_lshlrev_b64 v[6:7], 6, v[0:1]
	s_waitcnt vmcnt(0)
	v_sub_co_u32 v4, vcc_lo, v4, s12
	v_subrev_co_ci_u32_e32 v5, vcc_lo, 0, v5, vcc_lo
	v_add_co_u32 v6, vcc_lo, s10, v6
	s_delay_alu instid0(VALU_DEP_2)
	v_cmp_lt_i64_e64 s2, v[0:1], v[4:5]
	v_add_co_ci_u32_e32 v7, vcc_lo, s11, v7, vcc_lo
	s_cbranch_scc1 .LBB156_25
; %bb.14:
	v_mov_b32_e32 v11, 0
	v_mov_b32_e32 v12, 0
	s_delay_alu instid0(VALU_DEP_1)
	v_dual_mov_b32 v16, v12 :: v_dual_mov_b32 v15, v11
	v_dual_mov_b32 v18, v12 :: v_dual_mov_b32 v17, v11
	;; [unrolled: 1-line block ×3, first 2 shown]
	s_and_saveexec_b32 s6, s2
	s_cbranch_execz .LBB156_24
; %bb.15:
	v_or_b32_e32 v11, 8, v31
	v_not_b32_e32 v14, v19
	v_not_b32_e32 v13, v20
	s_mov_b32 s10, 0
	s_mov_b32 s7, exec_lo
	v_sub_co_u32 v11, s3, v11, s12
	s_delay_alu instid0(VALU_DEP_1) | instskip(SKIP_1) | instid1(VALU_DEP_3)
	v_sub_co_ci_u32_e64 v12, null, 0, 0, s3
	v_sub_co_u32 v15, s3, s12, v31
	v_add_co_u32 v11, vcc_lo, v11, v19
	s_delay_alu instid0(VALU_DEP_3) | instskip(SKIP_2) | instid1(VALU_DEP_3)
	v_add_co_ci_u32_e32 v12, vcc_lo, v12, v20, vcc_lo
	v_sub_co_ci_u32_e64 v16, null, 0, 0, s3
	v_mov_b32_e32 v22, v1
	v_cmp_gt_i64_e32 vcc_lo, v[11:12], v[4:5]
	v_dual_mov_b32 v24, v7 :: v_dual_mov_b32 v23, v6
	v_dual_cndmask_b32 v12, v5, v12 :: v_dual_cndmask_b32 v11, v4, v11
	v_add_co_u32 v14, vcc_lo, v15, v14
	v_add_co_ci_u32_e32 v13, vcc_lo, v16, v13, vcc_lo
	s_delay_alu instid0(VALU_DEP_2) | instskip(NEXT) | instid1(VALU_DEP_2)
	v_add_co_u32 v25, vcc_lo, v14, v11
	v_add_co_ci_u32_e32 v26, vcc_lo, v13, v12, vcc_lo
	v_mov_b32_e32 v13, 0
	s_delay_alu instid0(VALU_DEP_3) | instskip(SKIP_1) | instid1(VALU_DEP_1)
	v_lshrrev_b32_e32 v11, 3, v25
	v_dual_mov_b32 v14, 0 :: v_dual_mov_b32 v21, v0
	v_dual_mov_b32 v16, v14 :: v_dual_add_nc_u32 v11, 1, v11
	s_delay_alu instid0(VALU_DEP_4) | instskip(SKIP_1) | instid1(VALU_DEP_3)
	v_dual_mov_b32 v18, v14 :: v_dual_mov_b32 v15, v13
	v_mov_b32_e32 v17, v13
	v_and_b32_e32 v27, 3, v11
	v_dual_mov_b32 v11, v13 :: v_dual_mov_b32 v12, v14
	s_delay_alu instid0(VALU_DEP_2)
	v_cmpx_ne_u32_e32 0, v27
	s_cbranch_execz .LBB156_19
; %bb.16:
	v_lshlrev_b64 v[13:14], 2, v[0:1]
	v_dual_mov_b32 v28, 0 :: v_dual_mov_b32 v11, 0
	v_dual_mov_b32 v12, 0 :: v_dual_lshlrev_b32 v27, 4, v27
	v_dual_mov_b32 v24, v7 :: v_dual_mov_b32 v23, v6
	s_delay_alu instid0(VALU_DEP_4)
	v_add_co_u32 v29, vcc_lo, s8, v13
	v_add_co_ci_u32_e32 v30, vcc_lo, s9, v14, vcc_lo
	v_dual_mov_b32 v22, v1 :: v_dual_mov_b32 v21, v0
	v_dual_mov_b32 v16, v12 :: v_dual_mov_b32 v15, v11
	;; [unrolled: 1-line block ×4, first 2 shown]
.LBB156_17:                             ; =>This Inner Loop Header: Depth=1
	global_load_b32 v48, v[29:30], off
	s_clause 0x3
	global_load_b128 v[32:35], v[23:24], off
	global_load_b128 v[36:39], v[23:24], off offset:16
	global_load_b128 v[40:43], v[23:24], off offset:32
	;; [unrolled: 1-line block ×3, first 2 shown]
	v_add_co_u32 v29, s3, v29, 32
	s_delay_alu instid0(VALU_DEP_1)
	v_add_co_ci_u32_e64 v30, s3, 0, v30, s3
	s_waitcnt vmcnt(4)
	v_subrev_nc_u32_e32 v48, s12, v48
	s_waitcnt vmcnt(3)
	v_cvt_f64_f32_e32 v[56:57], v32
	s_waitcnt vmcnt(2)
	v_cvt_f64_f32_e32 v[58:59], v36
	;; [unrolled: 2-line block ×4, first 2 shown]
	v_lshlrev_b32_e32 v48, 2, v48
	v_cvt_f64_f32_e32 v[32:33], v33
	v_cvt_f64_f32_e32 v[36:37], v37
	v_cvt_f64_f32_e32 v[40:41], v41
	v_cvt_f64_f32_e32 v[44:45], v45
	v_ashrrev_i32_e32 v49, 31, v48
	s_delay_alu instid0(VALU_DEP_1) | instskip(SKIP_1) | instid1(VALU_DEP_1)
	v_lshlrev_b64 v[48:49], 3, v[48:49]
	s_waitcnt lgkmcnt(0)
	v_add_co_u32 v52, vcc_lo, s4, v48
	s_delay_alu instid0(VALU_DEP_2)
	v_add_co_ci_u32_e32 v53, vcc_lo, s5, v49, vcc_lo
	v_add_co_u32 v23, vcc_lo, 0x200, v23
	v_add_co_ci_u32_e32 v24, vcc_lo, 0, v24, vcc_lo
	s_clause 0x1
	global_load_b128 v[48:51], v[52:53], off
	global_load_b128 v[52:55], v[52:53], off offset:16
	v_add_co_u32 v27, vcc_lo, v27, -16
	v_add_co_ci_u32_e32 v28, vcc_lo, -1, v28, vcc_lo
	v_add_co_u32 v21, vcc_lo, v21, 8
	v_add_co_ci_u32_e32 v22, vcc_lo, 0, v22, vcc_lo
	s_delay_alu instid0(VALU_DEP_3)
	v_cmp_eq_u64_e32 vcc_lo, 0, v[27:28]
	s_or_b32 s10, vcc_lo, s10
	s_waitcnt vmcnt(1)
	v_fma_f64 v[13:14], v[56:57], v[48:49], v[13:14]
	v_fma_f64 v[17:18], v[58:59], v[48:49], v[17:18]
	v_fma_f64 v[15:16], v[60:61], v[48:49], v[15:16]
	v_fma_f64 v[11:12], v[62:63], v[48:49], v[11:12]
	v_cvt_f64_f32_e32 v[48:49], v34
	v_cvt_f64_f32_e32 v[56:57], v38
	;; [unrolled: 1-line block ×4, first 2 shown]
	v_fma_f64 v[13:14], v[32:33], v[50:51], v[13:14]
	v_fma_f64 v[17:18], v[36:37], v[50:51], v[17:18]
	;; [unrolled: 1-line block ×4, first 2 shown]
	v_cvt_f64_f32_e32 v[32:33], v35
	v_cvt_f64_f32_e32 v[34:35], v39
	;; [unrolled: 1-line block ×4, first 2 shown]
	s_waitcnt vmcnt(0)
	v_fma_f64 v[13:14], v[48:49], v[52:53], v[13:14]
	v_fma_f64 v[17:18], v[56:57], v[52:53], v[17:18]
	;; [unrolled: 1-line block ×4, first 2 shown]
	s_delay_alu instid0(VALU_DEP_4) | instskip(NEXT) | instid1(VALU_DEP_4)
	v_fma_f64 v[13:14], v[32:33], v[54:55], v[13:14]
	v_fma_f64 v[17:18], v[34:35], v[54:55], v[17:18]
	s_delay_alu instid0(VALU_DEP_4) | instskip(NEXT) | instid1(VALU_DEP_4)
	v_fma_f64 v[15:16], v[36:37], v[54:55], v[15:16]
	v_fma_f64 v[11:12], v[38:39], v[54:55], v[11:12]
	s_and_not1_b32 exec_lo, exec_lo, s10
	s_cbranch_execnz .LBB156_17
; %bb.18:
	s_or_b32 exec_lo, exec_lo, s10
.LBB156_19:
	s_delay_alu instid0(SALU_CYCLE_1) | instskip(NEXT) | instid1(SALU_CYCLE_1)
	s_or_b32 exec_lo, exec_lo, s7
	s_mov_b32 s7, exec_lo
	v_cmpx_lt_u64_e32 23, v[25:26]
	s_cbranch_execz .LBB156_23
; %bb.20:
	v_lshlrev_b64 v[25:26], 2, v[21:22]
	s_mov_b32 s10, 0
	s_delay_alu instid0(VALU_DEP_1) | instskip(NEXT) | instid1(VALU_DEP_2)
	v_add_co_u32 v25, vcc_lo, v25, s8
	v_add_co_ci_u32_e32 v26, vcc_lo, s9, v26, vcc_lo
	s_delay_alu instid0(VALU_DEP_2) | instskip(NEXT) | instid1(VALU_DEP_2)
	v_add_co_u32 v25, vcc_lo, v25, 64
	v_add_co_ci_u32_e32 v26, vcc_lo, 0, v26, vcc_lo
.LBB156_21:                             ; =>This Inner Loop Header: Depth=1
	s_clause 0x2
	global_load_b32 v44, v[25:26], off offset:-64
	global_load_b32 v68, v[25:26], off offset:-32
	global_load_b32 v92, v[25:26], off
	s_clause 0x3
	global_load_b128 v[27:30], v[23:24], off
	global_load_b128 v[32:35], v[23:24], off offset:16
	global_load_b128 v[36:39], v[23:24], off offset:32
	;; [unrolled: 1-line block ×3, first 2 shown]
	global_load_b32 v106, v[25:26], off offset:32
	v_add_co_u32 v25, s3, 0x80, v25
	s_delay_alu instid0(VALU_DEP_1)
	v_add_co_ci_u32_e64 v26, s3, 0, v26, s3
	s_waitcnt vmcnt(7)
	v_subrev_nc_u32_e32 v44, s12, v44
	s_waitcnt vmcnt(6)
	v_subrev_nc_u32_e32 v68, s12, v68
	;; [unrolled: 2-line block ×3, first 2 shown]
	s_waitcnt vmcnt(4)
	v_cvt_f64_f32_e32 v[96:97], v27
	s_waitcnt vmcnt(3)
	v_cvt_f64_f32_e32 v[98:99], v32
	v_lshlrev_b32_e32 v44, 2, v44
	v_lshlrev_b32_e32 v68, 2, v68
	;; [unrolled: 1-line block ×3, first 2 shown]
	s_waitcnt vmcnt(2)
	v_cvt_f64_f32_e32 v[100:101], v36
	s_waitcnt vmcnt(1)
	v_cvt_f64_f32_e32 v[102:103], v40
	v_ashrrev_i32_e32 v45, 31, v44
	v_ashrrev_i32_e32 v69, 31, v68
	;; [unrolled: 1-line block ×3, first 2 shown]
	v_cvt_f64_f32_e32 v[27:28], v28
	v_cvt_f64_f32_e32 v[32:33], v33
	v_lshlrev_b64 v[44:45], 3, v[44:45]
	v_lshlrev_b64 v[68:69], 3, v[68:69]
	;; [unrolled: 1-line block ×3, first 2 shown]
	v_cvt_f64_f32_e32 v[36:37], v37
	v_cvt_f64_f32_e32 v[40:41], v41
	s_waitcnt vmcnt(0)
	v_subrev_nc_u32_e32 v110, s12, v106
	s_waitcnt lgkmcnt(0)
	v_add_co_u32 v48, vcc_lo, s4, v44
	v_add_co_ci_u32_e32 v49, vcc_lo, s5, v45, vcc_lo
	v_add_co_u32 v72, vcc_lo, s4, v68
	v_add_co_ci_u32_e32 v73, vcc_lo, s5, v69, vcc_lo
	s_clause 0x1
	global_load_b128 v[44:47], v[48:49], off
	global_load_b128 v[48:51], v[48:49], off offset:16
	s_clause 0x3
	global_load_b128 v[52:55], v[23:24], off offset:512
	global_load_b128 v[56:59], v[23:24], off offset:528
	;; [unrolled: 1-line block ×4, first 2 shown]
	v_add_co_u32 v104, vcc_lo, s4, v92
	s_clause 0x1
	global_load_b128 v[68:71], v[72:73], off
	global_load_b128 v[72:75], v[72:73], off offset:16
	s_clause 0x3
	global_load_b128 v[76:79], v[23:24], off offset:1024
	global_load_b128 v[80:83], v[23:24], off offset:1040
	;; [unrolled: 1-line block ×4, first 2 shown]
	v_add_co_ci_u32_e32 v105, vcc_lo, s5, v93, vcc_lo
	v_lshlrev_b32_e32 v110, 2, v110
	global_load_b128 v[92:95], v[104:105], off
	v_ashrrev_i32_e32 v111, 31, v110
	s_waitcnt vmcnt(12)
	v_fma_f64 v[13:14], v[96:97], v[44:45], v[13:14]
	v_fma_f64 v[17:18], v[98:99], v[44:45], v[17:18]
	;; [unrolled: 1-line block ×4, first 2 shown]
	v_cvt_f64_f32_e32 v[44:45], v29
	v_cvt_f64_f32_e32 v[96:97], v34
	;; [unrolled: 1-line block ×6, first 2 shown]
	s_waitcnt vmcnt(8)
	v_cvt_f64_f32_e32 v[106:107], v60
	s_waitcnt vmcnt(7)
	v_cvt_f64_f32_e32 v[108:109], v64
	v_cvt_f64_f32_e32 v[60:61], v61
	v_cvt_f64_f32_e32 v[64:65], v65
	v_fma_f64 v[27:28], v[27:28], v[46:47], v[13:14]
	v_fma_f64 v[17:18], v[32:33], v[46:47], v[17:18]
	;; [unrolled: 1-line block ×4, first 2 shown]
	global_load_b128 v[11:14], v[104:105], off offset:16
	v_cvt_f64_f32_e32 v[40:41], v30
	v_cvt_f64_f32_e32 v[46:47], v35
	v_cvt_f64_f32_e32 v[104:105], v56
	v_cvt_f64_f32_e32 v[56:57], v57
	v_fma_f64 v[44:45], v[44:45], v[48:49], v[27:28]
	v_fma_f64 v[96:97], v[96:97], v[48:49], v[17:18]
	;; [unrolled: 1-line block ×4, first 2 shown]
	s_clause 0x3
	global_load_b128 v[15:18], v[23:24], off offset:1536
	global_load_b128 v[27:30], v[23:24], off offset:1552
	;; [unrolled: 1-line block ×4, first 2 shown]
	v_cvt_f64_f32_e32 v[100:101], v52
	v_cvt_f64_f32_e32 v[52:53], v53
	v_fma_f64 v[44:45], v[40:41], v[50:51], v[44:45]
	v_fma_f64 v[46:47], v[46:47], v[50:51], v[96:97]
	;; [unrolled: 1-line block ×4, first 2 shown]
	v_lshlrev_b64 v[40:41], 3, v[110:111]
	v_cvt_f64_f32_e32 v[98:99], v58
	v_cvt_f64_f32_e32 v[102:103], v66
	s_delay_alu instid0(VALU_DEP_3) | instskip(NEXT) | instid1(VALU_DEP_4)
	v_add_co_u32 v50, vcc_lo, s4, v40
	v_add_co_ci_u32_e32 v51, vcc_lo, s5, v41, vcc_lo
	v_add_co_u32 v21, vcc_lo, v21, 32
	v_add_co_ci_u32_e32 v22, vcc_lo, 0, v22, vcc_lo
	global_load_b128 v[40:43], v[50:51], off
	v_add_co_u32 v23, vcc_lo, 0x800, v23
	v_add_co_ci_u32_e32 v24, vcc_lo, 0, v24, vcc_lo
	v_cmp_ge_i64_e32 vcc_lo, v[21:22], v[4:5]
	s_or_b32 s10, vcc_lo, s10
	s_waitcnt vmcnt(12)
	v_fma_f64 v[44:45], v[100:101], v[68:69], v[44:45]
	v_fma_f64 v[46:47], v[104:105], v[68:69], v[46:47]
	;; [unrolled: 1-line block ×4, first 2 shown]
	v_cvt_f64_f32_e32 v[68:69], v54
	v_cvt_f64_f32_e32 v[100:101], v62
	v_fma_f64 v[52:53], v[52:53], v[70:71], v[44:45]
	v_fma_f64 v[56:57], v[56:57], v[70:71], v[46:47]
	global_load_b128 v[44:47], v[50:51], off offset:16
	v_fma_f64 v[60:61], v[60:61], v[70:71], v[96:97]
	v_fma_f64 v[48:49], v[64:65], v[70:71], v[48:49]
	v_cvt_f64_f32_e32 v[50:51], v55
	v_cvt_f64_f32_e32 v[54:55], v59
	;; [unrolled: 1-line block ×4, first 2 shown]
	s_waitcnt vmcnt(11)
	v_cvt_f64_f32_e32 v[64:65], v76
	s_waitcnt vmcnt(10)
	v_cvt_f64_f32_e32 v[66:67], v80
	;; [unrolled: 2-line block ×3, first 2 shown]
	v_fma_f64 v[52:53], v[68:69], v[72:73], v[52:53]
	v_fma_f64 v[56:57], v[98:99], v[72:73], v[56:57]
	v_cvt_f64_f32_e32 v[68:69], v84
	v_fma_f64 v[60:61], v[100:101], v[72:73], v[60:61]
	v_fma_f64 v[48:49], v[102:103], v[72:73], v[48:49]
	;; [unrolled: 1-line block ×4, first 2 shown]
	v_cvt_f64_f32_e32 v[56:57], v77
	v_fma_f64 v[54:55], v[58:59], v[74:75], v[60:61]
	v_fma_f64 v[48:49], v[62:63], v[74:75], v[48:49]
	v_cvt_f64_f32_e32 v[58:59], v81
	v_cvt_f64_f32_e32 v[60:61], v85
	;; [unrolled: 1-line block ×3, first 2 shown]
	s_waitcnt vmcnt(7)
	v_fma_f64 v[50:51], v[64:65], v[92:93], v[50:51]
	v_fma_f64 v[52:53], v[66:67], v[92:93], v[52:53]
	v_cvt_f64_f32_e32 v[64:65], v78
	v_fma_f64 v[54:55], v[68:69], v[92:93], v[54:55]
	v_fma_f64 v[48:49], v[70:71], v[92:93], v[48:49]
	v_cvt_f64_f32_e32 v[66:67], v82
	v_cvt_f64_f32_e32 v[68:69], v86
	;; [unrolled: 1-line block ×3, first 2 shown]
	v_fma_f64 v[50:51], v[56:57], v[94:95], v[50:51]
	v_fma_f64 v[52:53], v[58:59], v[94:95], v[52:53]
	v_cvt_f64_f32_e32 v[56:57], v79
	v_fma_f64 v[54:55], v[60:61], v[94:95], v[54:55]
	v_fma_f64 v[48:49], v[62:63], v[94:95], v[48:49]
	v_cvt_f64_f32_e32 v[58:59], v83
	v_cvt_f64_f32_e32 v[60:61], v87
	;; [unrolled: 1-line block ×3, first 2 shown]
	s_waitcnt vmcnt(6)
	v_fma_f64 v[50:51], v[64:65], v[11:12], v[50:51]
	v_fma_f64 v[52:53], v[66:67], v[11:12], v[52:53]
	;; [unrolled: 1-line block ×4, first 2 shown]
	s_waitcnt vmcnt(5)
	v_cvt_f64_f32_e32 v[48:49], v15
	s_waitcnt vmcnt(4)
	v_cvt_f64_f32_e32 v[64:65], v27
	;; [unrolled: 2-line block ×4, first 2 shown]
	v_fma_f64 v[50:51], v[56:57], v[13:14], v[50:51]
	v_fma_f64 v[52:53], v[58:59], v[13:14], v[52:53]
	v_cvt_f64_f32_e32 v[56:57], v38
	v_fma_f64 v[54:55], v[60:61], v[13:14], v[54:55]
	v_fma_f64 v[11:12], v[62:63], v[13:14], v[11:12]
	v_cvt_f64_f32_e32 v[13:14], v16
	v_cvt_f64_f32_e32 v[15:16], v28
	;; [unrolled: 1-line block ×4, first 2 shown]
	s_waitcnt vmcnt(1)
	v_fma_f64 v[36:37], v[48:49], v[40:41], v[50:51]
	v_fma_f64 v[48:49], v[64:65], v[40:41], v[52:53]
	v_cvt_f64_f32_e32 v[52:53], v29
	v_fma_f64 v[50:51], v[66:67], v[40:41], v[54:55]
	v_fma_f64 v[11:12], v[68:69], v[40:41], v[11:12]
	v_cvt_f64_f32_e32 v[40:41], v17
	v_cvt_f64_f32_e32 v[54:55], v34
	;; [unrolled: 1-line block ×4, first 2 shown]
	v_fma_f64 v[13:14], v[13:14], v[42:43], v[36:37]
	v_fma_f64 v[15:16], v[15:16], v[42:43], v[48:49]
	;; [unrolled: 1-line block ×4, first 2 shown]
	v_cvt_f64_f32_e32 v[32:33], v35
	v_cvt_f64_f32_e32 v[34:35], v39
	s_waitcnt vmcnt(0)
	v_fma_f64 v[13:14], v[40:41], v[44:45], v[13:14]
	v_fma_f64 v[15:16], v[52:53], v[44:45], v[15:16]
	;; [unrolled: 1-line block ×4, first 2 shown]
	s_delay_alu instid0(VALU_DEP_4) | instskip(NEXT) | instid1(VALU_DEP_4)
	v_fma_f64 v[13:14], v[17:18], v[46:47], v[13:14]
	v_fma_f64 v[17:18], v[29:30], v[46:47], v[15:16]
	s_delay_alu instid0(VALU_DEP_4) | instskip(NEXT) | instid1(VALU_DEP_4)
	v_fma_f64 v[15:16], v[32:33], v[46:47], v[27:28]
	v_fma_f64 v[11:12], v[34:35], v[46:47], v[11:12]
	s_and_not1_b32 exec_lo, exec_lo, s10
	s_cbranch_execnz .LBB156_21
; %bb.22:
	s_or_b32 exec_lo, exec_lo, s10
.LBB156_23:
	s_delay_alu instid0(SALU_CYCLE_1)
	s_or_b32 exec_lo, exec_lo, s7
.LBB156_24:
	s_delay_alu instid0(SALU_CYCLE_1)
	s_or_b32 exec_lo, exec_lo, s6
	s_cbranch_execz .LBB156_26
	s_branch .LBB156_37
.LBB156_25:
                                        ; implicit-def: $vgpr11_vgpr12
                                        ; implicit-def: $vgpr15_vgpr16
                                        ; implicit-def: $vgpr17_vgpr18
                                        ; implicit-def: $vgpr13_vgpr14
.LBB156_26:
	v_mov_b32_e32 v11, 0
	v_mov_b32_e32 v12, 0
	s_delay_alu instid0(VALU_DEP_1)
	v_dual_mov_b32 v16, v12 :: v_dual_mov_b32 v15, v11
	v_dual_mov_b32 v18, v12 :: v_dual_mov_b32 v17, v11
	;; [unrolled: 1-line block ×3, first 2 shown]
	s_and_saveexec_b32 s3, s2
	s_cbranch_execz .LBB156_36
; %bb.27:
	v_or_b32_e32 v11, 8, v31
	v_not_b32_e32 v14, v19
	v_not_b32_e32 v13, v20
	s_mov_b32 s7, 0
	s_mov_b32 s6, exec_lo
	v_sub_co_u32 v11, s2, v11, s12
	s_delay_alu instid0(VALU_DEP_1) | instskip(SKIP_1) | instid1(VALU_DEP_3)
	v_sub_co_ci_u32_e64 v12, null, 0, 0, s2
	v_sub_co_u32 v15, s2, s12, v31
	v_add_co_u32 v11, vcc_lo, v11, v19
	s_delay_alu instid0(VALU_DEP_3) | instskip(SKIP_1) | instid1(VALU_DEP_2)
	v_add_co_ci_u32_e32 v12, vcc_lo, v12, v20, vcc_lo
	v_sub_co_ci_u32_e64 v16, null, 0, 0, s2
	v_cmp_gt_i64_e32 vcc_lo, v[11:12], v[4:5]
	v_dual_cndmask_b32 v12, v5, v12 :: v_dual_cndmask_b32 v11, v4, v11
	v_add_co_u32 v14, vcc_lo, v15, v14
	s_delay_alu instid0(VALU_DEP_4) | instskip(NEXT) | instid1(VALU_DEP_2)
	v_add_co_ci_u32_e32 v13, vcc_lo, v16, v13, vcc_lo
	v_add_co_u32 v19, vcc_lo, v14, v11
	s_delay_alu instid0(VALU_DEP_2) | instskip(SKIP_1) | instid1(VALU_DEP_3)
	v_add_co_ci_u32_e32 v20, vcc_lo, v13, v12, vcc_lo
	v_mov_b32_e32 v13, 0
	v_lshrrev_b32_e32 v11, 3, v19
	s_delay_alu instid0(VALU_DEP_1) | instskip(NEXT) | instid1(VALU_DEP_1)
	v_dual_mov_b32 v14, 0 :: v_dual_add_nc_u32 v11, 1, v11
	v_dual_mov_b32 v18, v14 :: v_dual_mov_b32 v17, v13
	v_dual_mov_b32 v16, v14 :: v_dual_mov_b32 v15, v13
	s_delay_alu instid0(VALU_DEP_3) | instskip(SKIP_1) | instid1(VALU_DEP_2)
	v_and_b32_e32 v21, 3, v11
	v_dual_mov_b32 v11, v13 :: v_dual_mov_b32 v12, v14
	v_cmpx_ne_u32_e32 0, v21
	s_cbranch_execz .LBB156_31
; %bb.28:
	v_lshlrev_b64 v[13:14], 2, v[0:1]
	v_dual_mov_b32 v22, 0 :: v_dual_mov_b32 v11, 0
	v_dual_mov_b32 v12, 0 :: v_dual_lshlrev_b32 v21, 4, v21
	s_delay_alu instid0(VALU_DEP_3) | instskip(NEXT) | instid1(VALU_DEP_4)
	v_add_co_u32 v23, vcc_lo, s8, v13
	v_add_co_ci_u32_e32 v24, vcc_lo, s9, v14, vcc_lo
	s_delay_alu instid0(VALU_DEP_3)
	v_dual_mov_b32 v16, v12 :: v_dual_mov_b32 v15, v11
	v_dual_mov_b32 v18, v12 :: v_dual_mov_b32 v17, v11
	;; [unrolled: 1-line block ×3, first 2 shown]
.LBB156_29:                             ; =>This Inner Loop Header: Depth=1
	global_load_b32 v29, v[23:24], off
	s_clause 0x1
	global_load_b128 v[25:28], v[6:7], off
	global_load_b128 v[32:35], v[6:7], off offset:16
	v_add_co_u32 v23, s2, v23, 32
	s_delay_alu instid0(VALU_DEP_1)
	v_add_co_ci_u32_e64 v24, s2, 0, v24, s2
	s_waitcnt vmcnt(2)
	v_subrev_nc_u32_e32 v29, s12, v29
	s_waitcnt vmcnt(1)
	v_cvt_f64_f32_e32 v[52:53], v27
	v_cvt_f64_f32_e32 v[27:28], v28
	s_waitcnt vmcnt(0)
	v_cvt_f64_f32_e32 v[54:55], v32
	v_cvt_f64_f32_e32 v[32:33], v33
	v_lshlrev_b32_e32 v29, 2, v29
	v_cvt_f64_f32_e32 v[56:57], v34
	v_cvt_f64_f32_e32 v[34:35], v35
	s_delay_alu instid0(VALU_DEP_3) | instskip(NEXT) | instid1(VALU_DEP_1)
	v_ashrrev_i32_e32 v30, 31, v29
	v_lshlrev_b64 v[29:30], 3, v[29:30]
	s_waitcnt lgkmcnt(0)
	s_delay_alu instid0(VALU_DEP_1) | instskip(NEXT) | instid1(VALU_DEP_2)
	v_add_co_u32 v29, vcc_lo, s4, v29
	v_add_co_ci_u32_e32 v30, vcc_lo, s5, v30, vcc_lo
	s_clause 0x1
	global_load_b128 v[36:39], v[29:30], off
	global_load_b128 v[40:43], v[29:30], off offset:16
	s_clause 0x1
	global_load_b128 v[44:47], v[6:7], off offset:32
	global_load_b128 v[48:51], v[6:7], off offset:48
	v_cvt_f64_f32_e32 v[29:30], v25
	v_cvt_f64_f32_e32 v[25:26], v26
	v_add_co_u32 v6, vcc_lo, 0x200, v6
	v_add_co_ci_u32_e32 v7, vcc_lo, 0, v7, vcc_lo
	v_add_co_u32 v21, vcc_lo, v21, -16
	v_add_co_ci_u32_e32 v22, vcc_lo, -1, v22, vcc_lo
	v_add_co_u32 v0, vcc_lo, v0, 8
	v_add_co_ci_u32_e32 v1, vcc_lo, 0, v1, vcc_lo
	s_delay_alu instid0(VALU_DEP_3)
	v_cmp_eq_u64_e32 vcc_lo, 0, v[21:22]
	s_or_b32 s7, vcc_lo, s7
	s_waitcnt vmcnt(3)
	v_fma_f64 v[13:14], v[29:30], v[36:37], v[13:14]
	v_fma_f64 v[17:18], v[25:26], v[36:37], v[17:18]
	v_fma_f64 v[15:16], v[52:53], v[36:37], v[15:16]
	v_fma_f64 v[11:12], v[27:28], v[36:37], v[11:12]
	s_waitcnt vmcnt(1)
	v_cvt_f64_f32_e32 v[25:26], v44
	v_cvt_f64_f32_e32 v[27:28], v45
	;; [unrolled: 1-line block ×4, first 2 shown]
	s_waitcnt vmcnt(0)
	v_cvt_f64_f32_e32 v[44:45], v51
	v_fma_f64 v[13:14], v[54:55], v[38:39], v[13:14]
	v_fma_f64 v[17:18], v[32:33], v[38:39], v[17:18]
	;; [unrolled: 1-line block ×4, first 2 shown]
	v_cvt_f64_f32_e32 v[32:33], v48
	v_cvt_f64_f32_e32 v[34:35], v49
	;; [unrolled: 1-line block ×3, first 2 shown]
	v_fma_f64 v[13:14], v[25:26], v[40:41], v[13:14]
	v_fma_f64 v[17:18], v[27:28], v[40:41], v[17:18]
	;; [unrolled: 1-line block ×4, first 2 shown]
	s_delay_alu instid0(VALU_DEP_4) | instskip(NEXT) | instid1(VALU_DEP_4)
	v_fma_f64 v[13:14], v[32:33], v[42:43], v[13:14]
	v_fma_f64 v[17:18], v[34:35], v[42:43], v[17:18]
	s_delay_alu instid0(VALU_DEP_4) | instskip(NEXT) | instid1(VALU_DEP_4)
	v_fma_f64 v[15:16], v[38:39], v[42:43], v[15:16]
	v_fma_f64 v[11:12], v[44:45], v[42:43], v[11:12]
	s_and_not1_b32 exec_lo, exec_lo, s7
	s_cbranch_execnz .LBB156_29
; %bb.30:
	s_or_b32 exec_lo, exec_lo, s7
.LBB156_31:
	s_delay_alu instid0(SALU_CYCLE_1) | instskip(NEXT) | instid1(SALU_CYCLE_1)
	s_or_b32 exec_lo, exec_lo, s6
	s_mov_b32 s6, exec_lo
	v_cmpx_lt_u64_e32 23, v[19:20]
	s_cbranch_execz .LBB156_35
; %bb.32:
	v_lshlrev_b64 v[19:20], 2, v[0:1]
	s_mov_b32 s7, 0
	s_delay_alu instid0(VALU_DEP_1) | instskip(NEXT) | instid1(VALU_DEP_2)
	v_add_co_u32 v19, vcc_lo, v19, s8
	v_add_co_ci_u32_e32 v20, vcc_lo, s9, v20, vcc_lo
	s_delay_alu instid0(VALU_DEP_2) | instskip(NEXT) | instid1(VALU_DEP_2)
	v_add_co_u32 v19, vcc_lo, v19, 64
	v_add_co_ci_u32_e32 v20, vcc_lo, 0, v20, vcc_lo
.LBB156_33:                             ; =>This Inner Loop Header: Depth=1
	s_clause 0x2
	global_load_b32 v25, v[19:20], off offset:-64
	global_load_b32 v52, v[19:20], off offset:-32
	global_load_b32 v76, v[19:20], off
	global_load_b128 v[21:24], v[6:7], off
	global_load_b32 v92, v[19:20], off offset:32
	v_add_co_u32 v19, s2, 0x80, v19
	s_delay_alu instid0(VALU_DEP_1)
	v_add_co_ci_u32_e64 v20, s2, 0, v20, s2
	s_waitcnt vmcnt(4)
	v_subrev_nc_u32_e32 v25, s12, v25
	s_waitcnt vmcnt(2)
	v_subrev_nc_u32_e32 v76, s12, v76
	s_waitcnt vmcnt(1)
	v_cvt_f64_f32_e32 v[80:81], v22
	v_cvt_f64_f32_e32 v[82:83], v23
	v_lshlrev_b32_e32 v25, 2, v25
	v_cvt_f64_f32_e32 v[84:85], v24
	s_delay_alu instid0(VALU_DEP_2) | instskip(NEXT) | instid1(VALU_DEP_1)
	v_ashrrev_i32_e32 v26, 31, v25
	v_lshlrev_b64 v[25:26], 3, v[25:26]
	s_waitcnt lgkmcnt(0)
	s_delay_alu instid0(VALU_DEP_1) | instskip(NEXT) | instid1(VALU_DEP_2)
	v_add_co_u32 v29, vcc_lo, s4, v25
	v_add_co_ci_u32_e32 v30, vcc_lo, s5, v26, vcc_lo
	global_load_b128 v[25:28], v[6:7], off offset:16
	global_load_b128 v[32:35], v[29:30], off
	s_clause 0x1
	global_load_b128 v[36:39], v[6:7], off offset:32
	global_load_b128 v[40:43], v[6:7], off offset:48
	;; [unrolled: 1-line block ×4, first 2 shown]
	v_subrev_nc_u32_e32 v29, s12, v52
	s_delay_alu instid0(VALU_DEP_1) | instskip(NEXT) | instid1(VALU_DEP_1)
	v_lshlrev_b32_e32 v29, 2, v29
	v_ashrrev_i32_e32 v30, 31, v29
	s_delay_alu instid0(VALU_DEP_1) | instskip(NEXT) | instid1(VALU_DEP_1)
	v_lshlrev_b64 v[29:30], 3, v[29:30]
	v_add_co_u32 v29, vcc_lo, s4, v29
	s_delay_alu instid0(VALU_DEP_2)
	v_add_co_ci_u32_e32 v30, vcc_lo, s5, v30, vcc_lo
	global_load_b128 v[52:55], v[6:7], off offset:528
	global_load_b128 v[56:59], v[29:30], off
	s_clause 0x1
	global_load_b128 v[60:63], v[6:7], off offset:544
	global_load_b128 v[64:67], v[6:7], off offset:560
	;; [unrolled: 1-line block ×4, first 2 shown]
	v_cvt_f64_f32_e32 v[29:30], v21
	v_lshlrev_b32_e32 v21, 2, v76
	s_delay_alu instid0(VALU_DEP_1) | instskip(NEXT) | instid1(VALU_DEP_1)
	v_ashrrev_i32_e32 v22, 31, v21
	v_lshlrev_b64 v[21:22], 3, v[21:22]
	s_delay_alu instid0(VALU_DEP_1) | instskip(NEXT) | instid1(VALU_DEP_2)
	v_add_co_u32 v86, vcc_lo, s4, v21
	v_add_co_ci_u32_e32 v87, vcc_lo, s5, v22, vcc_lo
	global_load_b128 v[21:24], v[6:7], off offset:1040
	global_load_b128 v[76:79], v[86:87], off
	s_waitcnt vmcnt(13)
	v_cvt_f64_f32_e32 v[88:89], v25
	v_cvt_f64_f32_e32 v[25:26], v26
	;; [unrolled: 1-line block ×4, first 2 shown]
	s_waitcnt vmcnt(12)
	v_fma_f64 v[29:30], v[29:30], v[32:33], v[13:14]
	v_fma_f64 v[17:18], v[80:81], v[32:33], v[17:18]
	;; [unrolled: 1-line block ×4, first 2 shown]
	global_load_b128 v[11:14], v[6:7], off offset:1056
	s_waitcnt vmcnt(12)
	v_cvt_f64_f32_e32 v[80:81], v36
	v_cvt_f64_f32_e32 v[36:37], v37
	;; [unrolled: 1-line block ×4, first 2 shown]
	v_fma_f64 v[29:30], v[88:89], v[34:35], v[29:30]
	v_fma_f64 v[84:85], v[25:26], v[34:35], v[17:18]
	;; [unrolled: 1-line block ×4, first 2 shown]
	global_load_b128 v[15:18], v[6:7], off offset:1072
	global_load_b128 v[25:28], v[86:87], off offset:16
	s_waitcnt vmcnt(13)
	v_cvt_f64_f32_e32 v[86:87], v40
	v_cvt_f64_f32_e32 v[40:41], v41
	;; [unrolled: 1-line block ×4, first 2 shown]
	s_waitcnt vmcnt(12)
	v_fma_f64 v[29:30], v[80:81], v[44:45], v[29:30]
	v_fma_f64 v[36:37], v[36:37], v[44:45], v[84:85]
	;; [unrolled: 1-line block ×4, first 2 shown]
	global_load_b128 v[32:35], v[6:7], off offset:1536
	v_subrev_nc_u32_e32 v84, s12, v92
	s_waitcnt vmcnt(12)
	v_cvt_f64_f32_e32 v[44:45], v48
	v_cvt_f64_f32_e32 v[48:49], v49
	;; [unrolled: 1-line block ×4, first 2 shown]
	v_lshlrev_b32_e32 v84, 2, v84
	s_waitcnt vmcnt(11)
	v_cvt_f64_f32_e32 v[88:89], v52
	v_cvt_f64_f32_e32 v[52:53], v53
	s_delay_alu instid0(VALU_DEP_3)
	v_ashrrev_i32_e32 v85, 31, v84
	v_fma_f64 v[29:30], v[86:87], v[46:47], v[29:30]
	v_fma_f64 v[86:87], v[40:41], v[46:47], v[36:37]
	v_fma_f64 v[80:81], v[90:91], v[46:47], v[80:81]
	v_fma_f64 v[46:47], v[42:43], v[46:47], v[38:39]
	v_lshlrev_b64 v[36:37], 3, v[84:85]
	v_cvt_f64_f32_e32 v[90:91], v54
	v_cvt_f64_f32_e32 v[54:55], v55
	s_delay_alu instid0(VALU_DEP_3) | instskip(NEXT) | instid1(VALU_DEP_4)
	v_add_co_u32 v84, vcc_lo, s4, v36
	v_add_co_ci_u32_e32 v85, vcc_lo, s5, v37, vcc_lo
	global_load_b128 v[36:39], v[6:7], off offset:1552
	global_load_b128 v[40:43], v[84:85], off
	v_add_co_u32 v0, vcc_lo, v0, 32
	v_add_co_ci_u32_e32 v1, vcc_lo, 0, v1, vcc_lo
	s_waitcnt vmcnt(12)
	v_fma_f64 v[29:30], v[44:45], v[56:57], v[29:30]
	v_fma_f64 v[48:49], v[48:49], v[56:57], v[86:87]
	;; [unrolled: 1-line block ×4, first 2 shown]
	global_load_b128 v[44:47], v[6:7], off offset:1568
	s_waitcnt vmcnt(12)
	v_cvt_f64_f32_e32 v[56:57], v60
	v_cvt_f64_f32_e32 v[60:61], v61
	;; [unrolled: 1-line block ×4, first 2 shown]
	v_fma_f64 v[29:30], v[88:89], v[58:59], v[29:30]
	v_fma_f64 v[86:87], v[52:53], v[58:59], v[48:49]
	;; [unrolled: 1-line block ×4, first 2 shown]
	global_load_b128 v[48:51], v[6:7], off offset:1584
	global_load_b128 v[52:55], v[84:85], off offset:16
	s_waitcnt vmcnt(13)
	v_cvt_f64_f32_e32 v[84:85], v64
	v_cvt_f64_f32_e32 v[64:65], v65
	;; [unrolled: 1-line block ×4, first 2 shown]
	v_add_co_u32 v6, vcc_lo, 0x800, v6
	v_add_co_ci_u32_e32 v7, vcc_lo, 0, v7, vcc_lo
	v_cmp_ge_i64_e32 vcc_lo, v[0:1], v[4:5]
	s_or_b32 s7, vcc_lo, s7
	s_waitcnt vmcnt(12)
	v_fma_f64 v[29:30], v[56:57], v[68:69], v[29:30]
	v_fma_f64 v[56:57], v[60:61], v[68:69], v[86:87]
	v_fma_f64 v[60:61], v[82:83], v[68:69], v[80:81]
	v_fma_f64 v[58:59], v[62:63], v[68:69], v[58:59]
	s_waitcnt vmcnt(11)
	v_cvt_f64_f32_e32 v[62:63], v72
	v_cvt_f64_f32_e32 v[68:69], v73
	v_cvt_f64_f32_e32 v[72:73], v74
	v_cvt_f64_f32_e32 v[74:75], v75
	v_fma_f64 v[29:30], v[84:85], v[70:71], v[29:30]
	v_fma_f64 v[56:57], v[64:65], v[70:71], v[56:57]
	v_fma_f64 v[60:61], v[88:89], v[70:71], v[60:61]
	v_fma_f64 v[58:59], v[66:67], v[70:71], v[58:59]
	s_waitcnt vmcnt(10)
	v_cvt_f64_f32_e32 v[64:65], v21
	v_cvt_f64_f32_e32 v[21:22], v22
	v_cvt_f64_f32_e32 v[66:67], v23
	v_cvt_f64_f32_e32 v[23:24], v24
	s_waitcnt vmcnt(9)
	v_fma_f64 v[29:30], v[62:63], v[76:77], v[29:30]
	v_fma_f64 v[56:57], v[68:69], v[76:77], v[56:57]
	v_fma_f64 v[60:61], v[72:73], v[76:77], v[60:61]
	v_fma_f64 v[58:59], v[74:75], v[76:77], v[58:59]
	s_waitcnt vmcnt(8)
	v_cvt_f64_f32_e32 v[62:63], v11
	v_cvt_f64_f32_e32 v[11:12], v12
	v_cvt_f64_f32_e32 v[68:69], v13
	v_cvt_f64_f32_e32 v[13:14], v14
	v_fma_f64 v[29:30], v[64:65], v[78:79], v[29:30]
	v_fma_f64 v[21:22], v[21:22], v[78:79], v[56:57]
	v_fma_f64 v[56:57], v[66:67], v[78:79], v[60:61]
	v_fma_f64 v[23:24], v[23:24], v[78:79], v[58:59]
	s_waitcnt vmcnt(7)
	v_cvt_f64_f32_e32 v[58:59], v15
	v_cvt_f64_f32_e32 v[15:16], v16
	v_cvt_f64_f32_e32 v[60:61], v17
	v_cvt_f64_f32_e32 v[17:18], v18
	;; [unrolled: 19-line block ×4, first 2 shown]
	s_waitcnt vmcnt(0)
	v_fma_f64 v[17:18], v[25:26], v[52:53], v[17:18]
	v_fma_f64 v[11:12], v[29:30], v[52:53], v[11:12]
	;; [unrolled: 1-line block ×4, first 2 shown]
	s_delay_alu instid0(VALU_DEP_4) | instskip(NEXT) | instid1(VALU_DEP_4)
	v_fma_f64 v[13:14], v[21:22], v[54:55], v[17:18]
	v_fma_f64 v[17:18], v[23:24], v[54:55], v[11:12]
	s_delay_alu instid0(VALU_DEP_4) | instskip(NEXT) | instid1(VALU_DEP_4)
	v_fma_f64 v[15:16], v[27:28], v[54:55], v[15:16]
	v_fma_f64 v[11:12], v[36:37], v[54:55], v[25:26]
	s_and_not1_b32 exec_lo, exec_lo, s7
	s_cbranch_execnz .LBB156_33
; %bb.34:
	s_or_b32 exec_lo, exec_lo, s7
.LBB156_35:
	s_delay_alu instid0(SALU_CYCLE_1)
	s_or_b32 exec_lo, exec_lo, s6
.LBB156_36:
	s_delay_alu instid0(SALU_CYCLE_1)
	s_or_b32 exec_lo, exec_lo, s3
.LBB156_37:
	v_mbcnt_lo_u32_b32 v23, -1, 0
	s_delay_alu instid0(VALU_DEP_1) | instskip(NEXT) | instid1(VALU_DEP_1)
	v_xor_b32_e32 v0, 4, v23
	v_cmp_gt_i32_e32 vcc_lo, 32, v0
	v_cndmask_b32_e32 v0, v23, v0, vcc_lo
	s_delay_alu instid0(VALU_DEP_1)
	v_lshlrev_b32_e32 v20, 2, v0
	ds_bpermute_b32 v0, v20, v13
	ds_bpermute_b32 v1, v20, v14
	;; [unrolled: 1-line block ×8, first 2 shown]
	s_waitcnt lgkmcnt(0)
	v_add_f64 v[0:1], v[13:14], v[0:1]
	v_add_f64 v[4:5], v[17:18], v[4:5]
	;; [unrolled: 1-line block ×3, first 2 shown]
	v_xor_b32_e32 v6, 2, v23
	v_add_f64 v[15:16], v[11:12], v[19:20]
	s_delay_alu instid0(VALU_DEP_2) | instskip(SKIP_1) | instid1(VALU_DEP_1)
	v_cmp_gt_i32_e32 vcc_lo, 32, v6
	v_cndmask_b32_e32 v6, v23, v6, vcc_lo
	v_lshlrev_b32_e32 v11, 2, v6
	ds_bpermute_b32 v6, v11, v0
	ds_bpermute_b32 v7, v11, v1
	ds_bpermute_b32 v17, v11, v4
	ds_bpermute_b32 v18, v11, v5
	ds_bpermute_b32 v19, v11, v13
	ds_bpermute_b32 v20, v11, v14
	ds_bpermute_b32 v21, v11, v15
	ds_bpermute_b32 v22, v11, v16
	s_waitcnt lgkmcnt(6)
	v_add_f64 v[11:12], v[0:1], v[6:7]
	s_waitcnt lgkmcnt(4)
	v_add_f64 v[6:7], v[4:5], v[17:18]
	;; [unrolled: 2-line block ×3, first 2 shown]
	v_xor_b32_e32 v13, 1, v23
	s_waitcnt lgkmcnt(0)
	v_add_f64 v[4:5], v[15:16], v[21:22]
	s_delay_alu instid0(VALU_DEP_2) | instskip(SKIP_2) | instid1(VALU_DEP_2)
	v_cmp_gt_i32_e32 vcc_lo, 32, v13
	v_cndmask_b32_e32 v13, v23, v13, vcc_lo
	v_cmp_eq_u32_e32 vcc_lo, 7, v31
	v_lshlrev_b32_e32 v14, 2, v13
	ds_bpermute_b32 v19, v14, v11
	ds_bpermute_b32 v20, v14, v12
	;; [unrolled: 1-line block ×8, first 2 shown]
	s_and_b32 exec_lo, exec_lo, vcc_lo
	s_cbranch_execz .LBB156_10
; %bb.38:
	s_waitcnt lgkmcnt(6)
	v_add_f64 v[11:12], v[11:12], v[19:20]
	s_waitcnt lgkmcnt(4)
	v_add_f64 v[6:7], v[6:7], v[17:18]
	s_waitcnt lgkmcnt(2)
	v_add_f64 v[0:1], v[0:1], v[15:16]
	s_waitcnt lgkmcnt(0)
	v_add_f64 v[13:14], v[4:5], v[13:14]
	s_load_b64 s[0:1], s[0:1], 0x50
	v_lshlrev_b32_e32 v10, 2, v10
	s_mov_b32 s2, exec_lo
	v_mul_f64 v[4:5], v[2:3], v[11:12]
	v_mul_f64 v[6:7], v[2:3], v[6:7]
	;; [unrolled: 1-line block ×4, first 2 shown]
	v_cmpx_eq_f64_e32 0, v[8:9]
	s_xor_b32 s2, exec_lo, s2
	s_cbranch_execz .LBB156_40
; %bb.39:
	v_ashrrev_i32_e32 v11, 31, v10
	s_delay_alu instid0(VALU_DEP_1) | instskip(SKIP_1) | instid1(VALU_DEP_1)
	v_lshlrev_b64 v[8:9], 3, v[10:11]
                                        ; implicit-def: $vgpr10
	s_waitcnt lgkmcnt(0)
	v_add_co_u32 v8, vcc_lo, s0, v8
	s_delay_alu instid0(VALU_DEP_2)
	v_add_co_ci_u32_e32 v9, vcc_lo, s1, v9, vcc_lo
	s_clause 0x1
	global_store_b128 v[8:9], v[4:7], off
	global_store_b128 v[8:9], v[0:3], off offset:16
                                        ; implicit-def: $vgpr8_vgpr9
                                        ; implicit-def: $vgpr4_vgpr5
                                        ; implicit-def: $vgpr0_vgpr1
.LBB156_40:
	s_and_not1_saveexec_b32 s2, s2
	s_cbranch_execz .LBB156_10
; %bb.41:
	v_ashrrev_i32_e32 v11, 31, v10
	s_delay_alu instid0(VALU_DEP_1) | instskip(SKIP_1) | instid1(VALU_DEP_1)
	v_lshlrev_b64 v[10:11], 3, v[10:11]
	s_waitcnt lgkmcnt(0)
	v_add_co_u32 v18, vcc_lo, s0, v10
	s_delay_alu instid0(VALU_DEP_2)
	v_add_co_ci_u32_e32 v19, vcc_lo, s1, v11, vcc_lo
	s_clause 0x1
	global_load_b128 v[10:13], v[18:19], off
	global_load_b128 v[14:17], v[18:19], off offset:16
	s_waitcnt vmcnt(1)
	v_fma_f64 v[4:5], v[8:9], v[10:11], v[4:5]
	v_fma_f64 v[6:7], v[8:9], v[12:13], v[6:7]
	s_waitcnt vmcnt(0)
	v_fma_f64 v[0:1], v[8:9], v[14:15], v[0:1]
	v_fma_f64 v[2:3], v[8:9], v[16:17], v[2:3]
	s_clause 0x1
	global_store_b128 v[18:19], v[4:7], off
	global_store_b128 v[18:19], v[0:3], off offset:16
	s_nop 0
	s_sendmsg sendmsg(MSG_DEALLOC_VGPRS)
	s_endpgm
	.section	.rodata,"a",@progbits
	.p2align	6, 0x0
	.amdhsa_kernel _ZN9rocsparseL18bsrxmvn_4x4_kernelILj128ELj8EdlifddEEvT3_20rocsparse_direction_NS_24const_host_device_scalarIT1_EES1_PKS1_PKT2_SA_S7_PKT4_PKT5_S5_PT6_21rocsparse_index_base_b
		.amdhsa_group_segment_fixed_size 0
		.amdhsa_private_segment_fixed_size 0
		.amdhsa_kernarg_size 96
		.amdhsa_user_sgpr_count 15
		.amdhsa_user_sgpr_dispatch_ptr 0
		.amdhsa_user_sgpr_queue_ptr 0
		.amdhsa_user_sgpr_kernarg_segment_ptr 1
		.amdhsa_user_sgpr_dispatch_id 0
		.amdhsa_user_sgpr_private_segment_size 0
		.amdhsa_wavefront_size32 1
		.amdhsa_uses_dynamic_stack 0
		.amdhsa_enable_private_segment 0
		.amdhsa_system_sgpr_workgroup_id_x 1
		.amdhsa_system_sgpr_workgroup_id_y 0
		.amdhsa_system_sgpr_workgroup_id_z 0
		.amdhsa_system_sgpr_workgroup_info 0
		.amdhsa_system_vgpr_workitem_id 0
		.amdhsa_next_free_vgpr 112
		.amdhsa_next_free_sgpr 16
		.amdhsa_reserve_vcc 1
		.amdhsa_float_round_mode_32 0
		.amdhsa_float_round_mode_16_64 0
		.amdhsa_float_denorm_mode_32 3
		.amdhsa_float_denorm_mode_16_64 3
		.amdhsa_dx10_clamp 1
		.amdhsa_ieee_mode 1
		.amdhsa_fp16_overflow 0
		.amdhsa_workgroup_processor_mode 1
		.amdhsa_memory_ordered 1
		.amdhsa_forward_progress 0
		.amdhsa_shared_vgpr_count 0
		.amdhsa_exception_fp_ieee_invalid_op 0
		.amdhsa_exception_fp_denorm_src 0
		.amdhsa_exception_fp_ieee_div_zero 0
		.amdhsa_exception_fp_ieee_overflow 0
		.amdhsa_exception_fp_ieee_underflow 0
		.amdhsa_exception_fp_ieee_inexact 0
		.amdhsa_exception_int_div_zero 0
	.end_amdhsa_kernel
	.section	.text._ZN9rocsparseL18bsrxmvn_4x4_kernelILj128ELj8EdlifddEEvT3_20rocsparse_direction_NS_24const_host_device_scalarIT1_EES1_PKS1_PKT2_SA_S7_PKT4_PKT5_S5_PT6_21rocsparse_index_base_b,"axG",@progbits,_ZN9rocsparseL18bsrxmvn_4x4_kernelILj128ELj8EdlifddEEvT3_20rocsparse_direction_NS_24const_host_device_scalarIT1_EES1_PKS1_PKT2_SA_S7_PKT4_PKT5_S5_PT6_21rocsparse_index_base_b,comdat
.Lfunc_end156:
	.size	_ZN9rocsparseL18bsrxmvn_4x4_kernelILj128ELj8EdlifddEEvT3_20rocsparse_direction_NS_24const_host_device_scalarIT1_EES1_PKS1_PKT2_SA_S7_PKT4_PKT5_S5_PT6_21rocsparse_index_base_b, .Lfunc_end156-_ZN9rocsparseL18bsrxmvn_4x4_kernelILj128ELj8EdlifddEEvT3_20rocsparse_direction_NS_24const_host_device_scalarIT1_EES1_PKS1_PKT2_SA_S7_PKT4_PKT5_S5_PT6_21rocsparse_index_base_b
                                        ; -- End function
	.section	.AMDGPU.csdata,"",@progbits
; Kernel info:
; codeLenInByte = 5528
; NumSgprs: 18
; NumVgprs: 112
; ScratchSize: 0
; MemoryBound: 0
; FloatMode: 240
; IeeeMode: 1
; LDSByteSize: 0 bytes/workgroup (compile time only)
; SGPRBlocks: 2
; VGPRBlocks: 13
; NumSGPRsForWavesPerEU: 18
; NumVGPRsForWavesPerEU: 112
; Occupancy: 12
; WaveLimiterHint : 1
; COMPUTE_PGM_RSRC2:SCRATCH_EN: 0
; COMPUTE_PGM_RSRC2:USER_SGPR: 15
; COMPUTE_PGM_RSRC2:TRAP_HANDLER: 0
; COMPUTE_PGM_RSRC2:TGID_X_EN: 1
; COMPUTE_PGM_RSRC2:TGID_Y_EN: 0
; COMPUTE_PGM_RSRC2:TGID_Z_EN: 0
; COMPUTE_PGM_RSRC2:TIDIG_COMP_CNT: 0
	.section	.text._ZN9rocsparseL18bsrxmvn_4x4_kernelILj128ELj16EdlifddEEvT3_20rocsparse_direction_NS_24const_host_device_scalarIT1_EES1_PKS1_PKT2_SA_S7_PKT4_PKT5_S5_PT6_21rocsparse_index_base_b,"axG",@progbits,_ZN9rocsparseL18bsrxmvn_4x4_kernelILj128ELj16EdlifddEEvT3_20rocsparse_direction_NS_24const_host_device_scalarIT1_EES1_PKS1_PKT2_SA_S7_PKT4_PKT5_S5_PT6_21rocsparse_index_base_b,comdat
	.globl	_ZN9rocsparseL18bsrxmvn_4x4_kernelILj128ELj16EdlifddEEvT3_20rocsparse_direction_NS_24const_host_device_scalarIT1_EES1_PKS1_PKT2_SA_S7_PKT4_PKT5_S5_PT6_21rocsparse_index_base_b ; -- Begin function _ZN9rocsparseL18bsrxmvn_4x4_kernelILj128ELj16EdlifddEEvT3_20rocsparse_direction_NS_24const_host_device_scalarIT1_EES1_PKS1_PKT2_SA_S7_PKT4_PKT5_S5_PT6_21rocsparse_index_base_b
	.p2align	8
	.type	_ZN9rocsparseL18bsrxmvn_4x4_kernelILj128ELj16EdlifddEEvT3_20rocsparse_direction_NS_24const_host_device_scalarIT1_EES1_PKS1_PKT2_SA_S7_PKT4_PKT5_S5_PT6_21rocsparse_index_base_b,@function
_ZN9rocsparseL18bsrxmvn_4x4_kernelILj128ELj16EdlifddEEvT3_20rocsparse_direction_NS_24const_host_device_scalarIT1_EES1_PKS1_PKT2_SA_S7_PKT4_PKT5_S5_PT6_21rocsparse_index_base_b: ; @_ZN9rocsparseL18bsrxmvn_4x4_kernelILj128ELj16EdlifddEEvT3_20rocsparse_direction_NS_24const_host_device_scalarIT1_EES1_PKS1_PKT2_SA_S7_PKT4_PKT5_S5_PT6_21rocsparse_index_base_b
; %bb.0:
	s_clause 0x2
	s_load_b64 s[12:13], s[0:1], 0x58
	s_load_b64 s[4:5], s[0:1], 0x8
	;; [unrolled: 1-line block ×3, first 2 shown]
	s_waitcnt lgkmcnt(0)
	s_bitcmp1_b32 s13, 0
	v_dual_mov_b32 v2, s4 :: v_dual_mov_b32 v3, s5
	s_cselect_b32 s6, -1, 0
	s_delay_alu instid0(SALU_CYCLE_1)
	s_and_b32 vcc_lo, exec_lo, s6
	s_xor_b32 s6, s6, -1
	s_cbranch_vccnz .LBB157_2
; %bb.1:
	v_dual_mov_b32 v1, s4 :: v_dual_mov_b32 v2, s5
	flat_load_b64 v[2:3], v[1:2]
.LBB157_2:
	v_dual_mov_b32 v9, s3 :: v_dual_mov_b32 v8, s2
	s_and_not1_b32 vcc_lo, exec_lo, s6
	s_cbranch_vccnz .LBB157_4
; %bb.3:
	v_dual_mov_b32 v5, s3 :: v_dual_mov_b32 v4, s2
	flat_load_b64 v[8:9], v[4:5]
.LBB157_4:
	s_waitcnt vmcnt(0) lgkmcnt(0)
	v_cmp_neq_f64_e32 vcc_lo, 0, v[2:3]
	v_cmp_neq_f64_e64 s2, 1.0, v[8:9]
	s_delay_alu instid0(VALU_DEP_1) | instskip(NEXT) | instid1(SALU_CYCLE_1)
	s_or_b32 s2, vcc_lo, s2
	s_and_saveexec_b32 s3, s2
	s_cbranch_execz .LBB157_10
; %bb.5:
	s_clause 0x1
	s_load_b64 s[4:5], s[0:1], 0x18
	s_load_b64 s[2:3], s[0:1], 0x0
	v_lshrrev_b32_e32 v1, 4, v0
	s_delay_alu instid0(VALU_DEP_1)
	v_lshl_or_b32 v10, s15, 3, v1
	s_waitcnt lgkmcnt(0)
	s_cmp_lg_u64 s[4:5], 0
	s_cbranch_scc0 .LBB157_11
; %bb.6:
	s_load_b32 s6, s[0:1], 0x10
	s_mov_b32 s7, 0
                                        ; implicit-def: $vgpr1
	s_waitcnt lgkmcnt(0)
	v_cmp_gt_i32_e32 vcc_lo, s6, v10
	s_mov_b32 s6, 0
	s_and_saveexec_b32 s8, vcc_lo
	s_delay_alu instid0(SALU_CYCLE_1)
	s_xor_b32 s8, exec_lo, s8
	s_cbranch_execz .LBB157_8
; %bb.7:
	v_ashrrev_i32_e32 v11, 31, v10
	s_mov_b32 s6, exec_lo
	s_delay_alu instid0(VALU_DEP_1) | instskip(NEXT) | instid1(VALU_DEP_1)
	v_lshlrev_b64 v[4:5], 2, v[10:11]
	v_add_co_u32 v4, vcc_lo, s4, v4
	s_delay_alu instid0(VALU_DEP_2)
	v_add_co_ci_u32_e32 v5, vcc_lo, s5, v5, vcc_lo
	global_load_b32 v1, v[4:5], off
	s_waitcnt vmcnt(0)
	v_subrev_nc_u32_e32 v1, s12, v1
.LBB157_8:
	s_or_b32 exec_lo, exec_lo, s8
	s_delay_alu instid0(SALU_CYCLE_1)
	s_and_b32 vcc_lo, exec_lo, s7
	s_cbranch_vccz .LBB157_12
.LBB157_9:
	v_cmp_gt_i32_e32 vcc_lo, s2, v10
	s_and_not1_b32 s2, s6, exec_lo
	s_and_b32 s4, vcc_lo, exec_lo
	s_delay_alu instid0(SALU_CYCLE_1) | instskip(NEXT) | instid1(SALU_CYCLE_1)
	s_or_b32 s6, s2, s4
	s_and_b32 exec_lo, exec_lo, s6
	s_cbranch_execnz .LBB157_13
.LBB157_10:
	s_nop 0
	s_sendmsg sendmsg(MSG_DEALLOC_VGPRS)
	s_endpgm
.LBB157_11:
	s_mov_b32 s6, 0
                                        ; implicit-def: $vgpr1
	s_cbranch_execnz .LBB157_9
.LBB157_12:
	s_delay_alu instid0(VALU_DEP_1)
	v_mov_b32_e32 v10, v1
	s_and_b32 exec_lo, exec_lo, s6
	s_cbranch_execz .LBB157_10
.LBB157_13:
	s_load_b256 s[4:11], s[0:1], 0x20
	s_delay_alu instid0(VALU_DEP_1) | instskip(SKIP_1) | instid1(VALU_DEP_2)
	v_ashrrev_i32_e32 v11, 31, v10
	v_and_b32_e32 v31, 15, v0
	v_lshlrev_b64 v[4:5], 3, v[10:11]
	s_waitcnt lgkmcnt(0)
	s_delay_alu instid0(VALU_DEP_1) | instskip(NEXT) | instid1(VALU_DEP_2)
	v_add_co_u32 v6, vcc_lo, s4, v4
	v_add_co_ci_u32_e32 v7, vcc_lo, s5, v5, vcc_lo
	v_add_co_u32 v1, vcc_lo, s6, v4
	v_add_co_ci_u32_e32 v4, vcc_lo, s7, v5, vcc_lo
	s_delay_alu instid0(VALU_DEP_4)
	v_add_co_u32 v11, vcc_lo, v6, 8
	global_load_b64 v[19:20], v[6:7], off
	v_add_co_ci_u32_e32 v5, vcc_lo, 0, v7, vcc_lo
	s_cmp_eq_u64 s[6:7], 0
	s_load_b64 s[4:5], s[0:1], 0x40
	s_cselect_b32 vcc_lo, -1, 0
	s_cmp_eq_u32 s3, 1
	v_dual_cndmask_b32 v5, v4, v5 :: v_dual_cndmask_b32 v4, v1, v11
	global_load_b64 v[4:5], v[4:5], off
	s_waitcnt vmcnt(1)
	v_sub_co_u32 v0, vcc_lo, v19, s12
	v_subrev_co_ci_u32_e32 v1, vcc_lo, 0, v20, vcc_lo
	s_delay_alu instid0(VALU_DEP_2) | instskip(NEXT) | instid1(VALU_DEP_2)
	v_add_co_u32 v0, vcc_lo, v0, v31
	v_add_co_ci_u32_e32 v1, vcc_lo, 0, v1, vcc_lo
	s_delay_alu instid0(VALU_DEP_1) | instskip(SKIP_3) | instid1(VALU_DEP_3)
	v_lshlrev_b64 v[6:7], 6, v[0:1]
	s_waitcnt vmcnt(0)
	v_sub_co_u32 v4, vcc_lo, v4, s12
	v_subrev_co_ci_u32_e32 v5, vcc_lo, 0, v5, vcc_lo
	v_add_co_u32 v6, vcc_lo, s10, v6
	s_delay_alu instid0(VALU_DEP_2)
	v_cmp_lt_i64_e64 s2, v[0:1], v[4:5]
	v_add_co_ci_u32_e32 v7, vcc_lo, s11, v7, vcc_lo
	s_cbranch_scc1 .LBB157_25
; %bb.14:
	v_mov_b32_e32 v11, 0
	v_mov_b32_e32 v12, 0
	s_delay_alu instid0(VALU_DEP_1)
	v_dual_mov_b32 v16, v12 :: v_dual_mov_b32 v15, v11
	v_dual_mov_b32 v18, v12 :: v_dual_mov_b32 v17, v11
	v_dual_mov_b32 v14, v12 :: v_dual_mov_b32 v13, v11
	s_and_saveexec_b32 s6, s2
	s_cbranch_execz .LBB157_24
; %bb.15:
	v_or_b32_e32 v11, 16, v31
	v_not_b32_e32 v14, v19
	v_not_b32_e32 v13, v20
	s_mov_b32 s10, 0
	s_mov_b32 s7, exec_lo
	v_sub_co_u32 v11, s3, v11, s12
	s_delay_alu instid0(VALU_DEP_1) | instskip(SKIP_1) | instid1(VALU_DEP_3)
	v_sub_co_ci_u32_e64 v12, null, 0, 0, s3
	v_sub_co_u32 v15, s3, s12, v31
	v_add_co_u32 v11, vcc_lo, v11, v19
	s_delay_alu instid0(VALU_DEP_3) | instskip(SKIP_2) | instid1(VALU_DEP_3)
	v_add_co_ci_u32_e32 v12, vcc_lo, v12, v20, vcc_lo
	v_sub_co_ci_u32_e64 v16, null, 0, 0, s3
	v_mov_b32_e32 v22, v1
	v_cmp_gt_i64_e32 vcc_lo, v[11:12], v[4:5]
	v_dual_mov_b32 v24, v7 :: v_dual_mov_b32 v23, v6
	v_dual_cndmask_b32 v12, v5, v12 :: v_dual_cndmask_b32 v11, v4, v11
	v_add_co_u32 v14, vcc_lo, v15, v14
	v_add_co_ci_u32_e32 v13, vcc_lo, v16, v13, vcc_lo
	s_delay_alu instid0(VALU_DEP_2) | instskip(NEXT) | instid1(VALU_DEP_2)
	v_add_co_u32 v25, vcc_lo, v14, v11
	v_add_co_ci_u32_e32 v26, vcc_lo, v13, v12, vcc_lo
	v_mov_b32_e32 v13, 0
	s_delay_alu instid0(VALU_DEP_3) | instskip(SKIP_1) | instid1(VALU_DEP_1)
	v_lshrrev_b32_e32 v11, 4, v25
	v_dual_mov_b32 v14, 0 :: v_dual_mov_b32 v21, v0
	v_dual_mov_b32 v16, v14 :: v_dual_add_nc_u32 v11, 1, v11
	s_delay_alu instid0(VALU_DEP_4) | instskip(SKIP_1) | instid1(VALU_DEP_3)
	v_dual_mov_b32 v18, v14 :: v_dual_mov_b32 v15, v13
	v_mov_b32_e32 v17, v13
	v_and_b32_e32 v27, 3, v11
	v_dual_mov_b32 v11, v13 :: v_dual_mov_b32 v12, v14
	s_delay_alu instid0(VALU_DEP_2)
	v_cmpx_ne_u32_e32 0, v27
	s_cbranch_execz .LBB157_19
; %bb.16:
	v_lshlrev_b64 v[13:14], 2, v[0:1]
	v_dual_mov_b32 v28, 0 :: v_dual_mov_b32 v11, 0
	v_dual_mov_b32 v12, 0 :: v_dual_lshlrev_b32 v27, 4, v27
	v_dual_mov_b32 v24, v7 :: v_dual_mov_b32 v23, v6
	s_delay_alu instid0(VALU_DEP_4)
	v_add_co_u32 v29, vcc_lo, s8, v13
	v_add_co_ci_u32_e32 v30, vcc_lo, s9, v14, vcc_lo
	v_dual_mov_b32 v22, v1 :: v_dual_mov_b32 v21, v0
	v_dual_mov_b32 v16, v12 :: v_dual_mov_b32 v15, v11
	;; [unrolled: 1-line block ×4, first 2 shown]
.LBB157_17:                             ; =>This Inner Loop Header: Depth=1
	global_load_b32 v48, v[29:30], off
	s_clause 0x3
	global_load_b128 v[32:35], v[23:24], off
	global_load_b128 v[36:39], v[23:24], off offset:16
	global_load_b128 v[40:43], v[23:24], off offset:32
	;; [unrolled: 1-line block ×3, first 2 shown]
	v_add_co_u32 v29, s3, v29, 64
	s_delay_alu instid0(VALU_DEP_1)
	v_add_co_ci_u32_e64 v30, s3, 0, v30, s3
	s_waitcnt vmcnt(4)
	v_subrev_nc_u32_e32 v48, s12, v48
	s_waitcnt vmcnt(3)
	v_cvt_f64_f32_e32 v[56:57], v32
	s_waitcnt vmcnt(2)
	v_cvt_f64_f32_e32 v[58:59], v36
	s_waitcnt vmcnt(1)
	v_cvt_f64_f32_e32 v[60:61], v40
	s_waitcnt vmcnt(0)
	v_cvt_f64_f32_e32 v[62:63], v44
	v_lshlrev_b32_e32 v48, 2, v48
	v_cvt_f64_f32_e32 v[32:33], v33
	v_cvt_f64_f32_e32 v[36:37], v37
	;; [unrolled: 1-line block ×4, first 2 shown]
	v_ashrrev_i32_e32 v49, 31, v48
	s_delay_alu instid0(VALU_DEP_1) | instskip(SKIP_1) | instid1(VALU_DEP_1)
	v_lshlrev_b64 v[48:49], 3, v[48:49]
	s_waitcnt lgkmcnt(0)
	v_add_co_u32 v52, vcc_lo, s4, v48
	s_delay_alu instid0(VALU_DEP_2)
	v_add_co_ci_u32_e32 v53, vcc_lo, s5, v49, vcc_lo
	v_add_co_u32 v23, vcc_lo, 0x400, v23
	v_add_co_ci_u32_e32 v24, vcc_lo, 0, v24, vcc_lo
	s_clause 0x1
	global_load_b128 v[48:51], v[52:53], off
	global_load_b128 v[52:55], v[52:53], off offset:16
	v_add_co_u32 v27, vcc_lo, v27, -16
	v_add_co_ci_u32_e32 v28, vcc_lo, -1, v28, vcc_lo
	v_add_co_u32 v21, vcc_lo, v21, 16
	v_add_co_ci_u32_e32 v22, vcc_lo, 0, v22, vcc_lo
	s_delay_alu instid0(VALU_DEP_3)
	v_cmp_eq_u64_e32 vcc_lo, 0, v[27:28]
	s_or_b32 s10, vcc_lo, s10
	s_waitcnt vmcnt(1)
	v_fma_f64 v[13:14], v[56:57], v[48:49], v[13:14]
	v_fma_f64 v[17:18], v[58:59], v[48:49], v[17:18]
	;; [unrolled: 1-line block ×4, first 2 shown]
	v_cvt_f64_f32_e32 v[48:49], v34
	v_cvt_f64_f32_e32 v[56:57], v38
	;; [unrolled: 1-line block ×4, first 2 shown]
	v_fma_f64 v[13:14], v[32:33], v[50:51], v[13:14]
	v_fma_f64 v[17:18], v[36:37], v[50:51], v[17:18]
	;; [unrolled: 1-line block ×4, first 2 shown]
	v_cvt_f64_f32_e32 v[32:33], v35
	v_cvt_f64_f32_e32 v[34:35], v39
	v_cvt_f64_f32_e32 v[36:37], v43
	v_cvt_f64_f32_e32 v[38:39], v47
	s_waitcnt vmcnt(0)
	v_fma_f64 v[13:14], v[48:49], v[52:53], v[13:14]
	v_fma_f64 v[17:18], v[56:57], v[52:53], v[17:18]
	;; [unrolled: 1-line block ×4, first 2 shown]
	s_delay_alu instid0(VALU_DEP_4) | instskip(NEXT) | instid1(VALU_DEP_4)
	v_fma_f64 v[13:14], v[32:33], v[54:55], v[13:14]
	v_fma_f64 v[17:18], v[34:35], v[54:55], v[17:18]
	s_delay_alu instid0(VALU_DEP_4) | instskip(NEXT) | instid1(VALU_DEP_4)
	v_fma_f64 v[15:16], v[36:37], v[54:55], v[15:16]
	v_fma_f64 v[11:12], v[38:39], v[54:55], v[11:12]
	s_and_not1_b32 exec_lo, exec_lo, s10
	s_cbranch_execnz .LBB157_17
; %bb.18:
	s_or_b32 exec_lo, exec_lo, s10
.LBB157_19:
	s_delay_alu instid0(SALU_CYCLE_1) | instskip(NEXT) | instid1(SALU_CYCLE_1)
	s_or_b32 exec_lo, exec_lo, s7
	s_mov_b32 s7, exec_lo
	v_cmpx_lt_u64_e32 47, v[25:26]
	s_cbranch_execz .LBB157_23
; %bb.20:
	v_lshlrev_b64 v[25:26], 2, v[21:22]
	s_mov_b32 s10, 0
	s_delay_alu instid0(VALU_DEP_1) | instskip(NEXT) | instid1(VALU_DEP_2)
	v_add_co_u32 v25, vcc_lo, v25, s8
	v_add_co_ci_u32_e32 v26, vcc_lo, s9, v26, vcc_lo
	s_delay_alu instid0(VALU_DEP_2) | instskip(NEXT) | instid1(VALU_DEP_2)
	v_add_co_u32 v25, vcc_lo, 0x80, v25
	v_add_co_ci_u32_e32 v26, vcc_lo, 0, v26, vcc_lo
.LBB157_21:                             ; =>This Inner Loop Header: Depth=1
	s_clause 0x2
	global_load_b32 v44, v[25:26], off offset:-128
	global_load_b32 v68, v[25:26], off offset:-64
	global_load_b32 v92, v[25:26], off
	s_clause 0x3
	global_load_b128 v[27:30], v[23:24], off
	global_load_b128 v[32:35], v[23:24], off offset:16
	global_load_b128 v[36:39], v[23:24], off offset:32
	;; [unrolled: 1-line block ×3, first 2 shown]
	global_load_b32 v106, v[25:26], off offset:64
	v_add_co_u32 v25, s3, 0x100, v25
	s_delay_alu instid0(VALU_DEP_1)
	v_add_co_ci_u32_e64 v26, s3, 0, v26, s3
	s_waitcnt vmcnt(7)
	v_subrev_nc_u32_e32 v44, s12, v44
	s_waitcnt vmcnt(6)
	v_subrev_nc_u32_e32 v68, s12, v68
	;; [unrolled: 2-line block ×3, first 2 shown]
	s_waitcnt vmcnt(4)
	v_cvt_f64_f32_e32 v[96:97], v27
	s_waitcnt vmcnt(3)
	v_cvt_f64_f32_e32 v[98:99], v32
	v_lshlrev_b32_e32 v44, 2, v44
	v_lshlrev_b32_e32 v68, 2, v68
	;; [unrolled: 1-line block ×3, first 2 shown]
	s_waitcnt vmcnt(2)
	v_cvt_f64_f32_e32 v[100:101], v36
	s_waitcnt vmcnt(1)
	v_cvt_f64_f32_e32 v[102:103], v40
	v_ashrrev_i32_e32 v45, 31, v44
	v_ashrrev_i32_e32 v69, 31, v68
	;; [unrolled: 1-line block ×3, first 2 shown]
	v_cvt_f64_f32_e32 v[27:28], v28
	v_cvt_f64_f32_e32 v[32:33], v33
	v_lshlrev_b64 v[44:45], 3, v[44:45]
	v_lshlrev_b64 v[68:69], 3, v[68:69]
	;; [unrolled: 1-line block ×3, first 2 shown]
	v_cvt_f64_f32_e32 v[36:37], v37
	v_cvt_f64_f32_e32 v[40:41], v41
	s_waitcnt vmcnt(0)
	v_subrev_nc_u32_e32 v110, s12, v106
	s_waitcnt lgkmcnt(0)
	v_add_co_u32 v48, vcc_lo, s4, v44
	v_add_co_ci_u32_e32 v49, vcc_lo, s5, v45, vcc_lo
	v_add_co_u32 v72, vcc_lo, s4, v68
	v_add_co_ci_u32_e32 v73, vcc_lo, s5, v69, vcc_lo
	s_clause 0x1
	global_load_b128 v[44:47], v[48:49], off
	global_load_b128 v[48:51], v[48:49], off offset:16
	s_clause 0x3
	global_load_b128 v[52:55], v[23:24], off offset:1024
	global_load_b128 v[56:59], v[23:24], off offset:1040
	;; [unrolled: 1-line block ×4, first 2 shown]
	v_add_co_u32 v104, vcc_lo, s4, v92
	s_clause 0x1
	global_load_b128 v[68:71], v[72:73], off
	global_load_b128 v[72:75], v[72:73], off offset:16
	s_clause 0x3
	global_load_b128 v[76:79], v[23:24], off offset:2048
	global_load_b128 v[80:83], v[23:24], off offset:2064
	global_load_b128 v[84:87], v[23:24], off offset:2080
	global_load_b128 v[88:91], v[23:24], off offset:2096
	v_add_co_ci_u32_e32 v105, vcc_lo, s5, v93, vcc_lo
	v_lshlrev_b32_e32 v110, 2, v110
	global_load_b128 v[92:95], v[104:105], off
	v_ashrrev_i32_e32 v111, 31, v110
	s_waitcnt vmcnt(12)
	v_fma_f64 v[13:14], v[96:97], v[44:45], v[13:14]
	v_fma_f64 v[17:18], v[98:99], v[44:45], v[17:18]
	v_fma_f64 v[15:16], v[100:101], v[44:45], v[15:16]
	v_fma_f64 v[11:12], v[102:103], v[44:45], v[11:12]
	v_cvt_f64_f32_e32 v[44:45], v29
	v_cvt_f64_f32_e32 v[96:97], v34
	;; [unrolled: 1-line block ×6, first 2 shown]
	s_waitcnt vmcnt(8)
	v_cvt_f64_f32_e32 v[106:107], v60
	s_waitcnt vmcnt(7)
	v_cvt_f64_f32_e32 v[108:109], v64
	v_cvt_f64_f32_e32 v[60:61], v61
	;; [unrolled: 1-line block ×3, first 2 shown]
	v_fma_f64 v[27:28], v[27:28], v[46:47], v[13:14]
	v_fma_f64 v[17:18], v[32:33], v[46:47], v[17:18]
	;; [unrolled: 1-line block ×4, first 2 shown]
	global_load_b128 v[11:14], v[104:105], off offset:16
	v_cvt_f64_f32_e32 v[40:41], v30
	v_cvt_f64_f32_e32 v[46:47], v35
	;; [unrolled: 1-line block ×4, first 2 shown]
	v_fma_f64 v[44:45], v[44:45], v[48:49], v[27:28]
	v_fma_f64 v[96:97], v[96:97], v[48:49], v[17:18]
	;; [unrolled: 1-line block ×4, first 2 shown]
	s_clause 0x3
	global_load_b128 v[15:18], v[23:24], off offset:3072
	global_load_b128 v[27:30], v[23:24], off offset:3088
	;; [unrolled: 1-line block ×4, first 2 shown]
	v_cvt_f64_f32_e32 v[100:101], v52
	v_cvt_f64_f32_e32 v[52:53], v53
	v_fma_f64 v[44:45], v[40:41], v[50:51], v[44:45]
	v_fma_f64 v[46:47], v[46:47], v[50:51], v[96:97]
	;; [unrolled: 1-line block ×4, first 2 shown]
	v_lshlrev_b64 v[40:41], 3, v[110:111]
	v_cvt_f64_f32_e32 v[98:99], v58
	v_cvt_f64_f32_e32 v[102:103], v66
	s_delay_alu instid0(VALU_DEP_3) | instskip(NEXT) | instid1(VALU_DEP_4)
	v_add_co_u32 v50, vcc_lo, s4, v40
	v_add_co_ci_u32_e32 v51, vcc_lo, s5, v41, vcc_lo
	v_add_co_u32 v21, vcc_lo, v21, 64
	v_add_co_ci_u32_e32 v22, vcc_lo, 0, v22, vcc_lo
	global_load_b128 v[40:43], v[50:51], off
	v_add_co_u32 v23, vcc_lo, 0x1000, v23
	v_add_co_ci_u32_e32 v24, vcc_lo, 0, v24, vcc_lo
	v_cmp_ge_i64_e32 vcc_lo, v[21:22], v[4:5]
	s_or_b32 s10, vcc_lo, s10
	s_waitcnt vmcnt(12)
	v_fma_f64 v[44:45], v[100:101], v[68:69], v[44:45]
	v_fma_f64 v[46:47], v[104:105], v[68:69], v[46:47]
	;; [unrolled: 1-line block ×4, first 2 shown]
	v_cvt_f64_f32_e32 v[68:69], v54
	v_cvt_f64_f32_e32 v[100:101], v62
	v_fma_f64 v[52:53], v[52:53], v[70:71], v[44:45]
	v_fma_f64 v[56:57], v[56:57], v[70:71], v[46:47]
	global_load_b128 v[44:47], v[50:51], off offset:16
	v_fma_f64 v[60:61], v[60:61], v[70:71], v[96:97]
	v_fma_f64 v[48:49], v[64:65], v[70:71], v[48:49]
	v_cvt_f64_f32_e32 v[50:51], v55
	v_cvt_f64_f32_e32 v[54:55], v59
	v_cvt_f64_f32_e32 v[58:59], v63
	v_cvt_f64_f32_e32 v[62:63], v67
	s_waitcnt vmcnt(11)
	v_cvt_f64_f32_e32 v[64:65], v76
	s_waitcnt vmcnt(10)
	v_cvt_f64_f32_e32 v[66:67], v80
	;; [unrolled: 2-line block ×3, first 2 shown]
	v_fma_f64 v[52:53], v[68:69], v[72:73], v[52:53]
	v_fma_f64 v[56:57], v[98:99], v[72:73], v[56:57]
	v_cvt_f64_f32_e32 v[68:69], v84
	v_fma_f64 v[60:61], v[100:101], v[72:73], v[60:61]
	v_fma_f64 v[48:49], v[102:103], v[72:73], v[48:49]
	v_fma_f64 v[50:51], v[50:51], v[74:75], v[52:53]
	v_fma_f64 v[52:53], v[54:55], v[74:75], v[56:57]
	v_cvt_f64_f32_e32 v[56:57], v77
	v_fma_f64 v[54:55], v[58:59], v[74:75], v[60:61]
	v_fma_f64 v[48:49], v[62:63], v[74:75], v[48:49]
	v_cvt_f64_f32_e32 v[58:59], v81
	v_cvt_f64_f32_e32 v[60:61], v85
	;; [unrolled: 1-line block ×3, first 2 shown]
	s_waitcnt vmcnt(7)
	v_fma_f64 v[50:51], v[64:65], v[92:93], v[50:51]
	v_fma_f64 v[52:53], v[66:67], v[92:93], v[52:53]
	v_cvt_f64_f32_e32 v[64:65], v78
	v_fma_f64 v[54:55], v[68:69], v[92:93], v[54:55]
	v_fma_f64 v[48:49], v[70:71], v[92:93], v[48:49]
	v_cvt_f64_f32_e32 v[66:67], v82
	v_cvt_f64_f32_e32 v[68:69], v86
	;; [unrolled: 1-line block ×3, first 2 shown]
	v_fma_f64 v[50:51], v[56:57], v[94:95], v[50:51]
	v_fma_f64 v[52:53], v[58:59], v[94:95], v[52:53]
	v_cvt_f64_f32_e32 v[56:57], v79
	v_fma_f64 v[54:55], v[60:61], v[94:95], v[54:55]
	v_fma_f64 v[48:49], v[62:63], v[94:95], v[48:49]
	v_cvt_f64_f32_e32 v[58:59], v83
	v_cvt_f64_f32_e32 v[60:61], v87
	v_cvt_f64_f32_e32 v[62:63], v91
	s_waitcnt vmcnt(6)
	v_fma_f64 v[50:51], v[64:65], v[11:12], v[50:51]
	v_fma_f64 v[52:53], v[66:67], v[11:12], v[52:53]
	;; [unrolled: 1-line block ×4, first 2 shown]
	s_waitcnt vmcnt(5)
	v_cvt_f64_f32_e32 v[48:49], v15
	s_waitcnt vmcnt(4)
	v_cvt_f64_f32_e32 v[64:65], v27
	;; [unrolled: 2-line block ×4, first 2 shown]
	v_fma_f64 v[50:51], v[56:57], v[13:14], v[50:51]
	v_fma_f64 v[52:53], v[58:59], v[13:14], v[52:53]
	v_cvt_f64_f32_e32 v[56:57], v38
	v_fma_f64 v[54:55], v[60:61], v[13:14], v[54:55]
	v_fma_f64 v[11:12], v[62:63], v[13:14], v[11:12]
	v_cvt_f64_f32_e32 v[13:14], v16
	v_cvt_f64_f32_e32 v[15:16], v28
	;; [unrolled: 1-line block ×4, first 2 shown]
	s_waitcnt vmcnt(1)
	v_fma_f64 v[36:37], v[48:49], v[40:41], v[50:51]
	v_fma_f64 v[48:49], v[64:65], v[40:41], v[52:53]
	v_cvt_f64_f32_e32 v[52:53], v29
	v_fma_f64 v[50:51], v[66:67], v[40:41], v[54:55]
	v_fma_f64 v[11:12], v[68:69], v[40:41], v[11:12]
	v_cvt_f64_f32_e32 v[40:41], v17
	v_cvt_f64_f32_e32 v[54:55], v34
	;; [unrolled: 1-line block ×4, first 2 shown]
	v_fma_f64 v[13:14], v[13:14], v[42:43], v[36:37]
	v_fma_f64 v[15:16], v[15:16], v[42:43], v[48:49]
	;; [unrolled: 1-line block ×4, first 2 shown]
	v_cvt_f64_f32_e32 v[32:33], v35
	v_cvt_f64_f32_e32 v[34:35], v39
	s_waitcnt vmcnt(0)
	v_fma_f64 v[13:14], v[40:41], v[44:45], v[13:14]
	v_fma_f64 v[15:16], v[52:53], v[44:45], v[15:16]
	;; [unrolled: 1-line block ×4, first 2 shown]
	s_delay_alu instid0(VALU_DEP_4) | instskip(NEXT) | instid1(VALU_DEP_4)
	v_fma_f64 v[13:14], v[17:18], v[46:47], v[13:14]
	v_fma_f64 v[17:18], v[29:30], v[46:47], v[15:16]
	s_delay_alu instid0(VALU_DEP_4) | instskip(NEXT) | instid1(VALU_DEP_4)
	v_fma_f64 v[15:16], v[32:33], v[46:47], v[27:28]
	v_fma_f64 v[11:12], v[34:35], v[46:47], v[11:12]
	s_and_not1_b32 exec_lo, exec_lo, s10
	s_cbranch_execnz .LBB157_21
; %bb.22:
	s_or_b32 exec_lo, exec_lo, s10
.LBB157_23:
	s_delay_alu instid0(SALU_CYCLE_1)
	s_or_b32 exec_lo, exec_lo, s7
.LBB157_24:
	s_delay_alu instid0(SALU_CYCLE_1)
	s_or_b32 exec_lo, exec_lo, s6
	s_cbranch_execz .LBB157_26
	s_branch .LBB157_37
.LBB157_25:
                                        ; implicit-def: $vgpr11_vgpr12
                                        ; implicit-def: $vgpr15_vgpr16
                                        ; implicit-def: $vgpr17_vgpr18
                                        ; implicit-def: $vgpr13_vgpr14
.LBB157_26:
	v_mov_b32_e32 v11, 0
	v_mov_b32_e32 v12, 0
	s_delay_alu instid0(VALU_DEP_1)
	v_dual_mov_b32 v16, v12 :: v_dual_mov_b32 v15, v11
	v_dual_mov_b32 v18, v12 :: v_dual_mov_b32 v17, v11
	;; [unrolled: 1-line block ×3, first 2 shown]
	s_and_saveexec_b32 s3, s2
	s_cbranch_execz .LBB157_36
; %bb.27:
	v_or_b32_e32 v11, 16, v31
	v_not_b32_e32 v14, v19
	v_not_b32_e32 v13, v20
	s_mov_b32 s7, 0
	s_mov_b32 s6, exec_lo
	v_sub_co_u32 v11, s2, v11, s12
	s_delay_alu instid0(VALU_DEP_1) | instskip(SKIP_1) | instid1(VALU_DEP_3)
	v_sub_co_ci_u32_e64 v12, null, 0, 0, s2
	v_sub_co_u32 v15, s2, s12, v31
	v_add_co_u32 v11, vcc_lo, v11, v19
	s_delay_alu instid0(VALU_DEP_3) | instskip(SKIP_1) | instid1(VALU_DEP_2)
	v_add_co_ci_u32_e32 v12, vcc_lo, v12, v20, vcc_lo
	v_sub_co_ci_u32_e64 v16, null, 0, 0, s2
	v_cmp_gt_i64_e32 vcc_lo, v[11:12], v[4:5]
	v_dual_cndmask_b32 v12, v5, v12 :: v_dual_cndmask_b32 v11, v4, v11
	v_add_co_u32 v14, vcc_lo, v15, v14
	s_delay_alu instid0(VALU_DEP_4) | instskip(NEXT) | instid1(VALU_DEP_2)
	v_add_co_ci_u32_e32 v13, vcc_lo, v16, v13, vcc_lo
	v_add_co_u32 v19, vcc_lo, v14, v11
	s_delay_alu instid0(VALU_DEP_2) | instskip(SKIP_1) | instid1(VALU_DEP_3)
	v_add_co_ci_u32_e32 v20, vcc_lo, v13, v12, vcc_lo
	v_mov_b32_e32 v13, 0
	v_lshrrev_b32_e32 v11, 4, v19
	s_delay_alu instid0(VALU_DEP_1) | instskip(NEXT) | instid1(VALU_DEP_1)
	v_dual_mov_b32 v14, 0 :: v_dual_add_nc_u32 v11, 1, v11
	v_dual_mov_b32 v18, v14 :: v_dual_mov_b32 v17, v13
	v_dual_mov_b32 v16, v14 :: v_dual_mov_b32 v15, v13
	s_delay_alu instid0(VALU_DEP_3) | instskip(SKIP_1) | instid1(VALU_DEP_2)
	v_and_b32_e32 v21, 3, v11
	v_dual_mov_b32 v11, v13 :: v_dual_mov_b32 v12, v14
	v_cmpx_ne_u32_e32 0, v21
	s_cbranch_execz .LBB157_31
; %bb.28:
	v_lshlrev_b64 v[13:14], 2, v[0:1]
	v_dual_mov_b32 v22, 0 :: v_dual_mov_b32 v11, 0
	v_dual_mov_b32 v12, 0 :: v_dual_lshlrev_b32 v21, 4, v21
	s_delay_alu instid0(VALU_DEP_3) | instskip(NEXT) | instid1(VALU_DEP_4)
	v_add_co_u32 v23, vcc_lo, s8, v13
	v_add_co_ci_u32_e32 v24, vcc_lo, s9, v14, vcc_lo
	s_delay_alu instid0(VALU_DEP_3)
	v_dual_mov_b32 v16, v12 :: v_dual_mov_b32 v15, v11
	v_dual_mov_b32 v18, v12 :: v_dual_mov_b32 v17, v11
	;; [unrolled: 1-line block ×3, first 2 shown]
.LBB157_29:                             ; =>This Inner Loop Header: Depth=1
	global_load_b32 v29, v[23:24], off
	s_clause 0x1
	global_load_b128 v[25:28], v[6:7], off
	global_load_b128 v[32:35], v[6:7], off offset:16
	v_add_co_u32 v23, s2, v23, 64
	s_delay_alu instid0(VALU_DEP_1)
	v_add_co_ci_u32_e64 v24, s2, 0, v24, s2
	s_waitcnt vmcnt(2)
	v_subrev_nc_u32_e32 v29, s12, v29
	s_waitcnt vmcnt(1)
	v_cvt_f64_f32_e32 v[52:53], v27
	v_cvt_f64_f32_e32 v[27:28], v28
	s_waitcnt vmcnt(0)
	v_cvt_f64_f32_e32 v[54:55], v32
	v_cvt_f64_f32_e32 v[32:33], v33
	v_lshlrev_b32_e32 v29, 2, v29
	v_cvt_f64_f32_e32 v[56:57], v34
	v_cvt_f64_f32_e32 v[34:35], v35
	s_delay_alu instid0(VALU_DEP_3) | instskip(NEXT) | instid1(VALU_DEP_1)
	v_ashrrev_i32_e32 v30, 31, v29
	v_lshlrev_b64 v[29:30], 3, v[29:30]
	s_waitcnt lgkmcnt(0)
	s_delay_alu instid0(VALU_DEP_1) | instskip(NEXT) | instid1(VALU_DEP_2)
	v_add_co_u32 v29, vcc_lo, s4, v29
	v_add_co_ci_u32_e32 v30, vcc_lo, s5, v30, vcc_lo
	s_clause 0x1
	global_load_b128 v[36:39], v[29:30], off
	global_load_b128 v[40:43], v[29:30], off offset:16
	s_clause 0x1
	global_load_b128 v[44:47], v[6:7], off offset:32
	global_load_b128 v[48:51], v[6:7], off offset:48
	v_cvt_f64_f32_e32 v[29:30], v25
	v_cvt_f64_f32_e32 v[25:26], v26
	v_add_co_u32 v6, vcc_lo, 0x400, v6
	v_add_co_ci_u32_e32 v7, vcc_lo, 0, v7, vcc_lo
	v_add_co_u32 v21, vcc_lo, v21, -16
	v_add_co_ci_u32_e32 v22, vcc_lo, -1, v22, vcc_lo
	v_add_co_u32 v0, vcc_lo, v0, 16
	v_add_co_ci_u32_e32 v1, vcc_lo, 0, v1, vcc_lo
	s_delay_alu instid0(VALU_DEP_3)
	v_cmp_eq_u64_e32 vcc_lo, 0, v[21:22]
	s_or_b32 s7, vcc_lo, s7
	s_waitcnt vmcnt(3)
	v_fma_f64 v[13:14], v[29:30], v[36:37], v[13:14]
	v_fma_f64 v[17:18], v[25:26], v[36:37], v[17:18]
	;; [unrolled: 1-line block ×4, first 2 shown]
	s_waitcnt vmcnt(1)
	v_cvt_f64_f32_e32 v[25:26], v44
	v_cvt_f64_f32_e32 v[27:28], v45
	;; [unrolled: 1-line block ×4, first 2 shown]
	s_waitcnt vmcnt(0)
	v_cvt_f64_f32_e32 v[44:45], v51
	v_fma_f64 v[13:14], v[54:55], v[38:39], v[13:14]
	v_fma_f64 v[17:18], v[32:33], v[38:39], v[17:18]
	;; [unrolled: 1-line block ×4, first 2 shown]
	v_cvt_f64_f32_e32 v[32:33], v48
	v_cvt_f64_f32_e32 v[34:35], v49
	;; [unrolled: 1-line block ×3, first 2 shown]
	v_fma_f64 v[13:14], v[25:26], v[40:41], v[13:14]
	v_fma_f64 v[17:18], v[27:28], v[40:41], v[17:18]
	;; [unrolled: 1-line block ×4, first 2 shown]
	s_delay_alu instid0(VALU_DEP_4) | instskip(NEXT) | instid1(VALU_DEP_4)
	v_fma_f64 v[13:14], v[32:33], v[42:43], v[13:14]
	v_fma_f64 v[17:18], v[34:35], v[42:43], v[17:18]
	s_delay_alu instid0(VALU_DEP_4) | instskip(NEXT) | instid1(VALU_DEP_4)
	v_fma_f64 v[15:16], v[38:39], v[42:43], v[15:16]
	v_fma_f64 v[11:12], v[44:45], v[42:43], v[11:12]
	s_and_not1_b32 exec_lo, exec_lo, s7
	s_cbranch_execnz .LBB157_29
; %bb.30:
	s_or_b32 exec_lo, exec_lo, s7
.LBB157_31:
	s_delay_alu instid0(SALU_CYCLE_1) | instskip(NEXT) | instid1(SALU_CYCLE_1)
	s_or_b32 exec_lo, exec_lo, s6
	s_mov_b32 s6, exec_lo
	v_cmpx_lt_u64_e32 47, v[19:20]
	s_cbranch_execz .LBB157_35
; %bb.32:
	v_lshlrev_b64 v[19:20], 2, v[0:1]
	s_mov_b32 s7, 0
	s_delay_alu instid0(VALU_DEP_1) | instskip(NEXT) | instid1(VALU_DEP_2)
	v_add_co_u32 v19, vcc_lo, v19, s8
	v_add_co_ci_u32_e32 v20, vcc_lo, s9, v20, vcc_lo
	s_delay_alu instid0(VALU_DEP_2) | instskip(NEXT) | instid1(VALU_DEP_2)
	v_add_co_u32 v19, vcc_lo, 0x80, v19
	v_add_co_ci_u32_e32 v20, vcc_lo, 0, v20, vcc_lo
.LBB157_33:                             ; =>This Inner Loop Header: Depth=1
	s_clause 0x2
	global_load_b32 v25, v[19:20], off offset:-128
	global_load_b32 v52, v[19:20], off offset:-64
	global_load_b32 v76, v[19:20], off
	global_load_b128 v[21:24], v[6:7], off
	global_load_b32 v92, v[19:20], off offset:64
	v_add_co_u32 v19, s2, 0x100, v19
	s_delay_alu instid0(VALU_DEP_1)
	v_add_co_ci_u32_e64 v20, s2, 0, v20, s2
	s_waitcnt vmcnt(4)
	v_subrev_nc_u32_e32 v25, s12, v25
	s_waitcnt vmcnt(2)
	v_subrev_nc_u32_e32 v76, s12, v76
	s_waitcnt vmcnt(1)
	v_cvt_f64_f32_e32 v[80:81], v22
	v_cvt_f64_f32_e32 v[82:83], v23
	v_lshlrev_b32_e32 v25, 2, v25
	v_cvt_f64_f32_e32 v[84:85], v24
	s_delay_alu instid0(VALU_DEP_2) | instskip(NEXT) | instid1(VALU_DEP_1)
	v_ashrrev_i32_e32 v26, 31, v25
	v_lshlrev_b64 v[25:26], 3, v[25:26]
	s_waitcnt lgkmcnt(0)
	s_delay_alu instid0(VALU_DEP_1) | instskip(NEXT) | instid1(VALU_DEP_2)
	v_add_co_u32 v29, vcc_lo, s4, v25
	v_add_co_ci_u32_e32 v30, vcc_lo, s5, v26, vcc_lo
	global_load_b128 v[25:28], v[6:7], off offset:16
	global_load_b128 v[32:35], v[29:30], off
	s_clause 0x1
	global_load_b128 v[36:39], v[6:7], off offset:32
	global_load_b128 v[40:43], v[6:7], off offset:48
	;; [unrolled: 1-line block ×4, first 2 shown]
	v_subrev_nc_u32_e32 v29, s12, v52
	s_delay_alu instid0(VALU_DEP_1) | instskip(NEXT) | instid1(VALU_DEP_1)
	v_lshlrev_b32_e32 v29, 2, v29
	v_ashrrev_i32_e32 v30, 31, v29
	s_delay_alu instid0(VALU_DEP_1) | instskip(NEXT) | instid1(VALU_DEP_1)
	v_lshlrev_b64 v[29:30], 3, v[29:30]
	v_add_co_u32 v29, vcc_lo, s4, v29
	s_delay_alu instid0(VALU_DEP_2)
	v_add_co_ci_u32_e32 v30, vcc_lo, s5, v30, vcc_lo
	global_load_b128 v[52:55], v[6:7], off offset:1040
	global_load_b128 v[56:59], v[29:30], off
	s_clause 0x1
	global_load_b128 v[60:63], v[6:7], off offset:1056
	global_load_b128 v[64:67], v[6:7], off offset:1072
	;; [unrolled: 1-line block ×4, first 2 shown]
	v_cvt_f64_f32_e32 v[29:30], v21
	v_lshlrev_b32_e32 v21, 2, v76
	s_delay_alu instid0(VALU_DEP_1) | instskip(NEXT) | instid1(VALU_DEP_1)
	v_ashrrev_i32_e32 v22, 31, v21
	v_lshlrev_b64 v[21:22], 3, v[21:22]
	s_delay_alu instid0(VALU_DEP_1) | instskip(NEXT) | instid1(VALU_DEP_2)
	v_add_co_u32 v86, vcc_lo, s4, v21
	v_add_co_ci_u32_e32 v87, vcc_lo, s5, v22, vcc_lo
	global_load_b128 v[21:24], v[6:7], off offset:2064
	global_load_b128 v[76:79], v[86:87], off
	s_waitcnt vmcnt(13)
	v_cvt_f64_f32_e32 v[88:89], v25
	v_cvt_f64_f32_e32 v[25:26], v26
	;; [unrolled: 1-line block ×4, first 2 shown]
	s_waitcnt vmcnt(12)
	v_fma_f64 v[29:30], v[29:30], v[32:33], v[13:14]
	v_fma_f64 v[17:18], v[80:81], v[32:33], v[17:18]
	;; [unrolled: 1-line block ×4, first 2 shown]
	global_load_b128 v[11:14], v[6:7], off offset:2080
	s_waitcnt vmcnt(12)
	v_cvt_f64_f32_e32 v[80:81], v36
	v_cvt_f64_f32_e32 v[36:37], v37
	;; [unrolled: 1-line block ×4, first 2 shown]
	v_fma_f64 v[29:30], v[88:89], v[34:35], v[29:30]
	v_fma_f64 v[84:85], v[25:26], v[34:35], v[17:18]
	;; [unrolled: 1-line block ×4, first 2 shown]
	global_load_b128 v[15:18], v[6:7], off offset:2096
	global_load_b128 v[25:28], v[86:87], off offset:16
	s_waitcnt vmcnt(13)
	v_cvt_f64_f32_e32 v[86:87], v40
	v_cvt_f64_f32_e32 v[40:41], v41
	;; [unrolled: 1-line block ×4, first 2 shown]
	s_waitcnt vmcnt(12)
	v_fma_f64 v[29:30], v[80:81], v[44:45], v[29:30]
	v_fma_f64 v[36:37], v[36:37], v[44:45], v[84:85]
	;; [unrolled: 1-line block ×4, first 2 shown]
	global_load_b128 v[32:35], v[6:7], off offset:3072
	v_subrev_nc_u32_e32 v84, s12, v92
	s_waitcnt vmcnt(12)
	v_cvt_f64_f32_e32 v[44:45], v48
	v_cvt_f64_f32_e32 v[48:49], v49
	;; [unrolled: 1-line block ×4, first 2 shown]
	v_lshlrev_b32_e32 v84, 2, v84
	s_waitcnt vmcnt(11)
	v_cvt_f64_f32_e32 v[88:89], v52
	v_cvt_f64_f32_e32 v[52:53], v53
	s_delay_alu instid0(VALU_DEP_3)
	v_ashrrev_i32_e32 v85, 31, v84
	v_fma_f64 v[29:30], v[86:87], v[46:47], v[29:30]
	v_fma_f64 v[86:87], v[40:41], v[46:47], v[36:37]
	;; [unrolled: 1-line block ×4, first 2 shown]
	v_lshlrev_b64 v[36:37], 3, v[84:85]
	v_cvt_f64_f32_e32 v[90:91], v54
	v_cvt_f64_f32_e32 v[54:55], v55
	s_delay_alu instid0(VALU_DEP_3) | instskip(NEXT) | instid1(VALU_DEP_4)
	v_add_co_u32 v84, vcc_lo, s4, v36
	v_add_co_ci_u32_e32 v85, vcc_lo, s5, v37, vcc_lo
	global_load_b128 v[36:39], v[6:7], off offset:3088
	global_load_b128 v[40:43], v[84:85], off
	v_add_co_u32 v0, vcc_lo, v0, 64
	v_add_co_ci_u32_e32 v1, vcc_lo, 0, v1, vcc_lo
	s_waitcnt vmcnt(12)
	v_fma_f64 v[29:30], v[44:45], v[56:57], v[29:30]
	v_fma_f64 v[48:49], v[48:49], v[56:57], v[86:87]
	v_fma_f64 v[80:81], v[82:83], v[56:57], v[80:81]
	v_fma_f64 v[50:51], v[50:51], v[56:57], v[46:47]
	global_load_b128 v[44:47], v[6:7], off offset:3104
	s_waitcnt vmcnt(12)
	v_cvt_f64_f32_e32 v[56:57], v60
	v_cvt_f64_f32_e32 v[60:61], v61
	;; [unrolled: 1-line block ×4, first 2 shown]
	v_fma_f64 v[29:30], v[88:89], v[58:59], v[29:30]
	v_fma_f64 v[86:87], v[52:53], v[58:59], v[48:49]
	;; [unrolled: 1-line block ×4, first 2 shown]
	global_load_b128 v[48:51], v[6:7], off offset:3120
	global_load_b128 v[52:55], v[84:85], off offset:16
	s_waitcnt vmcnt(13)
	v_cvt_f64_f32_e32 v[84:85], v64
	v_cvt_f64_f32_e32 v[64:65], v65
	;; [unrolled: 1-line block ×4, first 2 shown]
	v_add_co_u32 v6, vcc_lo, 0x1000, v6
	v_add_co_ci_u32_e32 v7, vcc_lo, 0, v7, vcc_lo
	v_cmp_ge_i64_e32 vcc_lo, v[0:1], v[4:5]
	s_or_b32 s7, vcc_lo, s7
	s_waitcnt vmcnt(12)
	v_fma_f64 v[29:30], v[56:57], v[68:69], v[29:30]
	v_fma_f64 v[56:57], v[60:61], v[68:69], v[86:87]
	v_fma_f64 v[60:61], v[82:83], v[68:69], v[80:81]
	v_fma_f64 v[58:59], v[62:63], v[68:69], v[58:59]
	s_waitcnt vmcnt(11)
	v_cvt_f64_f32_e32 v[62:63], v72
	v_cvt_f64_f32_e32 v[68:69], v73
	v_cvt_f64_f32_e32 v[72:73], v74
	v_cvt_f64_f32_e32 v[74:75], v75
	v_fma_f64 v[29:30], v[84:85], v[70:71], v[29:30]
	v_fma_f64 v[56:57], v[64:65], v[70:71], v[56:57]
	v_fma_f64 v[60:61], v[88:89], v[70:71], v[60:61]
	v_fma_f64 v[58:59], v[66:67], v[70:71], v[58:59]
	s_waitcnt vmcnt(10)
	v_cvt_f64_f32_e32 v[64:65], v21
	v_cvt_f64_f32_e32 v[21:22], v22
	v_cvt_f64_f32_e32 v[66:67], v23
	v_cvt_f64_f32_e32 v[23:24], v24
	s_waitcnt vmcnt(9)
	v_fma_f64 v[29:30], v[62:63], v[76:77], v[29:30]
	v_fma_f64 v[56:57], v[68:69], v[76:77], v[56:57]
	v_fma_f64 v[60:61], v[72:73], v[76:77], v[60:61]
	v_fma_f64 v[58:59], v[74:75], v[76:77], v[58:59]
	s_waitcnt vmcnt(8)
	v_cvt_f64_f32_e32 v[62:63], v11
	v_cvt_f64_f32_e32 v[11:12], v12
	v_cvt_f64_f32_e32 v[68:69], v13
	v_cvt_f64_f32_e32 v[13:14], v14
	v_fma_f64 v[29:30], v[64:65], v[78:79], v[29:30]
	v_fma_f64 v[21:22], v[21:22], v[78:79], v[56:57]
	v_fma_f64 v[56:57], v[66:67], v[78:79], v[60:61]
	v_fma_f64 v[23:24], v[23:24], v[78:79], v[58:59]
	s_waitcnt vmcnt(7)
	v_cvt_f64_f32_e32 v[58:59], v15
	v_cvt_f64_f32_e32 v[15:16], v16
	v_cvt_f64_f32_e32 v[60:61], v17
	v_cvt_f64_f32_e32 v[17:18], v18
	;; [unrolled: 19-line block ×4, first 2 shown]
	s_waitcnt vmcnt(0)
	v_fma_f64 v[17:18], v[25:26], v[52:53], v[17:18]
	v_fma_f64 v[11:12], v[29:30], v[52:53], v[11:12]
	;; [unrolled: 1-line block ×4, first 2 shown]
	s_delay_alu instid0(VALU_DEP_4) | instskip(NEXT) | instid1(VALU_DEP_4)
	v_fma_f64 v[13:14], v[21:22], v[54:55], v[17:18]
	v_fma_f64 v[17:18], v[23:24], v[54:55], v[11:12]
	s_delay_alu instid0(VALU_DEP_4) | instskip(NEXT) | instid1(VALU_DEP_4)
	v_fma_f64 v[15:16], v[27:28], v[54:55], v[15:16]
	v_fma_f64 v[11:12], v[36:37], v[54:55], v[25:26]
	s_and_not1_b32 exec_lo, exec_lo, s7
	s_cbranch_execnz .LBB157_33
; %bb.34:
	s_or_b32 exec_lo, exec_lo, s7
.LBB157_35:
	s_delay_alu instid0(SALU_CYCLE_1)
	s_or_b32 exec_lo, exec_lo, s6
.LBB157_36:
	s_delay_alu instid0(SALU_CYCLE_1)
	s_or_b32 exec_lo, exec_lo, s3
.LBB157_37:
	v_mbcnt_lo_u32_b32 v23, -1, 0
	s_delay_alu instid0(VALU_DEP_1) | instskip(NEXT) | instid1(VALU_DEP_1)
	v_xor_b32_e32 v0, 8, v23
	v_cmp_gt_i32_e32 vcc_lo, 32, v0
	v_cndmask_b32_e32 v0, v23, v0, vcc_lo
	s_delay_alu instid0(VALU_DEP_1)
	v_lshlrev_b32_e32 v20, 2, v0
	ds_bpermute_b32 v0, v20, v13
	ds_bpermute_b32 v1, v20, v14
	s_waitcnt lgkmcnt(0)
	v_add_f64 v[0:1], v[13:14], v[0:1]
	v_xor_b32_e32 v13, 4, v23
	s_delay_alu instid0(VALU_DEP_1)
	v_cmp_gt_i32_e32 vcc_lo, 32, v13
	v_cndmask_b32_e32 v13, v23, v13, vcc_lo
	ds_bpermute_b32 v4, v20, v17
	ds_bpermute_b32 v5, v20, v18
	;; [unrolled: 1-line block ×6, first 2 shown]
	s_waitcnt lgkmcnt(4)
	v_add_f64 v[4:5], v[17:18], v[4:5]
	s_waitcnt lgkmcnt(2)
	v_add_f64 v[6:7], v[15:16], v[6:7]
	;; [unrolled: 2-line block ×3, first 2 shown]
	v_lshlrev_b32_e32 v20, 2, v13
	ds_bpermute_b32 v13, v20, v0
	ds_bpermute_b32 v14, v20, v1
	s_waitcnt lgkmcnt(0)
	v_add_f64 v[0:1], v[0:1], v[13:14]
	ds_bpermute_b32 v15, v20, v4
	ds_bpermute_b32 v16, v20, v5
	;; [unrolled: 1-line block ×6, first 2 shown]
	s_waitcnt lgkmcnt(4)
	v_add_f64 v[4:5], v[4:5], v[15:16]
	s_waitcnt lgkmcnt(2)
	v_add_f64 v[13:14], v[6:7], v[17:18]
	v_xor_b32_e32 v6, 2, v23
	s_waitcnt lgkmcnt(0)
	v_add_f64 v[15:16], v[11:12], v[19:20]
	s_delay_alu instid0(VALU_DEP_2) | instskip(SKIP_1) | instid1(VALU_DEP_1)
	v_cmp_gt_i32_e32 vcc_lo, 32, v6
	v_cndmask_b32_e32 v6, v23, v6, vcc_lo
	v_lshlrev_b32_e32 v11, 2, v6
	ds_bpermute_b32 v6, v11, v0
	ds_bpermute_b32 v7, v11, v1
	;; [unrolled: 1-line block ×8, first 2 shown]
	s_waitcnt lgkmcnt(6)
	v_add_f64 v[11:12], v[0:1], v[6:7]
	s_waitcnt lgkmcnt(4)
	v_add_f64 v[6:7], v[4:5], v[17:18]
	;; [unrolled: 2-line block ×3, first 2 shown]
	v_xor_b32_e32 v13, 1, v23
	s_waitcnt lgkmcnt(0)
	v_add_f64 v[4:5], v[15:16], v[21:22]
	s_delay_alu instid0(VALU_DEP_2) | instskip(SKIP_2) | instid1(VALU_DEP_2)
	v_cmp_gt_i32_e32 vcc_lo, 32, v13
	v_cndmask_b32_e32 v13, v23, v13, vcc_lo
	v_cmp_eq_u32_e32 vcc_lo, 15, v31
	v_lshlrev_b32_e32 v14, 2, v13
	ds_bpermute_b32 v19, v14, v11
	ds_bpermute_b32 v20, v14, v12
	;; [unrolled: 1-line block ×8, first 2 shown]
	s_and_b32 exec_lo, exec_lo, vcc_lo
	s_cbranch_execz .LBB157_10
; %bb.38:
	s_waitcnt lgkmcnt(6)
	v_add_f64 v[11:12], v[11:12], v[19:20]
	s_waitcnt lgkmcnt(4)
	v_add_f64 v[6:7], v[6:7], v[17:18]
	;; [unrolled: 2-line block ×4, first 2 shown]
	s_load_b64 s[0:1], s[0:1], 0x50
	v_lshlrev_b32_e32 v10, 2, v10
	s_mov_b32 s2, exec_lo
	v_mul_f64 v[4:5], v[2:3], v[11:12]
	v_mul_f64 v[6:7], v[2:3], v[6:7]
	;; [unrolled: 1-line block ×4, first 2 shown]
	v_cmpx_eq_f64_e32 0, v[8:9]
	s_xor_b32 s2, exec_lo, s2
	s_cbranch_execz .LBB157_40
; %bb.39:
	v_ashrrev_i32_e32 v11, 31, v10
	s_delay_alu instid0(VALU_DEP_1) | instskip(SKIP_1) | instid1(VALU_DEP_1)
	v_lshlrev_b64 v[8:9], 3, v[10:11]
                                        ; implicit-def: $vgpr10
	s_waitcnt lgkmcnt(0)
	v_add_co_u32 v8, vcc_lo, s0, v8
	s_delay_alu instid0(VALU_DEP_2)
	v_add_co_ci_u32_e32 v9, vcc_lo, s1, v9, vcc_lo
	s_clause 0x1
	global_store_b128 v[8:9], v[4:7], off
	global_store_b128 v[8:9], v[0:3], off offset:16
                                        ; implicit-def: $vgpr8_vgpr9
                                        ; implicit-def: $vgpr4_vgpr5
                                        ; implicit-def: $vgpr0_vgpr1
.LBB157_40:
	s_and_not1_saveexec_b32 s2, s2
	s_cbranch_execz .LBB157_10
; %bb.41:
	v_ashrrev_i32_e32 v11, 31, v10
	s_delay_alu instid0(VALU_DEP_1) | instskip(SKIP_1) | instid1(VALU_DEP_1)
	v_lshlrev_b64 v[10:11], 3, v[10:11]
	s_waitcnt lgkmcnt(0)
	v_add_co_u32 v18, vcc_lo, s0, v10
	s_delay_alu instid0(VALU_DEP_2)
	v_add_co_ci_u32_e32 v19, vcc_lo, s1, v11, vcc_lo
	s_clause 0x1
	global_load_b128 v[10:13], v[18:19], off
	global_load_b128 v[14:17], v[18:19], off offset:16
	s_waitcnt vmcnt(1)
	v_fma_f64 v[4:5], v[8:9], v[10:11], v[4:5]
	v_fma_f64 v[6:7], v[8:9], v[12:13], v[6:7]
	s_waitcnt vmcnt(0)
	v_fma_f64 v[0:1], v[8:9], v[14:15], v[0:1]
	v_fma_f64 v[2:3], v[8:9], v[16:17], v[2:3]
	s_clause 0x1
	global_store_b128 v[18:19], v[4:7], off
	global_store_b128 v[18:19], v[0:3], off offset:16
	s_nop 0
	s_sendmsg sendmsg(MSG_DEALLOC_VGPRS)
	s_endpgm
	.section	.rodata,"a",@progbits
	.p2align	6, 0x0
	.amdhsa_kernel _ZN9rocsparseL18bsrxmvn_4x4_kernelILj128ELj16EdlifddEEvT3_20rocsparse_direction_NS_24const_host_device_scalarIT1_EES1_PKS1_PKT2_SA_S7_PKT4_PKT5_S5_PT6_21rocsparse_index_base_b
		.amdhsa_group_segment_fixed_size 0
		.amdhsa_private_segment_fixed_size 0
		.amdhsa_kernarg_size 96
		.amdhsa_user_sgpr_count 15
		.amdhsa_user_sgpr_dispatch_ptr 0
		.amdhsa_user_sgpr_queue_ptr 0
		.amdhsa_user_sgpr_kernarg_segment_ptr 1
		.amdhsa_user_sgpr_dispatch_id 0
		.amdhsa_user_sgpr_private_segment_size 0
		.amdhsa_wavefront_size32 1
		.amdhsa_uses_dynamic_stack 0
		.amdhsa_enable_private_segment 0
		.amdhsa_system_sgpr_workgroup_id_x 1
		.amdhsa_system_sgpr_workgroup_id_y 0
		.amdhsa_system_sgpr_workgroup_id_z 0
		.amdhsa_system_sgpr_workgroup_info 0
		.amdhsa_system_vgpr_workitem_id 0
		.amdhsa_next_free_vgpr 112
		.amdhsa_next_free_sgpr 16
		.amdhsa_reserve_vcc 1
		.amdhsa_float_round_mode_32 0
		.amdhsa_float_round_mode_16_64 0
		.amdhsa_float_denorm_mode_32 3
		.amdhsa_float_denorm_mode_16_64 3
		.amdhsa_dx10_clamp 1
		.amdhsa_ieee_mode 1
		.amdhsa_fp16_overflow 0
		.amdhsa_workgroup_processor_mode 1
		.amdhsa_memory_ordered 1
		.amdhsa_forward_progress 0
		.amdhsa_shared_vgpr_count 0
		.amdhsa_exception_fp_ieee_invalid_op 0
		.amdhsa_exception_fp_denorm_src 0
		.amdhsa_exception_fp_ieee_div_zero 0
		.amdhsa_exception_fp_ieee_overflow 0
		.amdhsa_exception_fp_ieee_underflow 0
		.amdhsa_exception_fp_ieee_inexact 0
		.amdhsa_exception_int_div_zero 0
	.end_amdhsa_kernel
	.section	.text._ZN9rocsparseL18bsrxmvn_4x4_kernelILj128ELj16EdlifddEEvT3_20rocsparse_direction_NS_24const_host_device_scalarIT1_EES1_PKS1_PKT2_SA_S7_PKT4_PKT5_S5_PT6_21rocsparse_index_base_b,"axG",@progbits,_ZN9rocsparseL18bsrxmvn_4x4_kernelILj128ELj16EdlifddEEvT3_20rocsparse_direction_NS_24const_host_device_scalarIT1_EES1_PKS1_PKT2_SA_S7_PKT4_PKT5_S5_PT6_21rocsparse_index_base_b,comdat
.Lfunc_end157:
	.size	_ZN9rocsparseL18bsrxmvn_4x4_kernelILj128ELj16EdlifddEEvT3_20rocsparse_direction_NS_24const_host_device_scalarIT1_EES1_PKS1_PKT2_SA_S7_PKT4_PKT5_S5_PT6_21rocsparse_index_base_b, .Lfunc_end157-_ZN9rocsparseL18bsrxmvn_4x4_kernelILj128ELj16EdlifddEEvT3_20rocsparse_direction_NS_24const_host_device_scalarIT1_EES1_PKS1_PKT2_SA_S7_PKT4_PKT5_S5_PT6_21rocsparse_index_base_b
                                        ; -- End function
	.section	.AMDGPU.csdata,"",@progbits
; Kernel info:
; codeLenInByte = 5680
; NumSgprs: 18
; NumVgprs: 112
; ScratchSize: 0
; MemoryBound: 0
; FloatMode: 240
; IeeeMode: 1
; LDSByteSize: 0 bytes/workgroup (compile time only)
; SGPRBlocks: 2
; VGPRBlocks: 13
; NumSGPRsForWavesPerEU: 18
; NumVGPRsForWavesPerEU: 112
; Occupancy: 12
; WaveLimiterHint : 1
; COMPUTE_PGM_RSRC2:SCRATCH_EN: 0
; COMPUTE_PGM_RSRC2:USER_SGPR: 15
; COMPUTE_PGM_RSRC2:TRAP_HANDLER: 0
; COMPUTE_PGM_RSRC2:TGID_X_EN: 1
; COMPUTE_PGM_RSRC2:TGID_Y_EN: 0
; COMPUTE_PGM_RSRC2:TGID_Z_EN: 0
; COMPUTE_PGM_RSRC2:TIDIG_COMP_CNT: 0
	.section	.text._ZN9rocsparseL18bsrxmvn_4x4_kernelILj128ELj32EdlifddEEvT3_20rocsparse_direction_NS_24const_host_device_scalarIT1_EES1_PKS1_PKT2_SA_S7_PKT4_PKT5_S5_PT6_21rocsparse_index_base_b,"axG",@progbits,_ZN9rocsparseL18bsrxmvn_4x4_kernelILj128ELj32EdlifddEEvT3_20rocsparse_direction_NS_24const_host_device_scalarIT1_EES1_PKS1_PKT2_SA_S7_PKT4_PKT5_S5_PT6_21rocsparse_index_base_b,comdat
	.globl	_ZN9rocsparseL18bsrxmvn_4x4_kernelILj128ELj32EdlifddEEvT3_20rocsparse_direction_NS_24const_host_device_scalarIT1_EES1_PKS1_PKT2_SA_S7_PKT4_PKT5_S5_PT6_21rocsparse_index_base_b ; -- Begin function _ZN9rocsparseL18bsrxmvn_4x4_kernelILj128ELj32EdlifddEEvT3_20rocsparse_direction_NS_24const_host_device_scalarIT1_EES1_PKS1_PKT2_SA_S7_PKT4_PKT5_S5_PT6_21rocsparse_index_base_b
	.p2align	8
	.type	_ZN9rocsparseL18bsrxmvn_4x4_kernelILj128ELj32EdlifddEEvT3_20rocsparse_direction_NS_24const_host_device_scalarIT1_EES1_PKS1_PKT2_SA_S7_PKT4_PKT5_S5_PT6_21rocsparse_index_base_b,@function
_ZN9rocsparseL18bsrxmvn_4x4_kernelILj128ELj32EdlifddEEvT3_20rocsparse_direction_NS_24const_host_device_scalarIT1_EES1_PKS1_PKT2_SA_S7_PKT4_PKT5_S5_PT6_21rocsparse_index_base_b: ; @_ZN9rocsparseL18bsrxmvn_4x4_kernelILj128ELj32EdlifddEEvT3_20rocsparse_direction_NS_24const_host_device_scalarIT1_EES1_PKS1_PKT2_SA_S7_PKT4_PKT5_S5_PT6_21rocsparse_index_base_b
; %bb.0:
	s_clause 0x2
	s_load_b64 s[12:13], s[0:1], 0x58
	s_load_b64 s[4:5], s[0:1], 0x8
	s_load_b64 s[2:3], s[0:1], 0x48
	s_waitcnt lgkmcnt(0)
	s_bitcmp1_b32 s13, 0
	v_dual_mov_b32 v2, s4 :: v_dual_mov_b32 v3, s5
	s_cselect_b32 s6, -1, 0
	s_delay_alu instid0(SALU_CYCLE_1)
	s_and_b32 vcc_lo, exec_lo, s6
	s_xor_b32 s6, s6, -1
	s_cbranch_vccnz .LBB158_2
; %bb.1:
	v_dual_mov_b32 v1, s4 :: v_dual_mov_b32 v2, s5
	flat_load_b64 v[2:3], v[1:2]
.LBB158_2:
	v_dual_mov_b32 v9, s3 :: v_dual_mov_b32 v8, s2
	s_and_not1_b32 vcc_lo, exec_lo, s6
	s_cbranch_vccnz .LBB158_4
; %bb.3:
	v_dual_mov_b32 v5, s3 :: v_dual_mov_b32 v4, s2
	flat_load_b64 v[8:9], v[4:5]
.LBB158_4:
	s_waitcnt vmcnt(0) lgkmcnt(0)
	v_cmp_neq_f64_e32 vcc_lo, 0, v[2:3]
	v_cmp_neq_f64_e64 s2, 1.0, v[8:9]
	s_delay_alu instid0(VALU_DEP_1) | instskip(NEXT) | instid1(SALU_CYCLE_1)
	s_or_b32 s2, vcc_lo, s2
	s_and_saveexec_b32 s3, s2
	s_cbranch_execz .LBB158_10
; %bb.5:
	s_clause 0x1
	s_load_b64 s[4:5], s[0:1], 0x18
	s_load_b64 s[2:3], s[0:1], 0x0
	v_lshrrev_b32_e32 v1, 5, v0
	s_delay_alu instid0(VALU_DEP_1)
	v_lshl_or_b32 v10, s15, 2, v1
	s_waitcnt lgkmcnt(0)
	s_cmp_lg_u64 s[4:5], 0
	s_cbranch_scc0 .LBB158_11
; %bb.6:
	s_load_b32 s6, s[0:1], 0x10
	s_mov_b32 s7, 0
                                        ; implicit-def: $vgpr1
	s_waitcnt lgkmcnt(0)
	v_cmp_gt_i32_e32 vcc_lo, s6, v10
	s_mov_b32 s6, 0
	s_and_saveexec_b32 s8, vcc_lo
	s_delay_alu instid0(SALU_CYCLE_1)
	s_xor_b32 s8, exec_lo, s8
	s_cbranch_execz .LBB158_8
; %bb.7:
	v_ashrrev_i32_e32 v11, 31, v10
	s_mov_b32 s6, exec_lo
	s_delay_alu instid0(VALU_DEP_1) | instskip(NEXT) | instid1(VALU_DEP_1)
	v_lshlrev_b64 v[4:5], 2, v[10:11]
	v_add_co_u32 v4, vcc_lo, s4, v4
	s_delay_alu instid0(VALU_DEP_2)
	v_add_co_ci_u32_e32 v5, vcc_lo, s5, v5, vcc_lo
	global_load_b32 v1, v[4:5], off
	s_waitcnt vmcnt(0)
	v_subrev_nc_u32_e32 v1, s12, v1
.LBB158_8:
	s_or_b32 exec_lo, exec_lo, s8
	s_delay_alu instid0(SALU_CYCLE_1)
	s_and_b32 vcc_lo, exec_lo, s7
	s_cbranch_vccz .LBB158_12
.LBB158_9:
	v_cmp_gt_i32_e32 vcc_lo, s2, v10
	s_and_not1_b32 s2, s6, exec_lo
	s_and_b32 s4, vcc_lo, exec_lo
	s_delay_alu instid0(SALU_CYCLE_1) | instskip(NEXT) | instid1(SALU_CYCLE_1)
	s_or_b32 s6, s2, s4
	s_and_b32 exec_lo, exec_lo, s6
	s_cbranch_execnz .LBB158_13
.LBB158_10:
	s_nop 0
	s_sendmsg sendmsg(MSG_DEALLOC_VGPRS)
	s_endpgm
.LBB158_11:
	s_mov_b32 s6, 0
                                        ; implicit-def: $vgpr1
	s_cbranch_execnz .LBB158_9
.LBB158_12:
	s_delay_alu instid0(VALU_DEP_1)
	v_mov_b32_e32 v10, v1
	s_and_b32 exec_lo, exec_lo, s6
	s_cbranch_execz .LBB158_10
.LBB158_13:
	s_load_b256 s[4:11], s[0:1], 0x20
	s_delay_alu instid0(VALU_DEP_1) | instskip(SKIP_1) | instid1(VALU_DEP_2)
	v_ashrrev_i32_e32 v11, 31, v10
	v_and_b32_e32 v31, 31, v0
	v_lshlrev_b64 v[4:5], 3, v[10:11]
	s_waitcnt lgkmcnt(0)
	s_delay_alu instid0(VALU_DEP_1) | instskip(NEXT) | instid1(VALU_DEP_2)
	v_add_co_u32 v6, vcc_lo, s4, v4
	v_add_co_ci_u32_e32 v7, vcc_lo, s5, v5, vcc_lo
	v_add_co_u32 v1, vcc_lo, s6, v4
	v_add_co_ci_u32_e32 v4, vcc_lo, s7, v5, vcc_lo
	s_delay_alu instid0(VALU_DEP_4)
	v_add_co_u32 v11, vcc_lo, v6, 8
	global_load_b64 v[19:20], v[6:7], off
	v_add_co_ci_u32_e32 v5, vcc_lo, 0, v7, vcc_lo
	s_cmp_eq_u64 s[6:7], 0
	s_load_b64 s[4:5], s[0:1], 0x40
	s_cselect_b32 vcc_lo, -1, 0
	s_cmp_eq_u32 s3, 1
	v_dual_cndmask_b32 v5, v4, v5 :: v_dual_cndmask_b32 v4, v1, v11
	global_load_b64 v[4:5], v[4:5], off
	s_waitcnt vmcnt(1)
	v_sub_co_u32 v0, vcc_lo, v19, s12
	v_subrev_co_ci_u32_e32 v1, vcc_lo, 0, v20, vcc_lo
	s_delay_alu instid0(VALU_DEP_2) | instskip(NEXT) | instid1(VALU_DEP_2)
	v_add_co_u32 v0, vcc_lo, v0, v31
	v_add_co_ci_u32_e32 v1, vcc_lo, 0, v1, vcc_lo
	s_delay_alu instid0(VALU_DEP_1) | instskip(SKIP_3) | instid1(VALU_DEP_3)
	v_lshlrev_b64 v[6:7], 6, v[0:1]
	s_waitcnt vmcnt(0)
	v_sub_co_u32 v4, vcc_lo, v4, s12
	v_subrev_co_ci_u32_e32 v5, vcc_lo, 0, v5, vcc_lo
	v_add_co_u32 v6, vcc_lo, s10, v6
	s_delay_alu instid0(VALU_DEP_2)
	v_cmp_lt_i64_e64 s2, v[0:1], v[4:5]
	v_add_co_ci_u32_e32 v7, vcc_lo, s11, v7, vcc_lo
	s_cbranch_scc1 .LBB158_25
; %bb.14:
	v_mov_b32_e32 v11, 0
	v_mov_b32_e32 v12, 0
	s_delay_alu instid0(VALU_DEP_1)
	v_dual_mov_b32 v16, v12 :: v_dual_mov_b32 v15, v11
	v_dual_mov_b32 v18, v12 :: v_dual_mov_b32 v17, v11
	;; [unrolled: 1-line block ×3, first 2 shown]
	s_and_saveexec_b32 s6, s2
	s_cbranch_execz .LBB158_24
; %bb.15:
	v_or_b32_e32 v11, 32, v31
	v_not_b32_e32 v14, v19
	v_not_b32_e32 v13, v20
	s_mov_b32 s10, 0
	s_mov_b32 s7, exec_lo
	v_sub_co_u32 v11, s3, v11, s12
	s_delay_alu instid0(VALU_DEP_1) | instskip(SKIP_1) | instid1(VALU_DEP_3)
	v_sub_co_ci_u32_e64 v12, null, 0, 0, s3
	v_sub_co_u32 v15, s3, s12, v31
	v_add_co_u32 v11, vcc_lo, v11, v19
	s_delay_alu instid0(VALU_DEP_3) | instskip(SKIP_2) | instid1(VALU_DEP_3)
	v_add_co_ci_u32_e32 v12, vcc_lo, v12, v20, vcc_lo
	v_sub_co_ci_u32_e64 v16, null, 0, 0, s3
	v_mov_b32_e32 v22, v1
	v_cmp_gt_i64_e32 vcc_lo, v[11:12], v[4:5]
	v_dual_mov_b32 v24, v7 :: v_dual_mov_b32 v23, v6
	v_dual_cndmask_b32 v12, v5, v12 :: v_dual_cndmask_b32 v11, v4, v11
	v_add_co_u32 v14, vcc_lo, v15, v14
	v_add_co_ci_u32_e32 v13, vcc_lo, v16, v13, vcc_lo
	s_delay_alu instid0(VALU_DEP_2) | instskip(NEXT) | instid1(VALU_DEP_2)
	v_add_co_u32 v25, vcc_lo, v14, v11
	v_add_co_ci_u32_e32 v26, vcc_lo, v13, v12, vcc_lo
	v_mov_b32_e32 v13, 0
	s_delay_alu instid0(VALU_DEP_3) | instskip(SKIP_1) | instid1(VALU_DEP_1)
	v_lshrrev_b32_e32 v11, 5, v25
	v_dual_mov_b32 v14, 0 :: v_dual_mov_b32 v21, v0
	v_dual_mov_b32 v16, v14 :: v_dual_add_nc_u32 v11, 1, v11
	s_delay_alu instid0(VALU_DEP_4) | instskip(SKIP_1) | instid1(VALU_DEP_3)
	v_dual_mov_b32 v18, v14 :: v_dual_mov_b32 v15, v13
	v_mov_b32_e32 v17, v13
	v_and_b32_e32 v27, 3, v11
	v_dual_mov_b32 v11, v13 :: v_dual_mov_b32 v12, v14
	s_delay_alu instid0(VALU_DEP_2)
	v_cmpx_ne_u32_e32 0, v27
	s_cbranch_execz .LBB158_19
; %bb.16:
	v_lshlrev_b64 v[13:14], 2, v[0:1]
	v_dual_mov_b32 v28, 0 :: v_dual_mov_b32 v11, 0
	v_dual_mov_b32 v12, 0 :: v_dual_lshlrev_b32 v27, 4, v27
	v_dual_mov_b32 v24, v7 :: v_dual_mov_b32 v23, v6
	s_delay_alu instid0(VALU_DEP_4)
	v_add_co_u32 v29, vcc_lo, s8, v13
	v_add_co_ci_u32_e32 v30, vcc_lo, s9, v14, vcc_lo
	v_dual_mov_b32 v22, v1 :: v_dual_mov_b32 v21, v0
	v_dual_mov_b32 v16, v12 :: v_dual_mov_b32 v15, v11
	;; [unrolled: 1-line block ×4, first 2 shown]
.LBB158_17:                             ; =>This Inner Loop Header: Depth=1
	global_load_b32 v48, v[29:30], off
	s_clause 0x3
	global_load_b128 v[32:35], v[23:24], off
	global_load_b128 v[36:39], v[23:24], off offset:16
	global_load_b128 v[40:43], v[23:24], off offset:32
	global_load_b128 v[44:47], v[23:24], off offset:48
	v_add_co_u32 v29, s3, 0x80, v29
	s_delay_alu instid0(VALU_DEP_1)
	v_add_co_ci_u32_e64 v30, s3, 0, v30, s3
	s_waitcnt vmcnt(4)
	v_subrev_nc_u32_e32 v48, s12, v48
	s_waitcnt vmcnt(3)
	v_cvt_f64_f32_e32 v[56:57], v32
	s_waitcnt vmcnt(2)
	v_cvt_f64_f32_e32 v[58:59], v36
	;; [unrolled: 2-line block ×4, first 2 shown]
	v_lshlrev_b32_e32 v48, 2, v48
	v_cvt_f64_f32_e32 v[32:33], v33
	v_cvt_f64_f32_e32 v[36:37], v37
	v_cvt_f64_f32_e32 v[40:41], v41
	v_cvt_f64_f32_e32 v[44:45], v45
	v_ashrrev_i32_e32 v49, 31, v48
	s_delay_alu instid0(VALU_DEP_1) | instskip(SKIP_1) | instid1(VALU_DEP_1)
	v_lshlrev_b64 v[48:49], 3, v[48:49]
	s_waitcnt lgkmcnt(0)
	v_add_co_u32 v52, vcc_lo, s4, v48
	s_delay_alu instid0(VALU_DEP_2)
	v_add_co_ci_u32_e32 v53, vcc_lo, s5, v49, vcc_lo
	v_add_co_u32 v23, vcc_lo, 0x800, v23
	v_add_co_ci_u32_e32 v24, vcc_lo, 0, v24, vcc_lo
	s_clause 0x1
	global_load_b128 v[48:51], v[52:53], off
	global_load_b128 v[52:55], v[52:53], off offset:16
	v_add_co_u32 v27, vcc_lo, v27, -16
	v_add_co_ci_u32_e32 v28, vcc_lo, -1, v28, vcc_lo
	v_add_co_u32 v21, vcc_lo, v21, 32
	v_add_co_ci_u32_e32 v22, vcc_lo, 0, v22, vcc_lo
	s_delay_alu instid0(VALU_DEP_3)
	v_cmp_eq_u64_e32 vcc_lo, 0, v[27:28]
	s_or_b32 s10, vcc_lo, s10
	s_waitcnt vmcnt(1)
	v_fma_f64 v[13:14], v[56:57], v[48:49], v[13:14]
	v_fma_f64 v[17:18], v[58:59], v[48:49], v[17:18]
	;; [unrolled: 1-line block ×4, first 2 shown]
	v_cvt_f64_f32_e32 v[48:49], v34
	v_cvt_f64_f32_e32 v[56:57], v38
	;; [unrolled: 1-line block ×4, first 2 shown]
	v_fma_f64 v[13:14], v[32:33], v[50:51], v[13:14]
	v_fma_f64 v[17:18], v[36:37], v[50:51], v[17:18]
	;; [unrolled: 1-line block ×4, first 2 shown]
	v_cvt_f64_f32_e32 v[32:33], v35
	v_cvt_f64_f32_e32 v[34:35], v39
	;; [unrolled: 1-line block ×4, first 2 shown]
	s_waitcnt vmcnt(0)
	v_fma_f64 v[13:14], v[48:49], v[52:53], v[13:14]
	v_fma_f64 v[17:18], v[56:57], v[52:53], v[17:18]
	;; [unrolled: 1-line block ×4, first 2 shown]
	s_delay_alu instid0(VALU_DEP_4) | instskip(NEXT) | instid1(VALU_DEP_4)
	v_fma_f64 v[13:14], v[32:33], v[54:55], v[13:14]
	v_fma_f64 v[17:18], v[34:35], v[54:55], v[17:18]
	s_delay_alu instid0(VALU_DEP_4) | instskip(NEXT) | instid1(VALU_DEP_4)
	v_fma_f64 v[15:16], v[36:37], v[54:55], v[15:16]
	v_fma_f64 v[11:12], v[38:39], v[54:55], v[11:12]
	s_and_not1_b32 exec_lo, exec_lo, s10
	s_cbranch_execnz .LBB158_17
; %bb.18:
	s_or_b32 exec_lo, exec_lo, s10
.LBB158_19:
	s_delay_alu instid0(SALU_CYCLE_1) | instskip(NEXT) | instid1(SALU_CYCLE_1)
	s_or_b32 exec_lo, exec_lo, s7
	s_mov_b32 s7, exec_lo
	v_cmpx_lt_u64_e32 0x5f, v[25:26]
	s_cbranch_execz .LBB158_23
; %bb.20:
	v_lshlrev_b64 v[25:26], 2, v[21:22]
	s_mov_b32 s10, 0
	s_delay_alu instid0(VALU_DEP_1) | instskip(NEXT) | instid1(VALU_DEP_2)
	v_add_co_u32 v25, vcc_lo, v25, s8
	v_add_co_ci_u32_e32 v26, vcc_lo, s9, v26, vcc_lo
	s_delay_alu instid0(VALU_DEP_2) | instskip(NEXT) | instid1(VALU_DEP_2)
	v_add_co_u32 v25, vcc_lo, 0x100, v25
	v_add_co_ci_u32_e32 v26, vcc_lo, 0, v26, vcc_lo
.LBB158_21:                             ; =>This Inner Loop Header: Depth=1
	s_clause 0x2
	global_load_b32 v44, v[25:26], off offset:-256
	global_load_b32 v68, v[25:26], off offset:-128
	global_load_b32 v92, v[25:26], off
	s_clause 0x3
	global_load_b128 v[27:30], v[23:24], off
	global_load_b128 v[32:35], v[23:24], off offset:16
	global_load_b128 v[36:39], v[23:24], off offset:32
	;; [unrolled: 1-line block ×3, first 2 shown]
	global_load_b32 v108, v[25:26], off offset:128
	s_waitcnt vmcnt(7)
	v_subrev_nc_u32_e32 v44, s12, v44
	s_waitcnt vmcnt(6)
	v_subrev_nc_u32_e32 v68, s12, v68
	;; [unrolled: 2-line block ×3, first 2 shown]
	s_waitcnt vmcnt(4)
	v_cvt_f64_f32_e32 v[98:99], v27
	s_waitcnt vmcnt(3)
	v_cvt_f64_f32_e32 v[100:101], v32
	v_lshlrev_b32_e32 v44, 2, v44
	v_lshlrev_b32_e32 v68, 2, v68
	;; [unrolled: 1-line block ×3, first 2 shown]
	s_waitcnt vmcnt(2)
	v_cvt_f64_f32_e32 v[102:103], v36
	s_waitcnt vmcnt(1)
	v_cvt_f64_f32_e32 v[104:105], v40
	v_ashrrev_i32_e32 v45, 31, v44
	v_ashrrev_i32_e32 v69, 31, v68
	;; [unrolled: 1-line block ×3, first 2 shown]
	v_cvt_f64_f32_e32 v[27:28], v28
	v_cvt_f64_f32_e32 v[32:33], v33
	v_lshlrev_b64 v[44:45], 3, v[44:45]
	v_lshlrev_b64 v[68:69], 3, v[68:69]
	;; [unrolled: 1-line block ×3, first 2 shown]
	v_cvt_f64_f32_e32 v[36:37], v37
	v_cvt_f64_f32_e32 v[40:41], v41
	s_waitcnt vmcnt(0)
	v_subrev_nc_u32_e32 v110, s12, v108
	s_waitcnt lgkmcnt(0)
	v_add_co_u32 v48, vcc_lo, s4, v44
	v_add_co_ci_u32_e32 v49, vcc_lo, s5, v45, vcc_lo
	v_add_co_u32 v72, vcc_lo, s4, v68
	v_add_co_ci_u32_e32 v73, vcc_lo, s5, v69, vcc_lo
	s_clause 0x1
	global_load_b128 v[44:47], v[48:49], off
	global_load_b128 v[48:51], v[48:49], off offset:16
	s_clause 0x3
	global_load_b128 v[52:55], v[23:24], off offset:2048
	global_load_b128 v[56:59], v[23:24], off offset:2064
	;; [unrolled: 1-line block ×4, first 2 shown]
	v_add_co_u32 v96, vcc_lo, 0x1000, v23
	s_clause 0x1
	global_load_b128 v[68:71], v[72:73], off
	global_load_b128 v[72:75], v[72:73], off offset:16
	v_add_co_ci_u32_e32 v97, vcc_lo, 0, v24, vcc_lo
	s_clause 0x3
	global_load_b128 v[76:79], v[96:97], off
	global_load_b128 v[80:83], v[96:97], off offset:16
	global_load_b128 v[84:87], v[96:97], off offset:32
	;; [unrolled: 1-line block ×3, first 2 shown]
	v_add_co_u32 v106, vcc_lo, s4, v92
	v_add_co_ci_u32_e32 v107, vcc_lo, s5, v93, vcc_lo
	v_lshlrev_b32_e32 v110, 2, v110
	v_add_co_u32 v23, s3, 0x2000, v23
	global_load_b128 v[92:95], v[106:107], off
	v_add_co_ci_u32_e64 v24, s3, 0, v24, s3
	v_ashrrev_i32_e32 v111, 31, v110
	s_waitcnt vmcnt(12)
	v_fma_f64 v[13:14], v[98:99], v[44:45], v[13:14]
	v_fma_f64 v[17:18], v[100:101], v[44:45], v[17:18]
	;; [unrolled: 1-line block ×4, first 2 shown]
	v_cvt_f64_f32_e32 v[44:45], v29
	v_cvt_f64_f32_e32 v[98:99], v34
	;; [unrolled: 1-line block ×6, first 2 shown]
	s_waitcnt vmcnt(7)
	v_cvt_f64_f32_e32 v[108:109], v64
	v_cvt_f64_f32_e32 v[64:65], v65
	v_fma_f64 v[27:28], v[27:28], v[46:47], v[13:14]
	v_fma_f64 v[17:18], v[32:33], v[46:47], v[17:18]
	;; [unrolled: 1-line block ×4, first 2 shown]
	global_load_b128 v[11:14], v[106:107], off offset:16
	v_cvt_f64_f32_e32 v[40:41], v30
	v_cvt_f64_f32_e32 v[46:47], v35
	;; [unrolled: 1-line block ×4, first 2 shown]
	v_fma_f64 v[44:45], v[44:45], v[48:49], v[27:28]
	v_fma_f64 v[98:99], v[98:99], v[48:49], v[17:18]
	;; [unrolled: 1-line block ×4, first 2 shown]
	s_clause 0x3
	global_load_b128 v[15:18], v[96:97], off offset:2048
	global_load_b128 v[27:30], v[96:97], off offset:2064
	;; [unrolled: 1-line block ×4, first 2 shown]
	v_cvt_f64_f32_e32 v[96:97], v52
	v_cvt_f64_f32_e32 v[102:103], v56
	;; [unrolled: 1-line block ×4, first 2 shown]
	v_fma_f64 v[44:45], v[40:41], v[50:51], v[44:45]
	v_fma_f64 v[46:47], v[46:47], v[50:51], v[98:99]
	;; [unrolled: 1-line block ×4, first 2 shown]
	v_lshlrev_b64 v[40:41], 3, v[110:111]
	v_cvt_f64_f32_e32 v[100:101], v62
	s_delay_alu instid0(VALU_DEP_2) | instskip(NEXT) | instid1(VALU_DEP_3)
	v_add_co_u32 v50, vcc_lo, s4, v40
	v_add_co_ci_u32_e32 v51, vcc_lo, s5, v41, vcc_lo
	v_add_co_u32 v21, vcc_lo, 0x80, v21
	v_add_co_ci_u32_e32 v22, vcc_lo, 0, v22, vcc_lo
	global_load_b128 v[40:43], v[50:51], off
	v_add_co_u32 v25, vcc_lo, 0x200, v25
	v_add_co_ci_u32_e32 v26, vcc_lo, 0, v26, vcc_lo
	v_cmp_ge_i64_e32 vcc_lo, v[21:22], v[4:5]
	s_or_b32 s10, vcc_lo, s10
	s_waitcnt vmcnt(12)
	v_fma_f64 v[44:45], v[96:97], v[68:69], v[44:45]
	v_fma_f64 v[46:47], v[102:103], v[68:69], v[46:47]
	;; [unrolled: 1-line block ×4, first 2 shown]
	v_cvt_f64_f32_e32 v[68:69], v54
	v_cvt_f64_f32_e32 v[98:99], v58
	;; [unrolled: 1-line block ×3, first 2 shown]
	v_fma_f64 v[52:53], v[52:53], v[70:71], v[44:45]
	v_fma_f64 v[56:57], v[56:57], v[70:71], v[46:47]
	global_load_b128 v[44:47], v[50:51], off offset:16
	v_fma_f64 v[60:61], v[60:61], v[70:71], v[96:97]
	v_fma_f64 v[48:49], v[64:65], v[70:71], v[48:49]
	v_cvt_f64_f32_e32 v[50:51], v55
	v_cvt_f64_f32_e32 v[54:55], v59
	;; [unrolled: 1-line block ×4, first 2 shown]
	s_waitcnt vmcnt(11)
	v_cvt_f64_f32_e32 v[64:65], v76
	s_waitcnt vmcnt(10)
	v_cvt_f64_f32_e32 v[66:67], v80
	;; [unrolled: 2-line block ×3, first 2 shown]
	v_fma_f64 v[52:53], v[68:69], v[72:73], v[52:53]
	v_fma_f64 v[56:57], v[98:99], v[72:73], v[56:57]
	v_cvt_f64_f32_e32 v[68:69], v84
	v_fma_f64 v[60:61], v[100:101], v[72:73], v[60:61]
	v_fma_f64 v[48:49], v[102:103], v[72:73], v[48:49]
	;; [unrolled: 1-line block ×4, first 2 shown]
	v_cvt_f64_f32_e32 v[56:57], v77
	v_fma_f64 v[54:55], v[58:59], v[74:75], v[60:61]
	v_fma_f64 v[48:49], v[62:63], v[74:75], v[48:49]
	v_cvt_f64_f32_e32 v[58:59], v81
	v_cvt_f64_f32_e32 v[60:61], v85
	v_cvt_f64_f32_e32 v[62:63], v89
	s_waitcnt vmcnt(7)
	v_fma_f64 v[50:51], v[64:65], v[92:93], v[50:51]
	v_fma_f64 v[52:53], v[66:67], v[92:93], v[52:53]
	v_cvt_f64_f32_e32 v[64:65], v78
	v_fma_f64 v[54:55], v[68:69], v[92:93], v[54:55]
	v_fma_f64 v[48:49], v[70:71], v[92:93], v[48:49]
	v_cvt_f64_f32_e32 v[66:67], v82
	v_cvt_f64_f32_e32 v[68:69], v86
	;; [unrolled: 1-line block ×3, first 2 shown]
	v_fma_f64 v[50:51], v[56:57], v[94:95], v[50:51]
	v_fma_f64 v[52:53], v[58:59], v[94:95], v[52:53]
	v_cvt_f64_f32_e32 v[56:57], v79
	v_fma_f64 v[54:55], v[60:61], v[94:95], v[54:55]
	v_fma_f64 v[48:49], v[62:63], v[94:95], v[48:49]
	v_cvt_f64_f32_e32 v[58:59], v83
	v_cvt_f64_f32_e32 v[60:61], v87
	;; [unrolled: 1-line block ×3, first 2 shown]
	s_waitcnt vmcnt(6)
	v_fma_f64 v[50:51], v[64:65], v[11:12], v[50:51]
	v_fma_f64 v[52:53], v[66:67], v[11:12], v[52:53]
	;; [unrolled: 1-line block ×4, first 2 shown]
	s_waitcnt vmcnt(5)
	v_cvt_f64_f32_e32 v[48:49], v15
	s_waitcnt vmcnt(4)
	v_cvt_f64_f32_e32 v[64:65], v27
	;; [unrolled: 2-line block ×4, first 2 shown]
	v_fma_f64 v[50:51], v[56:57], v[13:14], v[50:51]
	v_fma_f64 v[52:53], v[58:59], v[13:14], v[52:53]
	v_cvt_f64_f32_e32 v[56:57], v38
	v_fma_f64 v[54:55], v[60:61], v[13:14], v[54:55]
	v_fma_f64 v[11:12], v[62:63], v[13:14], v[11:12]
	v_cvt_f64_f32_e32 v[13:14], v16
	v_cvt_f64_f32_e32 v[15:16], v28
	;; [unrolled: 1-line block ×4, first 2 shown]
	s_waitcnt vmcnt(1)
	v_fma_f64 v[36:37], v[48:49], v[40:41], v[50:51]
	v_fma_f64 v[48:49], v[64:65], v[40:41], v[52:53]
	v_cvt_f64_f32_e32 v[52:53], v29
	v_fma_f64 v[50:51], v[66:67], v[40:41], v[54:55]
	v_fma_f64 v[11:12], v[68:69], v[40:41], v[11:12]
	v_cvt_f64_f32_e32 v[40:41], v17
	v_cvt_f64_f32_e32 v[54:55], v34
	;; [unrolled: 1-line block ×4, first 2 shown]
	v_fma_f64 v[13:14], v[13:14], v[42:43], v[36:37]
	v_fma_f64 v[15:16], v[15:16], v[42:43], v[48:49]
	;; [unrolled: 1-line block ×4, first 2 shown]
	v_cvt_f64_f32_e32 v[32:33], v35
	v_cvt_f64_f32_e32 v[34:35], v39
	s_waitcnt vmcnt(0)
	v_fma_f64 v[13:14], v[40:41], v[44:45], v[13:14]
	v_fma_f64 v[15:16], v[52:53], v[44:45], v[15:16]
	;; [unrolled: 1-line block ×4, first 2 shown]
	s_delay_alu instid0(VALU_DEP_4) | instskip(NEXT) | instid1(VALU_DEP_4)
	v_fma_f64 v[13:14], v[17:18], v[46:47], v[13:14]
	v_fma_f64 v[17:18], v[29:30], v[46:47], v[15:16]
	s_delay_alu instid0(VALU_DEP_4) | instskip(NEXT) | instid1(VALU_DEP_4)
	v_fma_f64 v[15:16], v[32:33], v[46:47], v[27:28]
	v_fma_f64 v[11:12], v[34:35], v[46:47], v[11:12]
	s_and_not1_b32 exec_lo, exec_lo, s10
	s_cbranch_execnz .LBB158_21
; %bb.22:
	s_or_b32 exec_lo, exec_lo, s10
.LBB158_23:
	s_delay_alu instid0(SALU_CYCLE_1)
	s_or_b32 exec_lo, exec_lo, s7
.LBB158_24:
	s_delay_alu instid0(SALU_CYCLE_1)
	s_or_b32 exec_lo, exec_lo, s6
	s_cbranch_execz .LBB158_26
	s_branch .LBB158_37
.LBB158_25:
                                        ; implicit-def: $vgpr11_vgpr12
                                        ; implicit-def: $vgpr15_vgpr16
                                        ; implicit-def: $vgpr17_vgpr18
                                        ; implicit-def: $vgpr13_vgpr14
.LBB158_26:
	v_mov_b32_e32 v11, 0
	v_mov_b32_e32 v12, 0
	s_delay_alu instid0(VALU_DEP_1)
	v_dual_mov_b32 v16, v12 :: v_dual_mov_b32 v15, v11
	v_dual_mov_b32 v18, v12 :: v_dual_mov_b32 v17, v11
	;; [unrolled: 1-line block ×3, first 2 shown]
	s_and_saveexec_b32 s3, s2
	s_cbranch_execz .LBB158_36
; %bb.27:
	v_or_b32_e32 v11, 32, v31
	v_not_b32_e32 v14, v19
	v_not_b32_e32 v13, v20
	s_mov_b32 s7, 0
	s_mov_b32 s6, exec_lo
	v_sub_co_u32 v11, s2, v11, s12
	s_delay_alu instid0(VALU_DEP_1) | instskip(SKIP_1) | instid1(VALU_DEP_3)
	v_sub_co_ci_u32_e64 v12, null, 0, 0, s2
	v_sub_co_u32 v15, s2, s12, v31
	v_add_co_u32 v11, vcc_lo, v11, v19
	s_delay_alu instid0(VALU_DEP_3) | instskip(SKIP_1) | instid1(VALU_DEP_2)
	v_add_co_ci_u32_e32 v12, vcc_lo, v12, v20, vcc_lo
	v_sub_co_ci_u32_e64 v16, null, 0, 0, s2
	v_cmp_gt_i64_e32 vcc_lo, v[11:12], v[4:5]
	v_dual_cndmask_b32 v12, v5, v12 :: v_dual_cndmask_b32 v11, v4, v11
	v_add_co_u32 v14, vcc_lo, v15, v14
	s_delay_alu instid0(VALU_DEP_4) | instskip(NEXT) | instid1(VALU_DEP_2)
	v_add_co_ci_u32_e32 v13, vcc_lo, v16, v13, vcc_lo
	v_add_co_u32 v19, vcc_lo, v14, v11
	s_delay_alu instid0(VALU_DEP_2) | instskip(SKIP_1) | instid1(VALU_DEP_3)
	v_add_co_ci_u32_e32 v20, vcc_lo, v13, v12, vcc_lo
	v_mov_b32_e32 v13, 0
	v_lshrrev_b32_e32 v11, 5, v19
	s_delay_alu instid0(VALU_DEP_1) | instskip(NEXT) | instid1(VALU_DEP_1)
	v_dual_mov_b32 v14, 0 :: v_dual_add_nc_u32 v11, 1, v11
	v_dual_mov_b32 v18, v14 :: v_dual_mov_b32 v17, v13
	v_dual_mov_b32 v16, v14 :: v_dual_mov_b32 v15, v13
	s_delay_alu instid0(VALU_DEP_3) | instskip(SKIP_1) | instid1(VALU_DEP_2)
	v_and_b32_e32 v21, 3, v11
	v_dual_mov_b32 v11, v13 :: v_dual_mov_b32 v12, v14
	v_cmpx_ne_u32_e32 0, v21
	s_cbranch_execz .LBB158_31
; %bb.28:
	v_lshlrev_b64 v[13:14], 2, v[0:1]
	v_dual_mov_b32 v22, 0 :: v_dual_mov_b32 v11, 0
	v_dual_mov_b32 v12, 0 :: v_dual_lshlrev_b32 v21, 4, v21
	s_delay_alu instid0(VALU_DEP_3) | instskip(NEXT) | instid1(VALU_DEP_4)
	v_add_co_u32 v23, vcc_lo, s8, v13
	v_add_co_ci_u32_e32 v24, vcc_lo, s9, v14, vcc_lo
	s_delay_alu instid0(VALU_DEP_3)
	v_dual_mov_b32 v16, v12 :: v_dual_mov_b32 v15, v11
	v_dual_mov_b32 v18, v12 :: v_dual_mov_b32 v17, v11
	;; [unrolled: 1-line block ×3, first 2 shown]
.LBB158_29:                             ; =>This Inner Loop Header: Depth=1
	global_load_b32 v29, v[23:24], off
	s_clause 0x1
	global_load_b128 v[25:28], v[6:7], off
	global_load_b128 v[32:35], v[6:7], off offset:16
	v_add_co_u32 v23, s2, 0x80, v23
	s_delay_alu instid0(VALU_DEP_1)
	v_add_co_ci_u32_e64 v24, s2, 0, v24, s2
	s_waitcnt vmcnt(2)
	v_subrev_nc_u32_e32 v29, s12, v29
	s_waitcnt vmcnt(1)
	v_cvt_f64_f32_e32 v[52:53], v27
	v_cvt_f64_f32_e32 v[27:28], v28
	s_waitcnt vmcnt(0)
	v_cvt_f64_f32_e32 v[54:55], v32
	v_cvt_f64_f32_e32 v[32:33], v33
	v_lshlrev_b32_e32 v29, 2, v29
	v_cvt_f64_f32_e32 v[56:57], v34
	v_cvt_f64_f32_e32 v[34:35], v35
	s_delay_alu instid0(VALU_DEP_3) | instskip(NEXT) | instid1(VALU_DEP_1)
	v_ashrrev_i32_e32 v30, 31, v29
	v_lshlrev_b64 v[29:30], 3, v[29:30]
	s_waitcnt lgkmcnt(0)
	s_delay_alu instid0(VALU_DEP_1) | instskip(NEXT) | instid1(VALU_DEP_2)
	v_add_co_u32 v29, vcc_lo, s4, v29
	v_add_co_ci_u32_e32 v30, vcc_lo, s5, v30, vcc_lo
	s_clause 0x1
	global_load_b128 v[36:39], v[29:30], off
	global_load_b128 v[40:43], v[29:30], off offset:16
	s_clause 0x1
	global_load_b128 v[44:47], v[6:7], off offset:32
	global_load_b128 v[48:51], v[6:7], off offset:48
	v_cvt_f64_f32_e32 v[29:30], v25
	v_cvt_f64_f32_e32 v[25:26], v26
	v_add_co_u32 v6, vcc_lo, 0x800, v6
	v_add_co_ci_u32_e32 v7, vcc_lo, 0, v7, vcc_lo
	v_add_co_u32 v21, vcc_lo, v21, -16
	v_add_co_ci_u32_e32 v22, vcc_lo, -1, v22, vcc_lo
	v_add_co_u32 v0, vcc_lo, v0, 32
	v_add_co_ci_u32_e32 v1, vcc_lo, 0, v1, vcc_lo
	s_delay_alu instid0(VALU_DEP_3)
	v_cmp_eq_u64_e32 vcc_lo, 0, v[21:22]
	s_or_b32 s7, vcc_lo, s7
	s_waitcnt vmcnt(3)
	v_fma_f64 v[13:14], v[29:30], v[36:37], v[13:14]
	v_fma_f64 v[17:18], v[25:26], v[36:37], v[17:18]
	;; [unrolled: 1-line block ×4, first 2 shown]
	s_waitcnt vmcnt(1)
	v_cvt_f64_f32_e32 v[25:26], v44
	v_cvt_f64_f32_e32 v[27:28], v45
	;; [unrolled: 1-line block ×4, first 2 shown]
	s_waitcnt vmcnt(0)
	v_cvt_f64_f32_e32 v[44:45], v51
	v_fma_f64 v[13:14], v[54:55], v[38:39], v[13:14]
	v_fma_f64 v[17:18], v[32:33], v[38:39], v[17:18]
	;; [unrolled: 1-line block ×4, first 2 shown]
	v_cvt_f64_f32_e32 v[32:33], v48
	v_cvt_f64_f32_e32 v[34:35], v49
	;; [unrolled: 1-line block ×3, first 2 shown]
	v_fma_f64 v[13:14], v[25:26], v[40:41], v[13:14]
	v_fma_f64 v[17:18], v[27:28], v[40:41], v[17:18]
	;; [unrolled: 1-line block ×4, first 2 shown]
	s_delay_alu instid0(VALU_DEP_4) | instskip(NEXT) | instid1(VALU_DEP_4)
	v_fma_f64 v[13:14], v[32:33], v[42:43], v[13:14]
	v_fma_f64 v[17:18], v[34:35], v[42:43], v[17:18]
	s_delay_alu instid0(VALU_DEP_4) | instskip(NEXT) | instid1(VALU_DEP_4)
	v_fma_f64 v[15:16], v[38:39], v[42:43], v[15:16]
	v_fma_f64 v[11:12], v[44:45], v[42:43], v[11:12]
	s_and_not1_b32 exec_lo, exec_lo, s7
	s_cbranch_execnz .LBB158_29
; %bb.30:
	s_or_b32 exec_lo, exec_lo, s7
.LBB158_31:
	s_delay_alu instid0(SALU_CYCLE_1) | instskip(NEXT) | instid1(SALU_CYCLE_1)
	s_or_b32 exec_lo, exec_lo, s6
	s_mov_b32 s6, exec_lo
	v_cmpx_lt_u64_e32 0x5f, v[19:20]
	s_cbranch_execz .LBB158_35
; %bb.32:
	v_lshlrev_b64 v[19:20], 2, v[0:1]
	s_mov_b32 s7, 0
	s_delay_alu instid0(VALU_DEP_1) | instskip(NEXT) | instid1(VALU_DEP_2)
	v_add_co_u32 v19, vcc_lo, v19, s8
	v_add_co_ci_u32_e32 v20, vcc_lo, s9, v20, vcc_lo
	s_delay_alu instid0(VALU_DEP_2) | instskip(NEXT) | instid1(VALU_DEP_2)
	v_add_co_u32 v19, vcc_lo, 0x100, v19
	v_add_co_ci_u32_e32 v20, vcc_lo, 0, v20, vcc_lo
.LBB158_33:                             ; =>This Inner Loop Header: Depth=1
	s_clause 0x2
	global_load_b32 v25, v[19:20], off offset:-256
	global_load_b32 v52, v[19:20], off offset:-128
	global_load_b32 v76, v[19:20], off
	global_load_b128 v[21:24], v[6:7], off
	global_load_b32 v94, v[19:20], off offset:128
	s_waitcnt vmcnt(4)
	v_subrev_nc_u32_e32 v25, s12, v25
	s_waitcnt vmcnt(2)
	v_subrev_nc_u32_e32 v76, s12, v76
	s_waitcnt vmcnt(1)
	v_cvt_f64_f32_e32 v[80:81], v21
	v_cvt_f64_f32_e32 v[82:83], v22
	v_lshlrev_b32_e32 v25, 2, v25
	v_cvt_f64_f32_e32 v[84:85], v23
	v_cvt_f64_f32_e32 v[86:87], v24
	v_lshlrev_b32_e32 v21, 2, v76
	s_delay_alu instid0(VALU_DEP_4) | instskip(NEXT) | instid1(VALU_DEP_2)
	v_ashrrev_i32_e32 v26, 31, v25
	v_ashrrev_i32_e32 v22, 31, v21
	s_delay_alu instid0(VALU_DEP_2) | instskip(NEXT) | instid1(VALU_DEP_2)
	v_lshlrev_b64 v[25:26], 3, v[25:26]
	v_lshlrev_b64 v[21:22], 3, v[21:22]
	s_waitcnt lgkmcnt(0)
	s_delay_alu instid0(VALU_DEP_2) | instskip(NEXT) | instid1(VALU_DEP_3)
	v_add_co_u32 v29, vcc_lo, s4, v25
	v_add_co_ci_u32_e32 v30, vcc_lo, s5, v26, vcc_lo
	global_load_b128 v[25:28], v[6:7], off offset:16
	global_load_b128 v[32:35], v[29:30], off
	s_clause 0x1
	global_load_b128 v[36:39], v[6:7], off offset:32
	global_load_b128 v[40:43], v[6:7], off offset:48
	;; [unrolled: 1-line block ×4, first 2 shown]
	v_subrev_nc_u32_e32 v29, s12, v52
	s_delay_alu instid0(VALU_DEP_1) | instskip(NEXT) | instid1(VALU_DEP_1)
	v_lshlrev_b32_e32 v29, 2, v29
	v_ashrrev_i32_e32 v30, 31, v29
	s_delay_alu instid0(VALU_DEP_1) | instskip(NEXT) | instid1(VALU_DEP_1)
	v_lshlrev_b64 v[29:30], 3, v[29:30]
	v_add_co_u32 v29, vcc_lo, s4, v29
	s_delay_alu instid0(VALU_DEP_2)
	v_add_co_ci_u32_e32 v30, vcc_lo, s5, v30, vcc_lo
	global_load_b128 v[52:55], v[6:7], off offset:2064
	global_load_b128 v[56:59], v[29:30], off
	s_clause 0x1
	global_load_b128 v[60:63], v[6:7], off offset:2080
	global_load_b128 v[64:67], v[6:7], off offset:2096
	;; [unrolled: 1-line block ×3, first 2 shown]
	v_add_co_u32 v29, vcc_lo, 0x1000, v6
	v_add_co_ci_u32_e32 v30, vcc_lo, 0, v7, vcc_lo
	v_add_co_u32 v88, vcc_lo, s4, v21
	v_add_co_ci_u32_e32 v89, vcc_lo, s5, v22, vcc_lo
	s_clause 0x1
	global_load_b128 v[72:75], v[29:30], off
	global_load_b128 v[21:24], v[29:30], off offset:16
	global_load_b128 v[76:79], v[88:89], off
	v_add_co_u32 v6, s2, 0x2000, v6
	s_delay_alu instid0(VALU_DEP_1)
	v_add_co_ci_u32_e64 v7, s2, 0, v7, s2
	s_waitcnt vmcnt(13)
	v_cvt_f64_f32_e32 v[90:91], v25
	v_cvt_f64_f32_e32 v[25:26], v26
	;; [unrolled: 1-line block ×4, first 2 shown]
	s_waitcnt vmcnt(12)
	v_fma_f64 v[80:81], v[80:81], v[32:33], v[13:14]
	v_fma_f64 v[17:18], v[82:83], v[32:33], v[17:18]
	;; [unrolled: 1-line block ×4, first 2 shown]
	global_load_b128 v[11:14], v[29:30], off offset:32
	s_waitcnt vmcnt(12)
	v_cvt_f64_f32_e32 v[82:83], v36
	v_cvt_f64_f32_e32 v[36:37], v37
	;; [unrolled: 1-line block ×4, first 2 shown]
	v_fma_f64 v[80:81], v[90:91], v[34:35], v[80:81]
	v_fma_f64 v[86:87], v[25:26], v[34:35], v[17:18]
	;; [unrolled: 1-line block ×4, first 2 shown]
	global_load_b128 v[15:18], v[29:30], off offset:48
	global_load_b128 v[25:28], v[88:89], off offset:16
	s_waitcnt vmcnt(13)
	v_cvt_f64_f32_e32 v[88:89], v40
	v_cvt_f64_f32_e32 v[40:41], v41
	;; [unrolled: 1-line block ×4, first 2 shown]
	s_waitcnt vmcnt(12)
	v_fma_f64 v[80:81], v[82:83], v[44:45], v[80:81]
	v_fma_f64 v[36:37], v[36:37], v[44:45], v[86:87]
	;; [unrolled: 1-line block ×4, first 2 shown]
	global_load_b128 v[32:35], v[29:30], off offset:2048
	v_subrev_nc_u32_e32 v86, s12, v94
	s_waitcnt vmcnt(12)
	v_cvt_f64_f32_e32 v[44:45], v48
	v_cvt_f64_f32_e32 v[48:49], v49
	;; [unrolled: 1-line block ×4, first 2 shown]
	v_lshlrev_b32_e32 v86, 2, v86
	s_waitcnt vmcnt(11)
	v_cvt_f64_f32_e32 v[90:91], v52
	v_cvt_f64_f32_e32 v[52:53], v53
	s_delay_alu instid0(VALU_DEP_3)
	v_ashrrev_i32_e32 v87, 31, v86
	v_fma_f64 v[80:81], v[88:89], v[46:47], v[80:81]
	v_fma_f64 v[88:89], v[40:41], v[46:47], v[36:37]
	v_fma_f64 v[82:83], v[92:93], v[46:47], v[82:83]
	v_fma_f64 v[46:47], v[42:43], v[46:47], v[38:39]
	v_lshlrev_b64 v[36:37], 3, v[86:87]
	v_cvt_f64_f32_e32 v[92:93], v54
	v_cvt_f64_f32_e32 v[54:55], v55
	s_delay_alu instid0(VALU_DEP_3) | instskip(NEXT) | instid1(VALU_DEP_4)
	v_add_co_u32 v86, vcc_lo, s4, v36
	v_add_co_ci_u32_e32 v87, vcc_lo, s5, v37, vcc_lo
	global_load_b128 v[36:39], v[29:30], off offset:2064
	global_load_b128 v[40:43], v[86:87], off
	v_add_co_u32 v0, vcc_lo, 0x80, v0
	v_add_co_ci_u32_e32 v1, vcc_lo, 0, v1, vcc_lo
	v_add_co_u32 v19, vcc_lo, 0x200, v19
	v_add_co_ci_u32_e32 v20, vcc_lo, 0, v20, vcc_lo
	s_delay_alu instid0(VALU_DEP_3)
	v_cmp_ge_i64_e32 vcc_lo, v[0:1], v[4:5]
	s_or_b32 s7, vcc_lo, s7
	s_waitcnt vmcnt(12)
	v_fma_f64 v[80:81], v[44:45], v[56:57], v[80:81]
	v_fma_f64 v[48:49], v[48:49], v[56:57], v[88:89]
	;; [unrolled: 1-line block ×4, first 2 shown]
	global_load_b128 v[44:47], v[29:30], off offset:2080
	s_waitcnt vmcnt(12)
	v_cvt_f64_f32_e32 v[56:57], v60
	v_cvt_f64_f32_e32 v[60:61], v61
	;; [unrolled: 1-line block ×4, first 2 shown]
	v_fma_f64 v[80:81], v[90:91], v[58:59], v[80:81]
	v_fma_f64 v[88:89], v[52:53], v[58:59], v[48:49]
	;; [unrolled: 1-line block ×4, first 2 shown]
	global_load_b128 v[48:51], v[29:30], off offset:2096
	global_load_b128 v[52:55], v[86:87], off offset:16
	s_waitcnt vmcnt(13)
	v_cvt_f64_f32_e32 v[29:30], v64
	v_cvt_f64_f32_e32 v[64:65], v65
	v_cvt_f64_f32_e32 v[86:87], v66
	v_cvt_f64_f32_e32 v[66:67], v67
	s_waitcnt vmcnt(12)
	v_fma_f64 v[56:57], v[56:57], v[68:69], v[80:81]
	v_fma_f64 v[60:61], v[60:61], v[68:69], v[88:89]
	v_fma_f64 v[80:81], v[84:85], v[68:69], v[82:83]
	v_fma_f64 v[58:59], v[62:63], v[68:69], v[58:59]
	s_waitcnt vmcnt(11)
	v_cvt_f64_f32_e32 v[62:63], v72
	v_cvt_f64_f32_e32 v[68:69], v73
	v_cvt_f64_f32_e32 v[72:73], v74
	v_cvt_f64_f32_e32 v[74:75], v75
	v_fma_f64 v[29:30], v[29:30], v[70:71], v[56:57]
	v_fma_f64 v[56:57], v[64:65], v[70:71], v[60:61]
	v_fma_f64 v[60:61], v[86:87], v[70:71], v[80:81]
	v_fma_f64 v[58:59], v[66:67], v[70:71], v[58:59]
	s_waitcnt vmcnt(10)
	v_cvt_f64_f32_e32 v[64:65], v21
	v_cvt_f64_f32_e32 v[21:22], v22
	v_cvt_f64_f32_e32 v[66:67], v23
	v_cvt_f64_f32_e32 v[23:24], v24
	s_waitcnt vmcnt(9)
	v_fma_f64 v[29:30], v[62:63], v[76:77], v[29:30]
	v_fma_f64 v[56:57], v[68:69], v[76:77], v[56:57]
	v_fma_f64 v[60:61], v[72:73], v[76:77], v[60:61]
	v_fma_f64 v[58:59], v[74:75], v[76:77], v[58:59]
	s_waitcnt vmcnt(8)
	v_cvt_f64_f32_e32 v[62:63], v11
	v_cvt_f64_f32_e32 v[11:12], v12
	v_cvt_f64_f32_e32 v[68:69], v13
	v_cvt_f64_f32_e32 v[13:14], v14
	v_fma_f64 v[29:30], v[64:65], v[78:79], v[29:30]
	v_fma_f64 v[21:22], v[21:22], v[78:79], v[56:57]
	v_fma_f64 v[56:57], v[66:67], v[78:79], v[60:61]
	v_fma_f64 v[23:24], v[23:24], v[78:79], v[58:59]
	;; [unrolled: 19-line block ×4, first 2 shown]
	s_waitcnt vmcnt(1)
	v_cvt_f64_f32_e32 v[21:22], v48
	v_cvt_f64_f32_e32 v[23:24], v49
	;; [unrolled: 1-line block ×4, first 2 shown]
	s_waitcnt vmcnt(0)
	v_fma_f64 v[17:18], v[25:26], v[52:53], v[17:18]
	v_fma_f64 v[11:12], v[29:30], v[52:53], v[11:12]
	;; [unrolled: 1-line block ×4, first 2 shown]
	s_delay_alu instid0(VALU_DEP_4) | instskip(NEXT) | instid1(VALU_DEP_4)
	v_fma_f64 v[13:14], v[21:22], v[54:55], v[17:18]
	v_fma_f64 v[17:18], v[23:24], v[54:55], v[11:12]
	s_delay_alu instid0(VALU_DEP_4) | instskip(NEXT) | instid1(VALU_DEP_4)
	v_fma_f64 v[15:16], v[27:28], v[54:55], v[15:16]
	v_fma_f64 v[11:12], v[36:37], v[54:55], v[25:26]
	s_and_not1_b32 exec_lo, exec_lo, s7
	s_cbranch_execnz .LBB158_33
; %bb.34:
	s_or_b32 exec_lo, exec_lo, s7
.LBB158_35:
	s_delay_alu instid0(SALU_CYCLE_1)
	s_or_b32 exec_lo, exec_lo, s6
.LBB158_36:
	s_delay_alu instid0(SALU_CYCLE_1)
	s_or_b32 exec_lo, exec_lo, s3
.LBB158_37:
	v_mbcnt_lo_u32_b32 v23, -1, 0
	s_delay_alu instid0(VALU_DEP_1) | instskip(NEXT) | instid1(VALU_DEP_1)
	v_xor_b32_e32 v0, 16, v23
	v_cmp_gt_i32_e32 vcc_lo, 32, v0
	v_cndmask_b32_e32 v0, v23, v0, vcc_lo
	s_delay_alu instid0(VALU_DEP_1)
	v_lshlrev_b32_e32 v20, 2, v0
	ds_bpermute_b32 v0, v20, v13
	ds_bpermute_b32 v1, v20, v14
	s_waitcnt lgkmcnt(0)
	v_add_f64 v[0:1], v[13:14], v[0:1]
	v_xor_b32_e32 v13, 8, v23
	s_delay_alu instid0(VALU_DEP_1)
	v_cmp_gt_i32_e32 vcc_lo, 32, v13
	v_cndmask_b32_e32 v13, v23, v13, vcc_lo
	ds_bpermute_b32 v4, v20, v17
	ds_bpermute_b32 v5, v20, v18
	;; [unrolled: 1-line block ×6, first 2 shown]
	s_waitcnt lgkmcnt(4)
	v_add_f64 v[4:5], v[17:18], v[4:5]
	s_waitcnt lgkmcnt(2)
	v_add_f64 v[6:7], v[15:16], v[6:7]
	;; [unrolled: 2-line block ×3, first 2 shown]
	v_lshlrev_b32_e32 v20, 2, v13
	ds_bpermute_b32 v13, v20, v0
	ds_bpermute_b32 v14, v20, v1
	s_waitcnt lgkmcnt(0)
	v_add_f64 v[0:1], v[0:1], v[13:14]
	v_xor_b32_e32 v13, 4, v23
	s_delay_alu instid0(VALU_DEP_1)
	v_cmp_gt_i32_e32 vcc_lo, 32, v13
	ds_bpermute_b32 v15, v20, v4
	ds_bpermute_b32 v16, v20, v5
	;; [unrolled: 1-line block ×6, first 2 shown]
	v_cndmask_b32_e32 v13, v23, v13, vcc_lo
	s_waitcnt lgkmcnt(4)
	v_add_f64 v[4:5], v[4:5], v[15:16]
	s_waitcnt lgkmcnt(2)
	v_add_f64 v[6:7], v[6:7], v[17:18]
	s_waitcnt lgkmcnt(0)
	v_add_f64 v[11:12], v[11:12], v[19:20]
	v_lshlrev_b32_e32 v20, 2, v13
	ds_bpermute_b32 v13, v20, v0
	ds_bpermute_b32 v14, v20, v1
	s_waitcnt lgkmcnt(0)
	v_add_f64 v[0:1], v[0:1], v[13:14]
	ds_bpermute_b32 v15, v20, v4
	ds_bpermute_b32 v16, v20, v5
	;; [unrolled: 1-line block ×6, first 2 shown]
	s_waitcnt lgkmcnt(4)
	v_add_f64 v[4:5], v[4:5], v[15:16]
	s_waitcnt lgkmcnt(2)
	v_add_f64 v[13:14], v[6:7], v[17:18]
	v_xor_b32_e32 v6, 2, v23
	s_waitcnt lgkmcnt(0)
	v_add_f64 v[15:16], v[11:12], v[19:20]
	s_delay_alu instid0(VALU_DEP_2) | instskip(SKIP_1) | instid1(VALU_DEP_1)
	v_cmp_gt_i32_e32 vcc_lo, 32, v6
	v_cndmask_b32_e32 v6, v23, v6, vcc_lo
	v_lshlrev_b32_e32 v11, 2, v6
	ds_bpermute_b32 v6, v11, v0
	ds_bpermute_b32 v7, v11, v1
	;; [unrolled: 1-line block ×8, first 2 shown]
	s_waitcnt lgkmcnt(6)
	v_add_f64 v[11:12], v[0:1], v[6:7]
	s_waitcnt lgkmcnt(4)
	v_add_f64 v[6:7], v[4:5], v[17:18]
	;; [unrolled: 2-line block ×3, first 2 shown]
	v_xor_b32_e32 v13, 1, v23
	s_waitcnt lgkmcnt(0)
	v_add_f64 v[4:5], v[15:16], v[21:22]
	s_delay_alu instid0(VALU_DEP_2) | instskip(SKIP_2) | instid1(VALU_DEP_2)
	v_cmp_gt_i32_e32 vcc_lo, 32, v13
	v_cndmask_b32_e32 v13, v23, v13, vcc_lo
	v_cmp_eq_u32_e32 vcc_lo, 31, v31
	v_lshlrev_b32_e32 v14, 2, v13
	ds_bpermute_b32 v19, v14, v11
	ds_bpermute_b32 v20, v14, v12
	;; [unrolled: 1-line block ×8, first 2 shown]
	s_and_b32 exec_lo, exec_lo, vcc_lo
	s_cbranch_execz .LBB158_10
; %bb.38:
	s_waitcnt lgkmcnt(6)
	v_add_f64 v[11:12], v[11:12], v[19:20]
	s_waitcnt lgkmcnt(4)
	v_add_f64 v[6:7], v[6:7], v[17:18]
	;; [unrolled: 2-line block ×4, first 2 shown]
	s_load_b64 s[0:1], s[0:1], 0x50
	v_lshlrev_b32_e32 v10, 2, v10
	s_mov_b32 s2, exec_lo
	v_mul_f64 v[4:5], v[2:3], v[11:12]
	v_mul_f64 v[6:7], v[2:3], v[6:7]
	;; [unrolled: 1-line block ×4, first 2 shown]
	v_cmpx_eq_f64_e32 0, v[8:9]
	s_xor_b32 s2, exec_lo, s2
	s_cbranch_execz .LBB158_40
; %bb.39:
	v_ashrrev_i32_e32 v11, 31, v10
	s_delay_alu instid0(VALU_DEP_1) | instskip(SKIP_1) | instid1(VALU_DEP_1)
	v_lshlrev_b64 v[8:9], 3, v[10:11]
                                        ; implicit-def: $vgpr10
	s_waitcnt lgkmcnt(0)
	v_add_co_u32 v8, vcc_lo, s0, v8
	s_delay_alu instid0(VALU_DEP_2)
	v_add_co_ci_u32_e32 v9, vcc_lo, s1, v9, vcc_lo
	s_clause 0x1
	global_store_b128 v[8:9], v[4:7], off
	global_store_b128 v[8:9], v[0:3], off offset:16
                                        ; implicit-def: $vgpr8_vgpr9
                                        ; implicit-def: $vgpr4_vgpr5
                                        ; implicit-def: $vgpr0_vgpr1
.LBB158_40:
	s_and_not1_saveexec_b32 s2, s2
	s_cbranch_execz .LBB158_10
; %bb.41:
	v_ashrrev_i32_e32 v11, 31, v10
	s_delay_alu instid0(VALU_DEP_1) | instskip(SKIP_1) | instid1(VALU_DEP_1)
	v_lshlrev_b64 v[10:11], 3, v[10:11]
	s_waitcnt lgkmcnt(0)
	v_add_co_u32 v18, vcc_lo, s0, v10
	s_delay_alu instid0(VALU_DEP_2)
	v_add_co_ci_u32_e32 v19, vcc_lo, s1, v11, vcc_lo
	s_clause 0x1
	global_load_b128 v[10:13], v[18:19], off
	global_load_b128 v[14:17], v[18:19], off offset:16
	s_waitcnt vmcnt(1)
	v_fma_f64 v[4:5], v[8:9], v[10:11], v[4:5]
	v_fma_f64 v[6:7], v[8:9], v[12:13], v[6:7]
	s_waitcnt vmcnt(0)
	v_fma_f64 v[0:1], v[8:9], v[14:15], v[0:1]
	v_fma_f64 v[2:3], v[8:9], v[16:17], v[2:3]
	s_clause 0x1
	global_store_b128 v[18:19], v[4:7], off
	global_store_b128 v[18:19], v[0:3], off offset:16
	s_nop 0
	s_sendmsg sendmsg(MSG_DEALLOC_VGPRS)
	s_endpgm
	.section	.rodata,"a",@progbits
	.p2align	6, 0x0
	.amdhsa_kernel _ZN9rocsparseL18bsrxmvn_4x4_kernelILj128ELj32EdlifddEEvT3_20rocsparse_direction_NS_24const_host_device_scalarIT1_EES1_PKS1_PKT2_SA_S7_PKT4_PKT5_S5_PT6_21rocsparse_index_base_b
		.amdhsa_group_segment_fixed_size 0
		.amdhsa_private_segment_fixed_size 0
		.amdhsa_kernarg_size 96
		.amdhsa_user_sgpr_count 15
		.amdhsa_user_sgpr_dispatch_ptr 0
		.amdhsa_user_sgpr_queue_ptr 0
		.amdhsa_user_sgpr_kernarg_segment_ptr 1
		.amdhsa_user_sgpr_dispatch_id 0
		.amdhsa_user_sgpr_private_segment_size 0
		.amdhsa_wavefront_size32 1
		.amdhsa_uses_dynamic_stack 0
		.amdhsa_enable_private_segment 0
		.amdhsa_system_sgpr_workgroup_id_x 1
		.amdhsa_system_sgpr_workgroup_id_y 0
		.amdhsa_system_sgpr_workgroup_id_z 0
		.amdhsa_system_sgpr_workgroup_info 0
		.amdhsa_system_vgpr_workitem_id 0
		.amdhsa_next_free_vgpr 112
		.amdhsa_next_free_sgpr 16
		.amdhsa_reserve_vcc 1
		.amdhsa_float_round_mode_32 0
		.amdhsa_float_round_mode_16_64 0
		.amdhsa_float_denorm_mode_32 3
		.amdhsa_float_denorm_mode_16_64 3
		.amdhsa_dx10_clamp 1
		.amdhsa_ieee_mode 1
		.amdhsa_fp16_overflow 0
		.amdhsa_workgroup_processor_mode 1
		.amdhsa_memory_ordered 1
		.amdhsa_forward_progress 0
		.amdhsa_shared_vgpr_count 0
		.amdhsa_exception_fp_ieee_invalid_op 0
		.amdhsa_exception_fp_denorm_src 0
		.amdhsa_exception_fp_ieee_div_zero 0
		.amdhsa_exception_fp_ieee_overflow 0
		.amdhsa_exception_fp_ieee_underflow 0
		.amdhsa_exception_fp_ieee_inexact 0
		.amdhsa_exception_int_div_zero 0
	.end_amdhsa_kernel
	.section	.text._ZN9rocsparseL18bsrxmvn_4x4_kernelILj128ELj32EdlifddEEvT3_20rocsparse_direction_NS_24const_host_device_scalarIT1_EES1_PKS1_PKT2_SA_S7_PKT4_PKT5_S5_PT6_21rocsparse_index_base_b,"axG",@progbits,_ZN9rocsparseL18bsrxmvn_4x4_kernelILj128ELj32EdlifddEEvT3_20rocsparse_direction_NS_24const_host_device_scalarIT1_EES1_PKS1_PKT2_SA_S7_PKT4_PKT5_S5_PT6_21rocsparse_index_base_b,comdat
.Lfunc_end158:
	.size	_ZN9rocsparseL18bsrxmvn_4x4_kernelILj128ELj32EdlifddEEvT3_20rocsparse_direction_NS_24const_host_device_scalarIT1_EES1_PKS1_PKT2_SA_S7_PKT4_PKT5_S5_PT6_21rocsparse_index_base_b, .Lfunc_end158-_ZN9rocsparseL18bsrxmvn_4x4_kernelILj128ELj32EdlifddEEvT3_20rocsparse_direction_NS_24const_host_device_scalarIT1_EES1_PKS1_PKT2_SA_S7_PKT4_PKT5_S5_PT6_21rocsparse_index_base_b
                                        ; -- End function
	.section	.AMDGPU.csdata,"",@progbits
; Kernel info:
; codeLenInByte = 5864
; NumSgprs: 18
; NumVgprs: 112
; ScratchSize: 0
; MemoryBound: 0
; FloatMode: 240
; IeeeMode: 1
; LDSByteSize: 0 bytes/workgroup (compile time only)
; SGPRBlocks: 2
; VGPRBlocks: 13
; NumSGPRsForWavesPerEU: 18
; NumVGPRsForWavesPerEU: 112
; Occupancy: 12
; WaveLimiterHint : 1
; COMPUTE_PGM_RSRC2:SCRATCH_EN: 0
; COMPUTE_PGM_RSRC2:USER_SGPR: 15
; COMPUTE_PGM_RSRC2:TRAP_HANDLER: 0
; COMPUTE_PGM_RSRC2:TGID_X_EN: 1
; COMPUTE_PGM_RSRC2:TGID_Y_EN: 0
; COMPUTE_PGM_RSRC2:TGID_Z_EN: 0
; COMPUTE_PGM_RSRC2:TIDIG_COMP_CNT: 0
	.section	.text._ZN9rocsparseL18bsrxmvn_4x4_kernelILj128ELj64EdlifddEEvT3_20rocsparse_direction_NS_24const_host_device_scalarIT1_EES1_PKS1_PKT2_SA_S7_PKT4_PKT5_S5_PT6_21rocsparse_index_base_b,"axG",@progbits,_ZN9rocsparseL18bsrxmvn_4x4_kernelILj128ELj64EdlifddEEvT3_20rocsparse_direction_NS_24const_host_device_scalarIT1_EES1_PKS1_PKT2_SA_S7_PKT4_PKT5_S5_PT6_21rocsparse_index_base_b,comdat
	.globl	_ZN9rocsparseL18bsrxmvn_4x4_kernelILj128ELj64EdlifddEEvT3_20rocsparse_direction_NS_24const_host_device_scalarIT1_EES1_PKS1_PKT2_SA_S7_PKT4_PKT5_S5_PT6_21rocsparse_index_base_b ; -- Begin function _ZN9rocsparseL18bsrxmvn_4x4_kernelILj128ELj64EdlifddEEvT3_20rocsparse_direction_NS_24const_host_device_scalarIT1_EES1_PKS1_PKT2_SA_S7_PKT4_PKT5_S5_PT6_21rocsparse_index_base_b
	.p2align	8
	.type	_ZN9rocsparseL18bsrxmvn_4x4_kernelILj128ELj64EdlifddEEvT3_20rocsparse_direction_NS_24const_host_device_scalarIT1_EES1_PKS1_PKT2_SA_S7_PKT4_PKT5_S5_PT6_21rocsparse_index_base_b,@function
_ZN9rocsparseL18bsrxmvn_4x4_kernelILj128ELj64EdlifddEEvT3_20rocsparse_direction_NS_24const_host_device_scalarIT1_EES1_PKS1_PKT2_SA_S7_PKT4_PKT5_S5_PT6_21rocsparse_index_base_b: ; @_ZN9rocsparseL18bsrxmvn_4x4_kernelILj128ELj64EdlifddEEvT3_20rocsparse_direction_NS_24const_host_device_scalarIT1_EES1_PKS1_PKT2_SA_S7_PKT4_PKT5_S5_PT6_21rocsparse_index_base_b
; %bb.0:
	s_clause 0x2
	s_load_b64 s[12:13], s[0:1], 0x58
	s_load_b64 s[4:5], s[0:1], 0x8
	;; [unrolled: 1-line block ×3, first 2 shown]
	s_waitcnt lgkmcnt(0)
	s_bitcmp1_b32 s13, 0
	v_dual_mov_b32 v2, s4 :: v_dual_mov_b32 v3, s5
	s_cselect_b32 s6, -1, 0
	s_delay_alu instid0(SALU_CYCLE_1)
	s_and_b32 vcc_lo, exec_lo, s6
	s_xor_b32 s6, s6, -1
	s_cbranch_vccnz .LBB159_2
; %bb.1:
	v_dual_mov_b32 v1, s4 :: v_dual_mov_b32 v2, s5
	flat_load_b64 v[2:3], v[1:2]
.LBB159_2:
	v_dual_mov_b32 v9, s3 :: v_dual_mov_b32 v8, s2
	s_and_not1_b32 vcc_lo, exec_lo, s6
	s_cbranch_vccnz .LBB159_4
; %bb.3:
	v_dual_mov_b32 v5, s3 :: v_dual_mov_b32 v4, s2
	flat_load_b64 v[8:9], v[4:5]
.LBB159_4:
	s_waitcnt vmcnt(0) lgkmcnt(0)
	v_cmp_neq_f64_e32 vcc_lo, 0, v[2:3]
	v_cmp_neq_f64_e64 s2, 1.0, v[8:9]
	s_delay_alu instid0(VALU_DEP_1) | instskip(NEXT) | instid1(SALU_CYCLE_1)
	s_or_b32 s2, vcc_lo, s2
	s_and_saveexec_b32 s3, s2
	s_cbranch_execz .LBB159_10
; %bb.5:
	s_clause 0x1
	s_load_b64 s[4:5], s[0:1], 0x18
	s_load_b64 s[2:3], s[0:1], 0x0
	v_lshrrev_b32_e32 v1, 6, v0
	s_delay_alu instid0(VALU_DEP_1)
	v_lshl_or_b32 v10, s15, 1, v1
	s_waitcnt lgkmcnt(0)
	s_cmp_lg_u64 s[4:5], 0
	s_cbranch_scc0 .LBB159_11
; %bb.6:
	s_load_b32 s6, s[0:1], 0x10
	s_mov_b32 s7, 0
                                        ; implicit-def: $vgpr1
	s_waitcnt lgkmcnt(0)
	v_cmp_gt_i32_e32 vcc_lo, s6, v10
	s_mov_b32 s6, 0
	s_and_saveexec_b32 s8, vcc_lo
	s_delay_alu instid0(SALU_CYCLE_1)
	s_xor_b32 s8, exec_lo, s8
	s_cbranch_execz .LBB159_8
; %bb.7:
	v_ashrrev_i32_e32 v11, 31, v10
	s_mov_b32 s6, exec_lo
	s_delay_alu instid0(VALU_DEP_1) | instskip(NEXT) | instid1(VALU_DEP_1)
	v_lshlrev_b64 v[4:5], 2, v[10:11]
	v_add_co_u32 v4, vcc_lo, s4, v4
	s_delay_alu instid0(VALU_DEP_2)
	v_add_co_ci_u32_e32 v5, vcc_lo, s5, v5, vcc_lo
	global_load_b32 v1, v[4:5], off
	s_waitcnt vmcnt(0)
	v_subrev_nc_u32_e32 v1, s12, v1
.LBB159_8:
	s_or_b32 exec_lo, exec_lo, s8
	s_delay_alu instid0(SALU_CYCLE_1)
	s_and_b32 vcc_lo, exec_lo, s7
	s_cbranch_vccz .LBB159_12
.LBB159_9:
	v_cmp_gt_i32_e32 vcc_lo, s2, v10
	s_and_not1_b32 s2, s6, exec_lo
	s_and_b32 s4, vcc_lo, exec_lo
	s_delay_alu instid0(SALU_CYCLE_1) | instskip(NEXT) | instid1(SALU_CYCLE_1)
	s_or_b32 s6, s2, s4
	s_and_b32 exec_lo, exec_lo, s6
	s_cbranch_execnz .LBB159_13
.LBB159_10:
	s_nop 0
	s_sendmsg sendmsg(MSG_DEALLOC_VGPRS)
	s_endpgm
.LBB159_11:
	s_mov_b32 s6, 0
                                        ; implicit-def: $vgpr1
	s_cbranch_execnz .LBB159_9
.LBB159_12:
	s_delay_alu instid0(VALU_DEP_1)
	v_mov_b32_e32 v10, v1
	s_and_b32 exec_lo, exec_lo, s6
	s_cbranch_execz .LBB159_10
.LBB159_13:
	s_load_b256 s[4:11], s[0:1], 0x20
	s_delay_alu instid0(VALU_DEP_1) | instskip(SKIP_1) | instid1(VALU_DEP_2)
	v_ashrrev_i32_e32 v11, 31, v10
	v_and_b32_e32 v31, 63, v0
	v_lshlrev_b64 v[4:5], 3, v[10:11]
	s_waitcnt lgkmcnt(0)
	s_delay_alu instid0(VALU_DEP_1) | instskip(NEXT) | instid1(VALU_DEP_2)
	v_add_co_u32 v6, vcc_lo, s4, v4
	v_add_co_ci_u32_e32 v7, vcc_lo, s5, v5, vcc_lo
	v_add_co_u32 v1, vcc_lo, s6, v4
	v_add_co_ci_u32_e32 v4, vcc_lo, s7, v5, vcc_lo
	s_delay_alu instid0(VALU_DEP_4)
	v_add_co_u32 v11, vcc_lo, v6, 8
	global_load_b64 v[19:20], v[6:7], off
	v_add_co_ci_u32_e32 v5, vcc_lo, 0, v7, vcc_lo
	s_cmp_eq_u64 s[6:7], 0
	s_load_b64 s[4:5], s[0:1], 0x40
	s_cselect_b32 vcc_lo, -1, 0
	s_cmp_eq_u32 s3, 1
	v_dual_cndmask_b32 v5, v4, v5 :: v_dual_cndmask_b32 v4, v1, v11
	global_load_b64 v[4:5], v[4:5], off
	s_waitcnt vmcnt(1)
	v_sub_co_u32 v0, vcc_lo, v19, s12
	v_subrev_co_ci_u32_e32 v1, vcc_lo, 0, v20, vcc_lo
	s_delay_alu instid0(VALU_DEP_2) | instskip(NEXT) | instid1(VALU_DEP_2)
	v_add_co_u32 v0, vcc_lo, v0, v31
	v_add_co_ci_u32_e32 v1, vcc_lo, 0, v1, vcc_lo
	s_delay_alu instid0(VALU_DEP_1) | instskip(SKIP_3) | instid1(VALU_DEP_3)
	v_lshlrev_b64 v[6:7], 6, v[0:1]
	s_waitcnt vmcnt(0)
	v_sub_co_u32 v4, vcc_lo, v4, s12
	v_subrev_co_ci_u32_e32 v5, vcc_lo, 0, v5, vcc_lo
	v_add_co_u32 v6, vcc_lo, s10, v6
	s_delay_alu instid0(VALU_DEP_2)
	v_cmp_lt_i64_e64 s2, v[0:1], v[4:5]
	v_add_co_ci_u32_e32 v7, vcc_lo, s11, v7, vcc_lo
	s_cbranch_scc1 .LBB159_25
; %bb.14:
	v_mov_b32_e32 v11, 0
	v_mov_b32_e32 v12, 0
	s_delay_alu instid0(VALU_DEP_1)
	v_dual_mov_b32 v16, v12 :: v_dual_mov_b32 v15, v11
	v_dual_mov_b32 v18, v12 :: v_dual_mov_b32 v17, v11
	;; [unrolled: 1-line block ×3, first 2 shown]
	s_and_saveexec_b32 s6, s2
	s_cbranch_execz .LBB159_24
; %bb.15:
	v_or_b32_e32 v11, 64, v31
	v_not_b32_e32 v14, v19
	v_not_b32_e32 v13, v20
	s_mov_b32 s10, 0
	s_mov_b32 s7, exec_lo
	v_sub_co_u32 v11, s3, v11, s12
	s_delay_alu instid0(VALU_DEP_1) | instskip(SKIP_1) | instid1(VALU_DEP_3)
	v_sub_co_ci_u32_e64 v12, null, 0, 0, s3
	v_sub_co_u32 v15, s3, s12, v31
	v_add_co_u32 v11, vcc_lo, v11, v19
	s_delay_alu instid0(VALU_DEP_3) | instskip(SKIP_2) | instid1(VALU_DEP_3)
	v_add_co_ci_u32_e32 v12, vcc_lo, v12, v20, vcc_lo
	v_sub_co_ci_u32_e64 v16, null, 0, 0, s3
	v_mov_b32_e32 v22, v1
	v_cmp_gt_i64_e32 vcc_lo, v[11:12], v[4:5]
	v_dual_mov_b32 v24, v7 :: v_dual_mov_b32 v23, v6
	v_dual_cndmask_b32 v12, v5, v12 :: v_dual_cndmask_b32 v11, v4, v11
	v_add_co_u32 v14, vcc_lo, v15, v14
	v_add_co_ci_u32_e32 v13, vcc_lo, v16, v13, vcc_lo
	s_delay_alu instid0(VALU_DEP_2) | instskip(NEXT) | instid1(VALU_DEP_2)
	v_add_co_u32 v25, vcc_lo, v14, v11
	v_add_co_ci_u32_e32 v26, vcc_lo, v13, v12, vcc_lo
	v_mov_b32_e32 v13, 0
	s_delay_alu instid0(VALU_DEP_3) | instskip(SKIP_1) | instid1(VALU_DEP_1)
	v_lshrrev_b32_e32 v11, 6, v25
	v_dual_mov_b32 v14, 0 :: v_dual_mov_b32 v21, v0
	v_dual_mov_b32 v16, v14 :: v_dual_add_nc_u32 v11, 1, v11
	s_delay_alu instid0(VALU_DEP_4) | instskip(SKIP_1) | instid1(VALU_DEP_3)
	v_dual_mov_b32 v18, v14 :: v_dual_mov_b32 v15, v13
	v_mov_b32_e32 v17, v13
	v_and_b32_e32 v27, 3, v11
	v_dual_mov_b32 v11, v13 :: v_dual_mov_b32 v12, v14
	s_delay_alu instid0(VALU_DEP_2)
	v_cmpx_ne_u32_e32 0, v27
	s_cbranch_execz .LBB159_19
; %bb.16:
	v_lshlrev_b64 v[13:14], 2, v[0:1]
	v_dual_mov_b32 v28, 0 :: v_dual_mov_b32 v11, 0
	v_dual_mov_b32 v12, 0 :: v_dual_lshlrev_b32 v27, 4, v27
	v_dual_mov_b32 v24, v7 :: v_dual_mov_b32 v23, v6
	s_delay_alu instid0(VALU_DEP_4)
	v_add_co_u32 v29, vcc_lo, s8, v13
	v_add_co_ci_u32_e32 v30, vcc_lo, s9, v14, vcc_lo
	v_dual_mov_b32 v22, v1 :: v_dual_mov_b32 v21, v0
	v_dual_mov_b32 v16, v12 :: v_dual_mov_b32 v15, v11
	;; [unrolled: 1-line block ×4, first 2 shown]
.LBB159_17:                             ; =>This Inner Loop Header: Depth=1
	global_load_b32 v48, v[29:30], off
	s_clause 0x3
	global_load_b128 v[32:35], v[23:24], off
	global_load_b128 v[36:39], v[23:24], off offset:16
	global_load_b128 v[40:43], v[23:24], off offset:32
	global_load_b128 v[44:47], v[23:24], off offset:48
	v_add_co_u32 v29, s3, 0x100, v29
	s_delay_alu instid0(VALU_DEP_1)
	v_add_co_ci_u32_e64 v30, s3, 0, v30, s3
	s_waitcnt vmcnt(4)
	v_subrev_nc_u32_e32 v48, s12, v48
	s_waitcnt vmcnt(3)
	v_cvt_f64_f32_e32 v[56:57], v32
	s_waitcnt vmcnt(2)
	v_cvt_f64_f32_e32 v[58:59], v36
	;; [unrolled: 2-line block ×4, first 2 shown]
	v_lshlrev_b32_e32 v48, 2, v48
	v_cvt_f64_f32_e32 v[32:33], v33
	v_cvt_f64_f32_e32 v[36:37], v37
	;; [unrolled: 1-line block ×4, first 2 shown]
	v_ashrrev_i32_e32 v49, 31, v48
	s_delay_alu instid0(VALU_DEP_1) | instskip(SKIP_1) | instid1(VALU_DEP_1)
	v_lshlrev_b64 v[48:49], 3, v[48:49]
	s_waitcnt lgkmcnt(0)
	v_add_co_u32 v52, vcc_lo, s4, v48
	s_delay_alu instid0(VALU_DEP_2)
	v_add_co_ci_u32_e32 v53, vcc_lo, s5, v49, vcc_lo
	v_add_co_u32 v23, vcc_lo, 0x1000, v23
	v_add_co_ci_u32_e32 v24, vcc_lo, 0, v24, vcc_lo
	s_clause 0x1
	global_load_b128 v[48:51], v[52:53], off
	global_load_b128 v[52:55], v[52:53], off offset:16
	v_add_co_u32 v27, vcc_lo, v27, -16
	v_add_co_ci_u32_e32 v28, vcc_lo, -1, v28, vcc_lo
	v_add_co_u32 v21, vcc_lo, v21, 64
	v_add_co_ci_u32_e32 v22, vcc_lo, 0, v22, vcc_lo
	s_delay_alu instid0(VALU_DEP_3)
	v_cmp_eq_u64_e32 vcc_lo, 0, v[27:28]
	s_or_b32 s10, vcc_lo, s10
	s_waitcnt vmcnt(1)
	v_fma_f64 v[13:14], v[56:57], v[48:49], v[13:14]
	v_fma_f64 v[17:18], v[58:59], v[48:49], v[17:18]
	;; [unrolled: 1-line block ×4, first 2 shown]
	v_cvt_f64_f32_e32 v[48:49], v34
	v_cvt_f64_f32_e32 v[56:57], v38
	;; [unrolled: 1-line block ×4, first 2 shown]
	v_fma_f64 v[13:14], v[32:33], v[50:51], v[13:14]
	v_fma_f64 v[17:18], v[36:37], v[50:51], v[17:18]
	v_fma_f64 v[15:16], v[40:41], v[50:51], v[15:16]
	v_fma_f64 v[11:12], v[44:45], v[50:51], v[11:12]
	v_cvt_f64_f32_e32 v[32:33], v35
	v_cvt_f64_f32_e32 v[34:35], v39
	;; [unrolled: 1-line block ×4, first 2 shown]
	s_waitcnt vmcnt(0)
	v_fma_f64 v[13:14], v[48:49], v[52:53], v[13:14]
	v_fma_f64 v[17:18], v[56:57], v[52:53], v[17:18]
	;; [unrolled: 1-line block ×4, first 2 shown]
	s_delay_alu instid0(VALU_DEP_4) | instskip(NEXT) | instid1(VALU_DEP_4)
	v_fma_f64 v[13:14], v[32:33], v[54:55], v[13:14]
	v_fma_f64 v[17:18], v[34:35], v[54:55], v[17:18]
	s_delay_alu instid0(VALU_DEP_4) | instskip(NEXT) | instid1(VALU_DEP_4)
	v_fma_f64 v[15:16], v[36:37], v[54:55], v[15:16]
	v_fma_f64 v[11:12], v[38:39], v[54:55], v[11:12]
	s_and_not1_b32 exec_lo, exec_lo, s10
	s_cbranch_execnz .LBB159_17
; %bb.18:
	s_or_b32 exec_lo, exec_lo, s10
.LBB159_19:
	s_delay_alu instid0(SALU_CYCLE_1) | instskip(NEXT) | instid1(SALU_CYCLE_1)
	s_or_b32 exec_lo, exec_lo, s7
	s_mov_b32 s7, exec_lo
	v_cmpx_lt_u64_e32 0xbf, v[25:26]
	s_cbranch_execz .LBB159_23
; %bb.20:
	v_lshlrev_b64 v[25:26], 2, v[21:22]
	s_mov_b32 s10, 0
	s_delay_alu instid0(VALU_DEP_1) | instskip(NEXT) | instid1(VALU_DEP_2)
	v_add_co_u32 v25, vcc_lo, v25, s8
	v_add_co_ci_u32_e32 v26, vcc_lo, s9, v26, vcc_lo
	s_delay_alu instid0(VALU_DEP_2) | instskip(NEXT) | instid1(VALU_DEP_2)
	v_add_co_u32 v25, vcc_lo, 0x200, v25
	v_add_co_ci_u32_e32 v26, vcc_lo, 0, v26, vcc_lo
.LBB159_21:                             ; =>This Inner Loop Header: Depth=1
	s_clause 0x2
	global_load_b32 v44, v[25:26], off offset:-512
	global_load_b32 v68, v[25:26], off offset:-256
	global_load_b32 v92, v[25:26], off
	s_clause 0x3
	global_load_b128 v[27:30], v[23:24], off
	global_load_b128 v[32:35], v[23:24], off offset:16
	global_load_b128 v[36:39], v[23:24], off offset:32
	;; [unrolled: 1-line block ×3, first 2 shown]
	global_load_b32 v106, v[25:26], off offset:256
	s_waitcnt vmcnt(7)
	v_subrev_nc_u32_e32 v44, s12, v44
	s_waitcnt vmcnt(6)
	v_subrev_nc_u32_e32 v68, s12, v68
	;; [unrolled: 2-line block ×3, first 2 shown]
	s_waitcnt vmcnt(4)
	v_cvt_f64_f32_e32 v[96:97], v27
	s_waitcnt vmcnt(3)
	v_cvt_f64_f32_e32 v[98:99], v32
	v_lshlrev_b32_e32 v44, 2, v44
	v_lshlrev_b32_e32 v68, 2, v68
	;; [unrolled: 1-line block ×3, first 2 shown]
	s_waitcnt vmcnt(2)
	v_cvt_f64_f32_e32 v[100:101], v36
	s_waitcnt vmcnt(1)
	v_cvt_f64_f32_e32 v[102:103], v40
	v_ashrrev_i32_e32 v45, 31, v44
	v_ashrrev_i32_e32 v69, 31, v68
	;; [unrolled: 1-line block ×3, first 2 shown]
	v_cvt_f64_f32_e32 v[27:28], v28
	v_cvt_f64_f32_e32 v[32:33], v33
	v_lshlrev_b64 v[44:45], 3, v[44:45]
	v_lshlrev_b64 v[68:69], 3, v[68:69]
	;; [unrolled: 1-line block ×3, first 2 shown]
	v_cvt_f64_f32_e32 v[36:37], v37
	v_cvt_f64_f32_e32 v[40:41], v41
	s_waitcnt lgkmcnt(0)
	v_add_co_u32 v48, vcc_lo, s4, v44
	v_add_co_ci_u32_e32 v49, vcc_lo, s5, v45, vcc_lo
	v_add_co_u32 v76, vcc_lo, v23, 0x2000
	v_add_co_ci_u32_e32 v77, vcc_lo, 0, v24, vcc_lo
	s_clause 0x1
	global_load_b128 v[44:47], v[48:49], off
	global_load_b128 v[48:51], v[48:49], off offset:16
	v_add_co_u32 v64, vcc_lo, 0x1000, v23
	v_add_co_ci_u32_e32 v65, vcc_lo, 0, v24, vcc_lo
	s_clause 0x3
	global_load_b128 v[52:55], v[76:77], off offset:-4096
	global_load_b128 v[56:59], v[64:65], off offset:16
	global_load_b128 v[60:63], v[64:65], off offset:32
	;; [unrolled: 1-line block ×3, first 2 shown]
	v_add_co_u32 v72, vcc_lo, s4, v68
	v_add_co_ci_u32_e32 v73, vcc_lo, s5, v69, vcc_lo
	s_clause 0x1
	global_load_b128 v[68:71], v[72:73], off
	global_load_b128 v[72:75], v[72:73], off offset:16
	v_add_co_u32 v88, vcc_lo, 0x2000, v23
	v_add_co_ci_u32_e32 v89, vcc_lo, 0, v24, vcc_lo
	s_clause 0x3
	global_load_b128 v[76:79], v[76:77], off
	global_load_b128 v[80:83], v[88:89], off offset:16
	global_load_b128 v[84:87], v[88:89], off offset:32
	;; [unrolled: 1-line block ×3, first 2 shown]
	v_add_co_u32 v104, vcc_lo, s4, v92
	v_add_co_ci_u32_e32 v105, vcc_lo, s5, v93, vcc_lo
	global_load_b128 v[92:95], v[104:105], off
	s_waitcnt vmcnt(12)
	v_fma_f64 v[13:14], v[96:97], v[44:45], v[13:14]
	v_fma_f64 v[17:18], v[98:99], v[44:45], v[17:18]
	v_fma_f64 v[15:16], v[100:101], v[44:45], v[15:16]
	v_fma_f64 v[11:12], v[102:103], v[44:45], v[11:12]
	v_cvt_f64_f32_e32 v[44:45], v29
	v_cvt_f64_f32_e32 v[96:97], v34
	;; [unrolled: 1-line block ×6, first 2 shown]
	s_waitcnt vmcnt(8)
	v_cvt_f64_f32_e32 v[108:109], v60
	s_waitcnt vmcnt(7)
	v_cvt_f64_f32_e32 v[110:111], v64
	v_cvt_f64_f32_e32 v[60:61], v61
	;; [unrolled: 1-line block ×3, first 2 shown]
	v_fma_f64 v[27:28], v[27:28], v[46:47], v[13:14]
	v_fma_f64 v[17:18], v[32:33], v[46:47], v[17:18]
	;; [unrolled: 1-line block ×4, first 2 shown]
	global_load_b128 v[11:14], v[104:105], off offset:16
	v_cvt_f64_f32_e32 v[40:41], v30
	v_cvt_f64_f32_e32 v[46:47], v35
	v_add_co_u32 v36, vcc_lo, 0x3000, v23
	v_add_co_ci_u32_e32 v37, vcc_lo, 0, v24, vcc_lo
	v_cvt_f64_f32_e32 v[104:105], v52
	v_cvt_f64_f32_e32 v[52:53], v53
	v_add_co_u32 v23, s3, 0x4000, v23
	s_delay_alu instid0(VALU_DEP_1)
	v_add_co_ci_u32_e64 v24, s3, 0, v24, s3
	v_fma_f64 v[44:45], v[44:45], v[48:49], v[27:28]
	v_fma_f64 v[96:97], v[96:97], v[48:49], v[17:18]
	;; [unrolled: 1-line block ×4, first 2 shown]
	s_clause 0x3
	global_load_b128 v[15:18], v[36:37], off
	global_load_b128 v[27:30], v[36:37], off offset:16
	global_load_b128 v[32:35], v[36:37], off offset:32
	;; [unrolled: 1-line block ×3, first 2 shown]
	v_subrev_nc_u32_e32 v100, s12, v106
	v_cvt_f64_f32_e32 v[106:107], v56
	v_cvt_f64_f32_e32 v[56:57], v57
	s_delay_alu instid0(VALU_DEP_3) | instskip(NEXT) | instid1(VALU_DEP_1)
	v_lshlrev_b32_e32 v100, 2, v100
	v_ashrrev_i32_e32 v101, 31, v100
	v_fma_f64 v[44:45], v[40:41], v[50:51], v[44:45]
	v_fma_f64 v[46:47], v[46:47], v[50:51], v[96:97]
	;; [unrolled: 1-line block ×4, first 2 shown]
	v_lshlrev_b64 v[40:41], 3, v[100:101]
	v_cvt_f64_f32_e32 v[98:99], v58
	v_cvt_f64_f32_e32 v[100:101], v62
	v_cvt_f64_f32_e32 v[102:103], v66
	s_delay_alu instid0(VALU_DEP_4)
	v_add_co_u32 v50, vcc_lo, s4, v40
	v_add_co_ci_u32_e32 v51, vcc_lo, s5, v41, vcc_lo
	v_add_co_u32 v21, vcc_lo, 0x100, v21
	v_add_co_ci_u32_e32 v22, vcc_lo, 0, v22, vcc_lo
	global_load_b128 v[40:43], v[50:51], off
	v_add_co_u32 v25, vcc_lo, 0x400, v25
	v_add_co_ci_u32_e32 v26, vcc_lo, 0, v26, vcc_lo
	v_cmp_ge_i64_e32 vcc_lo, v[21:22], v[4:5]
	s_or_b32 s10, vcc_lo, s10
	s_waitcnt vmcnt(12)
	v_fma_f64 v[44:45], v[104:105], v[68:69], v[44:45]
	v_fma_f64 v[46:47], v[106:107], v[68:69], v[46:47]
	;; [unrolled: 1-line block ×4, first 2 shown]
	v_cvt_f64_f32_e32 v[68:69], v54
	v_fma_f64 v[52:53], v[52:53], v[70:71], v[44:45]
	v_fma_f64 v[56:57], v[56:57], v[70:71], v[46:47]
	global_load_b128 v[44:47], v[50:51], off offset:16
	v_fma_f64 v[60:61], v[60:61], v[70:71], v[96:97]
	v_fma_f64 v[48:49], v[64:65], v[70:71], v[48:49]
	v_cvt_f64_f32_e32 v[50:51], v55
	v_cvt_f64_f32_e32 v[54:55], v59
	;; [unrolled: 1-line block ×4, first 2 shown]
	s_waitcnt vmcnt(11)
	v_cvt_f64_f32_e32 v[64:65], v76
	s_waitcnt vmcnt(10)
	v_cvt_f64_f32_e32 v[66:67], v80
	;; [unrolled: 2-line block ×3, first 2 shown]
	v_fma_f64 v[52:53], v[68:69], v[72:73], v[52:53]
	v_fma_f64 v[56:57], v[98:99], v[72:73], v[56:57]
	v_cvt_f64_f32_e32 v[68:69], v84
	v_fma_f64 v[60:61], v[100:101], v[72:73], v[60:61]
	v_fma_f64 v[48:49], v[102:103], v[72:73], v[48:49]
	;; [unrolled: 1-line block ×4, first 2 shown]
	v_cvt_f64_f32_e32 v[56:57], v77
	v_fma_f64 v[54:55], v[58:59], v[74:75], v[60:61]
	v_fma_f64 v[48:49], v[62:63], v[74:75], v[48:49]
	v_cvt_f64_f32_e32 v[58:59], v81
	v_cvt_f64_f32_e32 v[60:61], v85
	;; [unrolled: 1-line block ×3, first 2 shown]
	s_waitcnt vmcnt(7)
	v_fma_f64 v[50:51], v[64:65], v[92:93], v[50:51]
	v_fma_f64 v[52:53], v[66:67], v[92:93], v[52:53]
	v_cvt_f64_f32_e32 v[64:65], v78
	v_fma_f64 v[54:55], v[68:69], v[92:93], v[54:55]
	v_fma_f64 v[48:49], v[70:71], v[92:93], v[48:49]
	v_cvt_f64_f32_e32 v[66:67], v82
	v_cvt_f64_f32_e32 v[68:69], v86
	v_cvt_f64_f32_e32 v[70:71], v90
	v_fma_f64 v[50:51], v[56:57], v[94:95], v[50:51]
	v_fma_f64 v[52:53], v[58:59], v[94:95], v[52:53]
	v_cvt_f64_f32_e32 v[56:57], v79
	v_fma_f64 v[54:55], v[60:61], v[94:95], v[54:55]
	v_fma_f64 v[48:49], v[62:63], v[94:95], v[48:49]
	v_cvt_f64_f32_e32 v[58:59], v83
	v_cvt_f64_f32_e32 v[60:61], v87
	v_cvt_f64_f32_e32 v[62:63], v91
	s_waitcnt vmcnt(6)
	v_fma_f64 v[50:51], v[64:65], v[11:12], v[50:51]
	v_fma_f64 v[52:53], v[66:67], v[11:12], v[52:53]
	;; [unrolled: 1-line block ×4, first 2 shown]
	s_waitcnt vmcnt(5)
	v_cvt_f64_f32_e32 v[48:49], v15
	s_waitcnt vmcnt(4)
	v_cvt_f64_f32_e32 v[64:65], v27
	;; [unrolled: 2-line block ×4, first 2 shown]
	v_fma_f64 v[50:51], v[56:57], v[13:14], v[50:51]
	v_fma_f64 v[52:53], v[58:59], v[13:14], v[52:53]
	v_cvt_f64_f32_e32 v[56:57], v38
	v_fma_f64 v[54:55], v[60:61], v[13:14], v[54:55]
	v_fma_f64 v[11:12], v[62:63], v[13:14], v[11:12]
	v_cvt_f64_f32_e32 v[13:14], v16
	v_cvt_f64_f32_e32 v[15:16], v28
	;; [unrolled: 1-line block ×4, first 2 shown]
	s_waitcnt vmcnt(1)
	v_fma_f64 v[36:37], v[48:49], v[40:41], v[50:51]
	v_fma_f64 v[48:49], v[64:65], v[40:41], v[52:53]
	v_cvt_f64_f32_e32 v[52:53], v29
	v_fma_f64 v[50:51], v[66:67], v[40:41], v[54:55]
	v_fma_f64 v[11:12], v[68:69], v[40:41], v[11:12]
	v_cvt_f64_f32_e32 v[40:41], v17
	v_cvt_f64_f32_e32 v[54:55], v34
	v_cvt_f64_f32_e32 v[17:18], v18
	v_cvt_f64_f32_e32 v[29:30], v30
	v_fma_f64 v[13:14], v[13:14], v[42:43], v[36:37]
	v_fma_f64 v[15:16], v[15:16], v[42:43], v[48:49]
	;; [unrolled: 1-line block ×4, first 2 shown]
	v_cvt_f64_f32_e32 v[32:33], v35
	v_cvt_f64_f32_e32 v[34:35], v39
	s_waitcnt vmcnt(0)
	v_fma_f64 v[13:14], v[40:41], v[44:45], v[13:14]
	v_fma_f64 v[15:16], v[52:53], v[44:45], v[15:16]
	v_fma_f64 v[27:28], v[54:55], v[44:45], v[27:28]
	v_fma_f64 v[11:12], v[56:57], v[44:45], v[11:12]
	s_delay_alu instid0(VALU_DEP_4) | instskip(NEXT) | instid1(VALU_DEP_4)
	v_fma_f64 v[13:14], v[17:18], v[46:47], v[13:14]
	v_fma_f64 v[17:18], v[29:30], v[46:47], v[15:16]
	s_delay_alu instid0(VALU_DEP_4) | instskip(NEXT) | instid1(VALU_DEP_4)
	v_fma_f64 v[15:16], v[32:33], v[46:47], v[27:28]
	v_fma_f64 v[11:12], v[34:35], v[46:47], v[11:12]
	s_and_not1_b32 exec_lo, exec_lo, s10
	s_cbranch_execnz .LBB159_21
; %bb.22:
	s_or_b32 exec_lo, exec_lo, s10
.LBB159_23:
	s_delay_alu instid0(SALU_CYCLE_1)
	s_or_b32 exec_lo, exec_lo, s7
.LBB159_24:
	s_delay_alu instid0(SALU_CYCLE_1)
	s_or_b32 exec_lo, exec_lo, s6
	s_cbranch_execz .LBB159_26
	s_branch .LBB159_37
.LBB159_25:
                                        ; implicit-def: $vgpr11_vgpr12
                                        ; implicit-def: $vgpr15_vgpr16
                                        ; implicit-def: $vgpr17_vgpr18
                                        ; implicit-def: $vgpr13_vgpr14
.LBB159_26:
	v_mov_b32_e32 v11, 0
	v_mov_b32_e32 v12, 0
	s_delay_alu instid0(VALU_DEP_1)
	v_dual_mov_b32 v16, v12 :: v_dual_mov_b32 v15, v11
	v_dual_mov_b32 v18, v12 :: v_dual_mov_b32 v17, v11
	;; [unrolled: 1-line block ×3, first 2 shown]
	s_and_saveexec_b32 s3, s2
	s_cbranch_execz .LBB159_36
; %bb.27:
	v_or_b32_e32 v11, 64, v31
	v_not_b32_e32 v14, v19
	v_not_b32_e32 v13, v20
	s_mov_b32 s7, 0
	s_mov_b32 s6, exec_lo
	v_sub_co_u32 v11, s2, v11, s12
	s_delay_alu instid0(VALU_DEP_1) | instskip(SKIP_1) | instid1(VALU_DEP_3)
	v_sub_co_ci_u32_e64 v12, null, 0, 0, s2
	v_sub_co_u32 v15, s2, s12, v31
	v_add_co_u32 v11, vcc_lo, v11, v19
	s_delay_alu instid0(VALU_DEP_3) | instskip(SKIP_1) | instid1(VALU_DEP_2)
	v_add_co_ci_u32_e32 v12, vcc_lo, v12, v20, vcc_lo
	v_sub_co_ci_u32_e64 v16, null, 0, 0, s2
	v_cmp_gt_i64_e32 vcc_lo, v[11:12], v[4:5]
	v_dual_cndmask_b32 v12, v5, v12 :: v_dual_cndmask_b32 v11, v4, v11
	v_add_co_u32 v14, vcc_lo, v15, v14
	s_delay_alu instid0(VALU_DEP_4) | instskip(NEXT) | instid1(VALU_DEP_2)
	v_add_co_ci_u32_e32 v13, vcc_lo, v16, v13, vcc_lo
	v_add_co_u32 v19, vcc_lo, v14, v11
	s_delay_alu instid0(VALU_DEP_2) | instskip(SKIP_1) | instid1(VALU_DEP_3)
	v_add_co_ci_u32_e32 v20, vcc_lo, v13, v12, vcc_lo
	v_mov_b32_e32 v13, 0
	v_lshrrev_b32_e32 v11, 6, v19
	s_delay_alu instid0(VALU_DEP_1) | instskip(NEXT) | instid1(VALU_DEP_1)
	v_dual_mov_b32 v14, 0 :: v_dual_add_nc_u32 v11, 1, v11
	v_dual_mov_b32 v18, v14 :: v_dual_mov_b32 v17, v13
	v_dual_mov_b32 v16, v14 :: v_dual_mov_b32 v15, v13
	s_delay_alu instid0(VALU_DEP_3) | instskip(SKIP_1) | instid1(VALU_DEP_2)
	v_and_b32_e32 v21, 3, v11
	v_dual_mov_b32 v11, v13 :: v_dual_mov_b32 v12, v14
	v_cmpx_ne_u32_e32 0, v21
	s_cbranch_execz .LBB159_31
; %bb.28:
	v_lshlrev_b64 v[13:14], 2, v[0:1]
	v_dual_mov_b32 v22, 0 :: v_dual_mov_b32 v11, 0
	v_dual_mov_b32 v12, 0 :: v_dual_lshlrev_b32 v21, 4, v21
	s_delay_alu instid0(VALU_DEP_3) | instskip(NEXT) | instid1(VALU_DEP_4)
	v_add_co_u32 v23, vcc_lo, s8, v13
	v_add_co_ci_u32_e32 v24, vcc_lo, s9, v14, vcc_lo
	s_delay_alu instid0(VALU_DEP_3)
	v_dual_mov_b32 v16, v12 :: v_dual_mov_b32 v15, v11
	v_dual_mov_b32 v18, v12 :: v_dual_mov_b32 v17, v11
	;; [unrolled: 1-line block ×3, first 2 shown]
.LBB159_29:                             ; =>This Inner Loop Header: Depth=1
	global_load_b32 v29, v[23:24], off
	s_clause 0x1
	global_load_b128 v[25:28], v[6:7], off
	global_load_b128 v[32:35], v[6:7], off offset:16
	v_add_co_u32 v23, s2, 0x100, v23
	s_delay_alu instid0(VALU_DEP_1)
	v_add_co_ci_u32_e64 v24, s2, 0, v24, s2
	s_waitcnt vmcnt(2)
	v_subrev_nc_u32_e32 v29, s12, v29
	s_waitcnt vmcnt(1)
	v_cvt_f64_f32_e32 v[52:53], v27
	v_cvt_f64_f32_e32 v[27:28], v28
	s_waitcnt vmcnt(0)
	v_cvt_f64_f32_e32 v[54:55], v32
	v_cvt_f64_f32_e32 v[32:33], v33
	v_lshlrev_b32_e32 v29, 2, v29
	v_cvt_f64_f32_e32 v[56:57], v34
	v_cvt_f64_f32_e32 v[34:35], v35
	s_delay_alu instid0(VALU_DEP_3) | instskip(NEXT) | instid1(VALU_DEP_1)
	v_ashrrev_i32_e32 v30, 31, v29
	v_lshlrev_b64 v[29:30], 3, v[29:30]
	s_waitcnt lgkmcnt(0)
	s_delay_alu instid0(VALU_DEP_1) | instskip(NEXT) | instid1(VALU_DEP_2)
	v_add_co_u32 v29, vcc_lo, s4, v29
	v_add_co_ci_u32_e32 v30, vcc_lo, s5, v30, vcc_lo
	s_clause 0x1
	global_load_b128 v[36:39], v[29:30], off
	global_load_b128 v[40:43], v[29:30], off offset:16
	s_clause 0x1
	global_load_b128 v[44:47], v[6:7], off offset:32
	global_load_b128 v[48:51], v[6:7], off offset:48
	v_cvt_f64_f32_e32 v[29:30], v25
	v_cvt_f64_f32_e32 v[25:26], v26
	v_add_co_u32 v6, vcc_lo, 0x1000, v6
	v_add_co_ci_u32_e32 v7, vcc_lo, 0, v7, vcc_lo
	v_add_co_u32 v21, vcc_lo, v21, -16
	v_add_co_ci_u32_e32 v22, vcc_lo, -1, v22, vcc_lo
	v_add_co_u32 v0, vcc_lo, v0, 64
	v_add_co_ci_u32_e32 v1, vcc_lo, 0, v1, vcc_lo
	s_delay_alu instid0(VALU_DEP_3)
	v_cmp_eq_u64_e32 vcc_lo, 0, v[21:22]
	s_or_b32 s7, vcc_lo, s7
	s_waitcnt vmcnt(3)
	v_fma_f64 v[13:14], v[29:30], v[36:37], v[13:14]
	v_fma_f64 v[17:18], v[25:26], v[36:37], v[17:18]
	;; [unrolled: 1-line block ×4, first 2 shown]
	s_waitcnt vmcnt(1)
	v_cvt_f64_f32_e32 v[25:26], v44
	v_cvt_f64_f32_e32 v[27:28], v45
	;; [unrolled: 1-line block ×4, first 2 shown]
	s_waitcnt vmcnt(0)
	v_cvt_f64_f32_e32 v[44:45], v51
	v_fma_f64 v[13:14], v[54:55], v[38:39], v[13:14]
	v_fma_f64 v[17:18], v[32:33], v[38:39], v[17:18]
	;; [unrolled: 1-line block ×4, first 2 shown]
	v_cvt_f64_f32_e32 v[32:33], v48
	v_cvt_f64_f32_e32 v[34:35], v49
	;; [unrolled: 1-line block ×3, first 2 shown]
	v_fma_f64 v[13:14], v[25:26], v[40:41], v[13:14]
	v_fma_f64 v[17:18], v[27:28], v[40:41], v[17:18]
	;; [unrolled: 1-line block ×4, first 2 shown]
	s_delay_alu instid0(VALU_DEP_4) | instskip(NEXT) | instid1(VALU_DEP_4)
	v_fma_f64 v[13:14], v[32:33], v[42:43], v[13:14]
	v_fma_f64 v[17:18], v[34:35], v[42:43], v[17:18]
	s_delay_alu instid0(VALU_DEP_4) | instskip(NEXT) | instid1(VALU_DEP_4)
	v_fma_f64 v[15:16], v[38:39], v[42:43], v[15:16]
	v_fma_f64 v[11:12], v[44:45], v[42:43], v[11:12]
	s_and_not1_b32 exec_lo, exec_lo, s7
	s_cbranch_execnz .LBB159_29
; %bb.30:
	s_or_b32 exec_lo, exec_lo, s7
.LBB159_31:
	s_delay_alu instid0(SALU_CYCLE_1) | instskip(NEXT) | instid1(SALU_CYCLE_1)
	s_or_b32 exec_lo, exec_lo, s6
	s_mov_b32 s6, exec_lo
	v_cmpx_lt_u64_e32 0xbf, v[19:20]
	s_cbranch_execz .LBB159_35
; %bb.32:
	v_lshlrev_b64 v[19:20], 2, v[0:1]
	s_mov_b32 s7, 0
	s_delay_alu instid0(VALU_DEP_1) | instskip(NEXT) | instid1(VALU_DEP_2)
	v_add_co_u32 v19, vcc_lo, v19, s8
	v_add_co_ci_u32_e32 v20, vcc_lo, s9, v20, vcc_lo
	s_delay_alu instid0(VALU_DEP_2) | instskip(NEXT) | instid1(VALU_DEP_2)
	v_add_co_u32 v19, vcc_lo, 0x200, v19
	v_add_co_ci_u32_e32 v20, vcc_lo, 0, v20, vcc_lo
.LBB159_33:                             ; =>This Inner Loop Header: Depth=1
	s_clause 0x2
	global_load_b32 v25, v[19:20], off offset:-512
	global_load_b32 v52, v[19:20], off offset:-256
	global_load_b32 v76, v[19:20], off
	global_load_b128 v[21:24], v[6:7], off
	global_load_b32 v94, v[19:20], off offset:256
	s_waitcnt vmcnt(4)
	v_subrev_nc_u32_e32 v25, s12, v25
	s_waitcnt vmcnt(3)
	v_subrev_nc_u32_e32 v52, s12, v52
	;; [unrolled: 2-line block ×3, first 2 shown]
	s_waitcnt vmcnt(1)
	v_cvt_f64_f32_e32 v[80:81], v21
	v_cvt_f64_f32_e32 v[82:83], v22
	v_lshlrev_b32_e32 v25, 2, v25
	v_lshlrev_b32_e32 v52, 2, v52
	v_cvt_f64_f32_e32 v[84:85], v23
	v_cvt_f64_f32_e32 v[86:87], v24
	v_lshlrev_b32_e32 v21, 2, v76
	v_ashrrev_i32_e32 v26, 31, v25
	v_ashrrev_i32_e32 v53, 31, v52
	s_delay_alu instid0(VALU_DEP_3) | instskip(NEXT) | instid1(VALU_DEP_3)
	v_ashrrev_i32_e32 v22, 31, v21
	v_lshlrev_b64 v[25:26], 3, v[25:26]
	s_delay_alu instid0(VALU_DEP_3) | instskip(NEXT) | instid1(VALU_DEP_3)
	v_lshlrev_b64 v[52:53], 3, v[52:53]
	v_lshlrev_b64 v[21:22], 3, v[21:22]
	s_waitcnt lgkmcnt(0)
	s_delay_alu instid0(VALU_DEP_3) | instskip(NEXT) | instid1(VALU_DEP_4)
	v_add_co_u32 v29, vcc_lo, s4, v25
	v_add_co_ci_u32_e32 v30, vcc_lo, s5, v26, vcc_lo
	global_load_b128 v[25:28], v[6:7], off offset:16
	global_load_b128 v[32:35], v[29:30], off
	s_clause 0x1
	global_load_b128 v[36:39], v[6:7], off offset:32
	global_load_b128 v[40:43], v[6:7], off offset:48
	;; [unrolled: 1-line block ×3, first 2 shown]
	v_add_co_u32 v29, vcc_lo, v6, 0x2000
	v_add_co_ci_u32_e32 v30, vcc_lo, 0, v7, vcc_lo
	v_add_co_u32 v64, vcc_lo, 0x1000, v6
	v_add_co_ci_u32_e32 v65, vcc_lo, 0, v7, vcc_lo
	global_load_b128 v[48:51], v[29:30], off offset:-4096
	v_add_co_u32 v68, vcc_lo, s4, v52
	v_add_co_ci_u32_e32 v69, vcc_lo, s5, v53, vcc_lo
	global_load_b128 v[52:55], v[64:65], off offset:16
	global_load_b128 v[56:59], v[68:69], off
	s_clause 0x1
	global_load_b128 v[60:63], v[64:65], off offset:32
	global_load_b128 v[64:67], v[64:65], off offset:48
	;; [unrolled: 1-line block ×3, first 2 shown]
	global_load_b128 v[72:75], v[29:30], off
	v_add_co_u32 v29, vcc_lo, 0x2000, v6
	v_add_co_ci_u32_e32 v30, vcc_lo, 0, v7, vcc_lo
	v_add_co_u32 v88, vcc_lo, s4, v21
	v_add_co_ci_u32_e32 v89, vcc_lo, s5, v22, vcc_lo
	global_load_b128 v[21:24], v[29:30], off offset:16
	global_load_b128 v[76:79], v[88:89], off
	s_waitcnt vmcnt(13)
	v_cvt_f64_f32_e32 v[90:91], v25
	v_cvt_f64_f32_e32 v[25:26], v26
	;; [unrolled: 1-line block ×4, first 2 shown]
	s_waitcnt vmcnt(12)
	v_fma_f64 v[80:81], v[80:81], v[32:33], v[13:14]
	v_fma_f64 v[17:18], v[82:83], v[32:33], v[17:18]
	;; [unrolled: 1-line block ×4, first 2 shown]
	global_load_b128 v[11:14], v[29:30], off offset:32
	s_waitcnt vmcnt(12)
	v_cvt_f64_f32_e32 v[82:83], v36
	v_cvt_f64_f32_e32 v[36:37], v37
	;; [unrolled: 1-line block ×4, first 2 shown]
	v_fma_f64 v[80:81], v[90:91], v[34:35], v[80:81]
	v_fma_f64 v[86:87], v[25:26], v[34:35], v[17:18]
	;; [unrolled: 1-line block ×4, first 2 shown]
	global_load_b128 v[15:18], v[29:30], off offset:48
	global_load_b128 v[25:28], v[88:89], off offset:16
	s_waitcnt vmcnt(13)
	v_cvt_f64_f32_e32 v[29:30], v40
	v_cvt_f64_f32_e32 v[40:41], v41
	;; [unrolled: 1-line block ×4, first 2 shown]
	s_waitcnt vmcnt(10)
	v_cvt_f64_f32_e32 v[92:93], v54
	v_cvt_f64_f32_e32 v[54:55], v55
	v_fma_f64 v[80:81], v[82:83], v[44:45], v[80:81]
	v_fma_f64 v[36:37], v[36:37], v[44:45], v[86:87]
	;; [unrolled: 1-line block ×4, first 2 shown]
	v_add_co_u32 v84, vcc_lo, 0x3000, v6
	v_add_co_ci_u32_e32 v85, vcc_lo, 0, v7, vcc_lo
	v_subrev_nc_u32_e32 v90, s12, v94
	v_cvt_f64_f32_e32 v[44:45], v48
	v_cvt_f64_f32_e32 v[48:49], v49
	global_load_b128 v[32:35], v[84:85], off
	v_cvt_f64_f32_e32 v[86:87], v50
	v_cvt_f64_f32_e32 v[50:51], v51
	v_lshlrev_b32_e32 v90, 2, v90
	v_add_co_u32 v6, s2, 0x4000, v6
	s_delay_alu instid0(VALU_DEP_1) | instskip(NEXT) | instid1(VALU_DEP_3)
	v_add_co_ci_u32_e64 v7, s2, 0, v7, s2
	v_ashrrev_i32_e32 v91, 31, v90
	v_fma_f64 v[29:30], v[29:30], v[46:47], v[80:81]
	v_fma_f64 v[80:81], v[40:41], v[46:47], v[36:37]
	;; [unrolled: 1-line block ×4, first 2 shown]
	v_lshlrev_b64 v[36:37], 3, v[90:91]
	v_cvt_f64_f32_e32 v[90:91], v52
	v_cvt_f64_f32_e32 v[52:53], v53
	s_delay_alu instid0(VALU_DEP_3) | instskip(NEXT) | instid1(VALU_DEP_4)
	v_add_co_u32 v88, vcc_lo, s4, v36
	v_add_co_ci_u32_e32 v89, vcc_lo, s5, v37, vcc_lo
	global_load_b128 v[36:39], v[84:85], off offset:16
	global_load_b128 v[40:43], v[88:89], off
	v_add_co_u32 v0, vcc_lo, 0x100, v0
	v_add_co_ci_u32_e32 v1, vcc_lo, 0, v1, vcc_lo
	v_add_co_u32 v19, vcc_lo, 0x400, v19
	v_add_co_ci_u32_e32 v20, vcc_lo, 0, v20, vcc_lo
	s_delay_alu instid0(VALU_DEP_3)
	v_cmp_ge_i64_e32 vcc_lo, v[0:1], v[4:5]
	s_or_b32 s7, vcc_lo, s7
	s_waitcnt vmcnt(12)
	v_fma_f64 v[29:30], v[44:45], v[56:57], v[29:30]
	v_fma_f64 v[48:49], v[48:49], v[56:57], v[80:81]
	;; [unrolled: 1-line block ×4, first 2 shown]
	global_load_b128 v[44:47], v[84:85], off offset:32
	s_waitcnt vmcnt(12)
	v_cvt_f64_f32_e32 v[56:57], v60
	v_cvt_f64_f32_e32 v[60:61], v61
	;; [unrolled: 1-line block ×4, first 2 shown]
	v_fma_f64 v[29:30], v[90:91], v[58:59], v[29:30]
	v_fma_f64 v[86:87], v[52:53], v[58:59], v[48:49]
	;; [unrolled: 1-line block ×4, first 2 shown]
	global_load_b128 v[48:51], v[84:85], off offset:48
	global_load_b128 v[52:55], v[88:89], off offset:16
	s_waitcnt vmcnt(13)
	v_cvt_f64_f32_e32 v[84:85], v64
	v_cvt_f64_f32_e32 v[64:65], v65
	v_cvt_f64_f32_e32 v[88:89], v66
	v_cvt_f64_f32_e32 v[66:67], v67
	s_waitcnt vmcnt(12)
	v_fma_f64 v[29:30], v[56:57], v[68:69], v[29:30]
	v_fma_f64 v[56:57], v[60:61], v[68:69], v[86:87]
	v_fma_f64 v[60:61], v[82:83], v[68:69], v[80:81]
	v_fma_f64 v[58:59], v[62:63], v[68:69], v[58:59]
	s_waitcnt vmcnt(11)
	v_cvt_f64_f32_e32 v[62:63], v72
	v_cvt_f64_f32_e32 v[68:69], v73
	v_cvt_f64_f32_e32 v[72:73], v74
	v_cvt_f64_f32_e32 v[74:75], v75
	v_fma_f64 v[29:30], v[84:85], v[70:71], v[29:30]
	v_fma_f64 v[56:57], v[64:65], v[70:71], v[56:57]
	v_fma_f64 v[60:61], v[88:89], v[70:71], v[60:61]
	v_fma_f64 v[58:59], v[66:67], v[70:71], v[58:59]
	s_waitcnt vmcnt(10)
	v_cvt_f64_f32_e32 v[64:65], v21
	v_cvt_f64_f32_e32 v[21:22], v22
	v_cvt_f64_f32_e32 v[66:67], v23
	v_cvt_f64_f32_e32 v[23:24], v24
	s_waitcnt vmcnt(9)
	v_fma_f64 v[29:30], v[62:63], v[76:77], v[29:30]
	v_fma_f64 v[56:57], v[68:69], v[76:77], v[56:57]
	v_fma_f64 v[60:61], v[72:73], v[76:77], v[60:61]
	v_fma_f64 v[58:59], v[74:75], v[76:77], v[58:59]
	s_waitcnt vmcnt(8)
	v_cvt_f64_f32_e32 v[62:63], v11
	v_cvt_f64_f32_e32 v[11:12], v12
	v_cvt_f64_f32_e32 v[68:69], v13
	v_cvt_f64_f32_e32 v[13:14], v14
	v_fma_f64 v[29:30], v[64:65], v[78:79], v[29:30]
	v_fma_f64 v[21:22], v[21:22], v[78:79], v[56:57]
	v_fma_f64 v[56:57], v[66:67], v[78:79], v[60:61]
	v_fma_f64 v[23:24], v[23:24], v[78:79], v[58:59]
	;; [unrolled: 19-line block ×4, first 2 shown]
	s_waitcnt vmcnt(1)
	v_cvt_f64_f32_e32 v[21:22], v48
	v_cvt_f64_f32_e32 v[23:24], v49
	;; [unrolled: 1-line block ×4, first 2 shown]
	s_waitcnt vmcnt(0)
	v_fma_f64 v[17:18], v[25:26], v[52:53], v[17:18]
	v_fma_f64 v[11:12], v[29:30], v[52:53], v[11:12]
	;; [unrolled: 1-line block ×4, first 2 shown]
	s_delay_alu instid0(VALU_DEP_4) | instskip(NEXT) | instid1(VALU_DEP_4)
	v_fma_f64 v[13:14], v[21:22], v[54:55], v[17:18]
	v_fma_f64 v[17:18], v[23:24], v[54:55], v[11:12]
	s_delay_alu instid0(VALU_DEP_4) | instskip(NEXT) | instid1(VALU_DEP_4)
	v_fma_f64 v[15:16], v[27:28], v[54:55], v[15:16]
	v_fma_f64 v[11:12], v[36:37], v[54:55], v[25:26]
	s_and_not1_b32 exec_lo, exec_lo, s7
	s_cbranch_execnz .LBB159_33
; %bb.34:
	s_or_b32 exec_lo, exec_lo, s7
.LBB159_35:
	s_delay_alu instid0(SALU_CYCLE_1)
	s_or_b32 exec_lo, exec_lo, s6
.LBB159_36:
	s_delay_alu instid0(SALU_CYCLE_1)
	s_or_b32 exec_lo, exec_lo, s3
.LBB159_37:
	v_mbcnt_lo_u32_b32 v23, -1, 0
	s_delay_alu instid0(VALU_DEP_1) | instskip(NEXT) | instid1(VALU_DEP_1)
	v_or_b32_e32 v0, 32, v23
	v_cmp_gt_i32_e32 vcc_lo, 32, v0
	v_cndmask_b32_e32 v0, v23, v0, vcc_lo
	s_delay_alu instid0(VALU_DEP_1)
	v_lshlrev_b32_e32 v20, 2, v0
	ds_bpermute_b32 v0, v20, v13
	ds_bpermute_b32 v1, v20, v14
	s_waitcnt lgkmcnt(0)
	v_add_f64 v[0:1], v[13:14], v[0:1]
	v_xor_b32_e32 v13, 16, v23
	s_delay_alu instid0(VALU_DEP_1)
	v_cmp_gt_i32_e32 vcc_lo, 32, v13
	v_cndmask_b32_e32 v13, v23, v13, vcc_lo
	ds_bpermute_b32 v4, v20, v17
	ds_bpermute_b32 v5, v20, v18
	;; [unrolled: 1-line block ×6, first 2 shown]
	s_waitcnt lgkmcnt(4)
	v_add_f64 v[4:5], v[17:18], v[4:5]
	s_waitcnt lgkmcnt(2)
	v_add_f64 v[6:7], v[15:16], v[6:7]
	;; [unrolled: 2-line block ×3, first 2 shown]
	v_lshlrev_b32_e32 v20, 2, v13
	ds_bpermute_b32 v13, v20, v0
	ds_bpermute_b32 v14, v20, v1
	s_waitcnt lgkmcnt(0)
	v_add_f64 v[0:1], v[0:1], v[13:14]
	v_xor_b32_e32 v13, 8, v23
	s_delay_alu instid0(VALU_DEP_1)
	v_cmp_gt_i32_e32 vcc_lo, 32, v13
	ds_bpermute_b32 v15, v20, v4
	ds_bpermute_b32 v16, v20, v5
	;; [unrolled: 1-line block ×6, first 2 shown]
	v_cndmask_b32_e32 v13, v23, v13, vcc_lo
	s_waitcnt lgkmcnt(4)
	v_add_f64 v[4:5], v[4:5], v[15:16]
	s_waitcnt lgkmcnt(2)
	v_add_f64 v[6:7], v[6:7], v[17:18]
	;; [unrolled: 2-line block ×3, first 2 shown]
	v_lshlrev_b32_e32 v20, 2, v13
	ds_bpermute_b32 v13, v20, v0
	ds_bpermute_b32 v14, v20, v1
	s_waitcnt lgkmcnt(0)
	v_add_f64 v[0:1], v[0:1], v[13:14]
	v_xor_b32_e32 v13, 4, v23
	s_delay_alu instid0(VALU_DEP_1)
	v_cmp_gt_i32_e32 vcc_lo, 32, v13
	ds_bpermute_b32 v15, v20, v4
	ds_bpermute_b32 v16, v20, v5
	ds_bpermute_b32 v17, v20, v6
	ds_bpermute_b32 v18, v20, v7
	ds_bpermute_b32 v19, v20, v11
	ds_bpermute_b32 v20, v20, v12
	v_cndmask_b32_e32 v13, v23, v13, vcc_lo
	s_waitcnt lgkmcnt(4)
	v_add_f64 v[4:5], v[4:5], v[15:16]
	s_waitcnt lgkmcnt(2)
	v_add_f64 v[6:7], v[6:7], v[17:18]
	;; [unrolled: 2-line block ×3, first 2 shown]
	v_lshlrev_b32_e32 v20, 2, v13
	ds_bpermute_b32 v13, v20, v0
	ds_bpermute_b32 v14, v20, v1
	s_waitcnt lgkmcnt(0)
	v_add_f64 v[0:1], v[0:1], v[13:14]
	ds_bpermute_b32 v15, v20, v4
	ds_bpermute_b32 v16, v20, v5
	;; [unrolled: 1-line block ×6, first 2 shown]
	s_waitcnt lgkmcnt(4)
	v_add_f64 v[4:5], v[4:5], v[15:16]
	s_waitcnt lgkmcnt(2)
	v_add_f64 v[13:14], v[6:7], v[17:18]
	v_xor_b32_e32 v6, 2, v23
	s_waitcnt lgkmcnt(0)
	v_add_f64 v[15:16], v[11:12], v[19:20]
	s_delay_alu instid0(VALU_DEP_2) | instskip(SKIP_1) | instid1(VALU_DEP_1)
	v_cmp_gt_i32_e32 vcc_lo, 32, v6
	v_cndmask_b32_e32 v6, v23, v6, vcc_lo
	v_lshlrev_b32_e32 v11, 2, v6
	ds_bpermute_b32 v6, v11, v0
	ds_bpermute_b32 v7, v11, v1
	ds_bpermute_b32 v17, v11, v4
	ds_bpermute_b32 v18, v11, v5
	ds_bpermute_b32 v19, v11, v13
	ds_bpermute_b32 v20, v11, v14
	ds_bpermute_b32 v21, v11, v15
	ds_bpermute_b32 v22, v11, v16
	s_waitcnt lgkmcnt(6)
	v_add_f64 v[11:12], v[0:1], v[6:7]
	s_waitcnt lgkmcnt(4)
	v_add_f64 v[6:7], v[4:5], v[17:18]
	s_waitcnt lgkmcnt(2)
	v_add_f64 v[0:1], v[13:14], v[19:20]
	v_xor_b32_e32 v13, 1, v23
	s_waitcnt lgkmcnt(0)
	v_add_f64 v[4:5], v[15:16], v[21:22]
	s_delay_alu instid0(VALU_DEP_2) | instskip(SKIP_2) | instid1(VALU_DEP_2)
	v_cmp_gt_i32_e32 vcc_lo, 32, v13
	v_cndmask_b32_e32 v13, v23, v13, vcc_lo
	v_cmp_eq_u32_e32 vcc_lo, 63, v31
	v_lshlrev_b32_e32 v14, 2, v13
	ds_bpermute_b32 v19, v14, v11
	ds_bpermute_b32 v20, v14, v12
	;; [unrolled: 1-line block ×8, first 2 shown]
	s_and_b32 exec_lo, exec_lo, vcc_lo
	s_cbranch_execz .LBB159_10
; %bb.38:
	s_waitcnt lgkmcnt(6)
	v_add_f64 v[11:12], v[11:12], v[19:20]
	s_waitcnt lgkmcnt(4)
	v_add_f64 v[6:7], v[6:7], v[17:18]
	s_waitcnt lgkmcnt(2)
	v_add_f64 v[0:1], v[0:1], v[15:16]
	s_waitcnt lgkmcnt(0)
	v_add_f64 v[13:14], v[4:5], v[13:14]
	s_load_b64 s[0:1], s[0:1], 0x50
	v_lshlrev_b32_e32 v10, 2, v10
	s_mov_b32 s2, exec_lo
	v_mul_f64 v[4:5], v[2:3], v[11:12]
	v_mul_f64 v[6:7], v[2:3], v[6:7]
	;; [unrolled: 1-line block ×4, first 2 shown]
	v_cmpx_eq_f64_e32 0, v[8:9]
	s_xor_b32 s2, exec_lo, s2
	s_cbranch_execz .LBB159_40
; %bb.39:
	v_ashrrev_i32_e32 v11, 31, v10
	s_delay_alu instid0(VALU_DEP_1) | instskip(SKIP_1) | instid1(VALU_DEP_1)
	v_lshlrev_b64 v[8:9], 3, v[10:11]
                                        ; implicit-def: $vgpr10
	s_waitcnt lgkmcnt(0)
	v_add_co_u32 v8, vcc_lo, s0, v8
	s_delay_alu instid0(VALU_DEP_2)
	v_add_co_ci_u32_e32 v9, vcc_lo, s1, v9, vcc_lo
	s_clause 0x1
	global_store_b128 v[8:9], v[4:7], off
	global_store_b128 v[8:9], v[0:3], off offset:16
                                        ; implicit-def: $vgpr8_vgpr9
                                        ; implicit-def: $vgpr4_vgpr5
                                        ; implicit-def: $vgpr0_vgpr1
.LBB159_40:
	s_and_not1_saveexec_b32 s2, s2
	s_cbranch_execz .LBB159_10
; %bb.41:
	v_ashrrev_i32_e32 v11, 31, v10
	s_delay_alu instid0(VALU_DEP_1) | instskip(SKIP_1) | instid1(VALU_DEP_1)
	v_lshlrev_b64 v[10:11], 3, v[10:11]
	s_waitcnt lgkmcnt(0)
	v_add_co_u32 v18, vcc_lo, s0, v10
	s_delay_alu instid0(VALU_DEP_2)
	v_add_co_ci_u32_e32 v19, vcc_lo, s1, v11, vcc_lo
	s_clause 0x1
	global_load_b128 v[10:13], v[18:19], off
	global_load_b128 v[14:17], v[18:19], off offset:16
	s_waitcnt vmcnt(1)
	v_fma_f64 v[4:5], v[8:9], v[10:11], v[4:5]
	v_fma_f64 v[6:7], v[8:9], v[12:13], v[6:7]
	s_waitcnt vmcnt(0)
	v_fma_f64 v[0:1], v[8:9], v[14:15], v[0:1]
	v_fma_f64 v[2:3], v[8:9], v[16:17], v[2:3]
	s_clause 0x1
	global_store_b128 v[18:19], v[4:7], off
	global_store_b128 v[18:19], v[0:3], off offset:16
	s_nop 0
	s_sendmsg sendmsg(MSG_DEALLOC_VGPRS)
	s_endpgm
	.section	.rodata,"a",@progbits
	.p2align	6, 0x0
	.amdhsa_kernel _ZN9rocsparseL18bsrxmvn_4x4_kernelILj128ELj64EdlifddEEvT3_20rocsparse_direction_NS_24const_host_device_scalarIT1_EES1_PKS1_PKT2_SA_S7_PKT4_PKT5_S5_PT6_21rocsparse_index_base_b
		.amdhsa_group_segment_fixed_size 0
		.amdhsa_private_segment_fixed_size 0
		.amdhsa_kernarg_size 96
		.amdhsa_user_sgpr_count 15
		.amdhsa_user_sgpr_dispatch_ptr 0
		.amdhsa_user_sgpr_queue_ptr 0
		.amdhsa_user_sgpr_kernarg_segment_ptr 1
		.amdhsa_user_sgpr_dispatch_id 0
		.amdhsa_user_sgpr_private_segment_size 0
		.amdhsa_wavefront_size32 1
		.amdhsa_uses_dynamic_stack 0
		.amdhsa_enable_private_segment 0
		.amdhsa_system_sgpr_workgroup_id_x 1
		.amdhsa_system_sgpr_workgroup_id_y 0
		.amdhsa_system_sgpr_workgroup_id_z 0
		.amdhsa_system_sgpr_workgroup_info 0
		.amdhsa_system_vgpr_workitem_id 0
		.amdhsa_next_free_vgpr 112
		.amdhsa_next_free_sgpr 16
		.amdhsa_reserve_vcc 1
		.amdhsa_float_round_mode_32 0
		.amdhsa_float_round_mode_16_64 0
		.amdhsa_float_denorm_mode_32 3
		.amdhsa_float_denorm_mode_16_64 3
		.amdhsa_dx10_clamp 1
		.amdhsa_ieee_mode 1
		.amdhsa_fp16_overflow 0
		.amdhsa_workgroup_processor_mode 1
		.amdhsa_memory_ordered 1
		.amdhsa_forward_progress 0
		.amdhsa_shared_vgpr_count 0
		.amdhsa_exception_fp_ieee_invalid_op 0
		.amdhsa_exception_fp_denorm_src 0
		.amdhsa_exception_fp_ieee_div_zero 0
		.amdhsa_exception_fp_ieee_overflow 0
		.amdhsa_exception_fp_ieee_underflow 0
		.amdhsa_exception_fp_ieee_inexact 0
		.amdhsa_exception_int_div_zero 0
	.end_amdhsa_kernel
	.section	.text._ZN9rocsparseL18bsrxmvn_4x4_kernelILj128ELj64EdlifddEEvT3_20rocsparse_direction_NS_24const_host_device_scalarIT1_EES1_PKS1_PKT2_SA_S7_PKT4_PKT5_S5_PT6_21rocsparse_index_base_b,"axG",@progbits,_ZN9rocsparseL18bsrxmvn_4x4_kernelILj128ELj64EdlifddEEvT3_20rocsparse_direction_NS_24const_host_device_scalarIT1_EES1_PKS1_PKT2_SA_S7_PKT4_PKT5_S5_PT6_21rocsparse_index_base_b,comdat
.Lfunc_end159:
	.size	_ZN9rocsparseL18bsrxmvn_4x4_kernelILj128ELj64EdlifddEEvT3_20rocsparse_direction_NS_24const_host_device_scalarIT1_EES1_PKS1_PKT2_SA_S7_PKT4_PKT5_S5_PT6_21rocsparse_index_base_b, .Lfunc_end159-_ZN9rocsparseL18bsrxmvn_4x4_kernelILj128ELj64EdlifddEEvT3_20rocsparse_direction_NS_24const_host_device_scalarIT1_EES1_PKS1_PKT2_SA_S7_PKT4_PKT5_S5_PT6_21rocsparse_index_base_b
                                        ; -- End function
	.section	.AMDGPU.csdata,"",@progbits
; Kernel info:
; codeLenInByte = 6076
; NumSgprs: 18
; NumVgprs: 112
; ScratchSize: 0
; MemoryBound: 0
; FloatMode: 240
; IeeeMode: 1
; LDSByteSize: 0 bytes/workgroup (compile time only)
; SGPRBlocks: 2
; VGPRBlocks: 13
; NumSGPRsForWavesPerEU: 18
; NumVGPRsForWavesPerEU: 112
; Occupancy: 12
; WaveLimiterHint : 1
; COMPUTE_PGM_RSRC2:SCRATCH_EN: 0
; COMPUTE_PGM_RSRC2:USER_SGPR: 15
; COMPUTE_PGM_RSRC2:TRAP_HANDLER: 0
; COMPUTE_PGM_RSRC2:TGID_X_EN: 1
; COMPUTE_PGM_RSRC2:TGID_Y_EN: 0
; COMPUTE_PGM_RSRC2:TGID_Z_EN: 0
; COMPUTE_PGM_RSRC2:TIDIG_COMP_CNT: 0
	.section	.text._ZN9rocsparseL18bsrxmvn_4x4_kernelILj128ELj4EdllfddEEvT3_20rocsparse_direction_NS_24const_host_device_scalarIT1_EES1_PKS1_PKT2_SA_S7_PKT4_PKT5_S5_PT6_21rocsparse_index_base_b,"axG",@progbits,_ZN9rocsparseL18bsrxmvn_4x4_kernelILj128ELj4EdllfddEEvT3_20rocsparse_direction_NS_24const_host_device_scalarIT1_EES1_PKS1_PKT2_SA_S7_PKT4_PKT5_S5_PT6_21rocsparse_index_base_b,comdat
	.globl	_ZN9rocsparseL18bsrxmvn_4x4_kernelILj128ELj4EdllfddEEvT3_20rocsparse_direction_NS_24const_host_device_scalarIT1_EES1_PKS1_PKT2_SA_S7_PKT4_PKT5_S5_PT6_21rocsparse_index_base_b ; -- Begin function _ZN9rocsparseL18bsrxmvn_4x4_kernelILj128ELj4EdllfddEEvT3_20rocsparse_direction_NS_24const_host_device_scalarIT1_EES1_PKS1_PKT2_SA_S7_PKT4_PKT5_S5_PT6_21rocsparse_index_base_b
	.p2align	8
	.type	_ZN9rocsparseL18bsrxmvn_4x4_kernelILj128ELj4EdllfddEEvT3_20rocsparse_direction_NS_24const_host_device_scalarIT1_EES1_PKS1_PKT2_SA_S7_PKT4_PKT5_S5_PT6_21rocsparse_index_base_b,@function
_ZN9rocsparseL18bsrxmvn_4x4_kernelILj128ELj4EdllfddEEvT3_20rocsparse_direction_NS_24const_host_device_scalarIT1_EES1_PKS1_PKT2_SA_S7_PKT4_PKT5_S5_PT6_21rocsparse_index_base_b: ; @_ZN9rocsparseL18bsrxmvn_4x4_kernelILj128ELj4EdllfddEEvT3_20rocsparse_direction_NS_24const_host_device_scalarIT1_EES1_PKS1_PKT2_SA_S7_PKT4_PKT5_S5_PT6_21rocsparse_index_base_b
; %bb.0:
	s_clause 0x2
	s_load_b64 s[12:13], s[0:1], 0x60
	s_load_b128 s[4:7], s[0:1], 0x10
	s_load_b64 s[2:3], s[0:1], 0x50
	s_waitcnt lgkmcnt(0)
	s_bitcmp1_b32 s13, 0
	v_dual_mov_b32 v2, s4 :: v_dual_mov_b32 v3, s5
	s_cselect_b32 s8, -1, 0
	s_delay_alu instid0(SALU_CYCLE_1)
	s_and_b32 vcc_lo, exec_lo, s8
	s_xor_b32 s8, s8, -1
	s_cbranch_vccnz .LBB160_2
; %bb.1:
	v_dual_mov_b32 v1, s4 :: v_dual_mov_b32 v2, s5
	flat_load_b64 v[2:3], v[1:2]
.LBB160_2:
	v_dual_mov_b32 v9, s3 :: v_dual_mov_b32 v8, s2
	s_and_not1_b32 vcc_lo, exec_lo, s8
	s_cbranch_vccnz .LBB160_4
; %bb.3:
	v_dual_mov_b32 v5, s3 :: v_dual_mov_b32 v4, s2
	flat_load_b64 v[8:9], v[4:5]
.LBB160_4:
	s_waitcnt vmcnt(0) lgkmcnt(0)
	v_cmp_neq_f64_e32 vcc_lo, 0, v[2:3]
	v_cmp_neq_f64_e64 s2, 1.0, v[8:9]
	s_delay_alu instid0(VALU_DEP_1) | instskip(NEXT) | instid1(SALU_CYCLE_1)
	s_or_b32 s2, vcc_lo, s2
	s_and_saveexec_b32 s3, s2
	s_cbranch_execz .LBB160_10
; %bb.5:
	s_load_b64 s[2:3], s[0:1], 0x20
	v_lshrrev_b32_e32 v1, 2, v0
	v_mov_b32_e32 v5, 0
	s_mov_b32 s4, 0
	s_delay_alu instid0(VALU_DEP_2)
	v_lshl_or_b32 v4, s15, 5, v1
	s_waitcnt lgkmcnt(0)
	s_cmp_lg_u64 s[2:3], 0
	s_cbranch_scc0 .LBB160_11
; %bb.6:
	s_delay_alu instid0(VALU_DEP_1) | instskip(SKIP_2) | instid1(SALU_CYCLE_1)
	v_cmp_gt_i64_e32 vcc_lo, s[6:7], v[4:5]
	s_mov_b32 s5, 0
                                        ; implicit-def: $vgpr10_vgpr11
	s_and_saveexec_b32 s6, vcc_lo
	s_xor_b32 s6, exec_lo, s6
                                        ; implicit-def: $sgpr14_sgpr15
	s_cbranch_execz .LBB160_8
; %bb.7:
	v_lshlrev_b64 v[6:7], 3, v[4:5]
	s_mov_b32 s4, exec_lo
	s_mov_b32 s15, 0
	s_delay_alu instid0(VALU_DEP_1) | instskip(NEXT) | instid1(VALU_DEP_2)
	v_add_co_u32 v6, vcc_lo, s2, v6
	v_add_co_ci_u32_e32 v7, vcc_lo, s3, v7, vcc_lo
	global_load_b64 v[6:7], v[6:7], off
	s_waitcnt vmcnt(0)
	v_sub_co_u32 v10, vcc_lo, v6, s12
	v_subrev_co_ci_u32_e32 v11, vcc_lo, 0, v7, vcc_lo
.LBB160_8:
	s_or_b32 exec_lo, exec_lo, s6
	s_delay_alu instid0(SALU_CYCLE_1)
	s_and_b32 vcc_lo, exec_lo, s5
	s_cbranch_vccnz .LBB160_12
.LBB160_9:
	s_and_b32 exec_lo, exec_lo, s4
	s_cbranch_execnz .LBB160_15
.LBB160_10:
	s_nop 0
	s_sendmsg sendmsg(MSG_DEALLOC_VGPRS)
	s_endpgm
.LBB160_11:
                                        ; implicit-def: $vgpr10_vgpr11
                                        ; implicit-def: $sgpr14_sgpr15
	s_cbranch_execz .LBB160_9
.LBB160_12:
	s_load_b64 s[2:3], s[0:1], 0x0
                                        ; implicit-def: $vgpr10_vgpr11
	s_waitcnt lgkmcnt(0)
	v_cmp_gt_i64_e32 vcc_lo, s[2:3], v[4:5]
	s_and_saveexec_b32 s2, vcc_lo
                                        ; implicit-def: $sgpr14_sgpr15
; %bb.13:
	v_dual_mov_b32 v11, v5 :: v_dual_mov_b32 v10, v4
	s_mov_b32 s15, 0
	s_or_b32 s4, s4, exec_lo
; %bb.14:
	s_or_b32 exec_lo, exec_lo, s2
	s_delay_alu instid0(SALU_CYCLE_1)
	s_and_b32 exec_lo, exec_lo, s4
	s_cbranch_execz .LBB160_10
.LBB160_15:
	s_load_b256 s[4:11], s[0:1], 0x28
	v_lshlrev_b64 v[4:5], 3, v[10:11]
	v_and_b32_e32 v32, 3, v0
	s_load_b32 s3, s[0:1], 0x8
	s_waitcnt lgkmcnt(0)
	s_delay_alu instid0(VALU_DEP_2) | instskip(NEXT) | instid1(VALU_DEP_3)
	v_add_co_u32 v6, vcc_lo, s4, v4
	v_add_co_ci_u32_e32 v7, vcc_lo, s5, v5, vcc_lo
	v_add_co_u32 v1, vcc_lo, s6, v4
	v_add_co_ci_u32_e32 v4, vcc_lo, s7, v5, vcc_lo
	s_delay_alu instid0(VALU_DEP_4)
	v_add_co_u32 v12, vcc_lo, v6, 8
	global_load_b64 v[20:21], v[6:7], off
	v_add_co_ci_u32_e32 v5, vcc_lo, 0, v7, vcc_lo
	s_cmp_eq_u64 s[6:7], 0
	s_load_b64 s[4:5], s[0:1], 0x48
	s_cselect_b32 vcc_lo, -1, 0
	s_cmp_eq_u32 s3, 1
	v_dual_cndmask_b32 v5, v4, v5 :: v_dual_cndmask_b32 v4, v1, v12
	global_load_b64 v[4:5], v[4:5], off
	s_waitcnt vmcnt(1)
	v_sub_co_u32 v0, vcc_lo, v20, s12
	v_subrev_co_ci_u32_e32 v1, vcc_lo, s15, v21, vcc_lo
	s_delay_alu instid0(VALU_DEP_2) | instskip(NEXT) | instid1(VALU_DEP_2)
	v_add_co_u32 v0, vcc_lo, v0, v32
	v_add_co_ci_u32_e32 v1, vcc_lo, 0, v1, vcc_lo
	s_delay_alu instid0(VALU_DEP_1) | instskip(SKIP_3) | instid1(VALU_DEP_3)
	v_lshlrev_b64 v[6:7], 6, v[0:1]
	s_waitcnt vmcnt(0)
	v_sub_co_u32 v4, vcc_lo, v4, s12
	v_subrev_co_ci_u32_e32 v5, vcc_lo, s15, v5, vcc_lo
	v_add_co_u32 v6, vcc_lo, s10, v6
	s_delay_alu instid0(VALU_DEP_2)
	v_cmp_lt_i64_e64 s2, v[0:1], v[4:5]
	v_add_co_ci_u32_e32 v7, vcc_lo, s11, v7, vcc_lo
	s_cbranch_scc1 .LBB160_27
; %bb.16:
	v_mov_b32_e32 v12, 0
	v_mov_b32_e32 v13, 0
	s_delay_alu instid0(VALU_DEP_1)
	v_dual_mov_b32 v17, v13 :: v_dual_mov_b32 v16, v12
	v_dual_mov_b32 v19, v13 :: v_dual_mov_b32 v18, v12
	;; [unrolled: 1-line block ×3, first 2 shown]
	s_and_saveexec_b32 s6, s2
	s_cbranch_execz .LBB160_26
; %bb.17:
	v_or_b32_e32 v12, 4, v32
	v_not_b32_e32 v15, v20
	v_not_b32_e32 v14, v21
	s_mov_b32 s10, 0
	s_mov_b32 s7, exec_lo
	v_sub_co_u32 v12, s3, v12, s12
	s_delay_alu instid0(VALU_DEP_1) | instskip(SKIP_1) | instid1(VALU_DEP_3)
	v_sub_co_ci_u32_e64 v13, null, 0, s15, s3
	v_sub_co_u32 v16, s3, s12, v32
	v_add_co_u32 v12, vcc_lo, v12, v20
	s_delay_alu instid0(VALU_DEP_3) | instskip(SKIP_2) | instid1(VALU_DEP_3)
	v_add_co_ci_u32_e32 v13, vcc_lo, v13, v21, vcc_lo
	v_sub_co_ci_u32_e64 v17, null, s15, 0, s3
	v_mov_b32_e32 v23, v1
	v_cmp_gt_i64_e32 vcc_lo, v[12:13], v[4:5]
	v_dual_mov_b32 v25, v7 :: v_dual_mov_b32 v24, v6
	v_dual_cndmask_b32 v13, v5, v13 :: v_dual_cndmask_b32 v12, v4, v12
	v_add_co_u32 v15, vcc_lo, v16, v15
	v_add_co_ci_u32_e32 v14, vcc_lo, v17, v14, vcc_lo
	s_delay_alu instid0(VALU_DEP_2) | instskip(NEXT) | instid1(VALU_DEP_2)
	v_add_co_u32 v26, vcc_lo, v15, v12
	v_add_co_ci_u32_e32 v27, vcc_lo, v14, v13, vcc_lo
	v_mov_b32_e32 v14, 0
	s_delay_alu instid0(VALU_DEP_3) | instskip(SKIP_1) | instid1(VALU_DEP_1)
	v_lshrrev_b32_e32 v12, 2, v26
	v_dual_mov_b32 v15, 0 :: v_dual_mov_b32 v22, v0
	v_dual_mov_b32 v17, v15 :: v_dual_add_nc_u32 v12, 1, v12
	s_delay_alu instid0(VALU_DEP_4) | instskip(SKIP_1) | instid1(VALU_DEP_3)
	v_dual_mov_b32 v19, v15 :: v_dual_mov_b32 v16, v14
	v_mov_b32_e32 v18, v14
	v_and_b32_e32 v28, 3, v12
	v_dual_mov_b32 v12, v14 :: v_dual_mov_b32 v13, v15
	s_delay_alu instid0(VALU_DEP_2)
	v_cmpx_ne_u32_e32 0, v28
	s_cbranch_execz .LBB160_21
; %bb.18:
	v_lshlrev_b64 v[14:15], 3, v[0:1]
	v_dual_mov_b32 v29, 0 :: v_dual_mov_b32 v12, 0
	v_dual_mov_b32 v13, 0 :: v_dual_lshlrev_b32 v28, 3, v28
	v_dual_mov_b32 v25, v7 :: v_dual_mov_b32 v24, v6
	s_delay_alu instid0(VALU_DEP_4)
	v_add_co_u32 v30, vcc_lo, s8, v14
	v_add_co_ci_u32_e32 v31, vcc_lo, s9, v15, vcc_lo
	v_dual_mov_b32 v23, v1 :: v_dual_mov_b32 v22, v0
	v_dual_mov_b32 v17, v13 :: v_dual_mov_b32 v16, v12
	;; [unrolled: 1-line block ×4, first 2 shown]
.LBB160_19:                             ; =>This Inner Loop Header: Depth=1
	global_load_b64 v[49:50], v[30:31], off
	s_clause 0x3
	global_load_b128 v[33:36], v[24:25], off
	global_load_b128 v[37:40], v[24:25], off offset:16
	global_load_b128 v[41:44], v[24:25], off offset:32
	;; [unrolled: 1-line block ×3, first 2 shown]
	v_add_co_u32 v30, s3, v30, 32
	s_delay_alu instid0(VALU_DEP_1)
	v_add_co_ci_u32_e64 v31, s3, 0, v31, s3
	s_waitcnt vmcnt(4)
	v_sub_co_u32 v49, vcc_lo, v49, s12
	v_subrev_co_ci_u32_e32 v50, vcc_lo, s15, v50, vcc_lo
	s_waitcnt vmcnt(3)
	v_cvt_f64_f32_e32 v[57:58], v33
	s_waitcnt vmcnt(2)
	v_cvt_f64_f32_e32 v[59:60], v37
	;; [unrolled: 2-line block ×3, first 2 shown]
	v_lshlrev_b64 v[49:50], 5, v[49:50]
	s_waitcnt vmcnt(0)
	v_cvt_f64_f32_e32 v[63:64], v45
	v_cvt_f64_f32_e32 v[33:34], v34
	;; [unrolled: 1-line block ×5, first 2 shown]
	s_waitcnt lgkmcnt(0)
	v_add_co_u32 v53, vcc_lo, s4, v49
	v_add_co_ci_u32_e32 v54, vcc_lo, s5, v50, vcc_lo
	v_add_co_u32 v24, vcc_lo, 0x100, v24
	v_add_co_ci_u32_e32 v25, vcc_lo, 0, v25, vcc_lo
	s_clause 0x1
	global_load_b128 v[49:52], v[53:54], off
	global_load_b128 v[53:56], v[53:54], off offset:16
	v_add_co_u32 v28, vcc_lo, v28, -8
	v_add_co_ci_u32_e32 v29, vcc_lo, -1, v29, vcc_lo
	v_add_co_u32 v22, vcc_lo, v22, 4
	v_add_co_ci_u32_e32 v23, vcc_lo, 0, v23, vcc_lo
	s_delay_alu instid0(VALU_DEP_3)
	v_cmp_eq_u64_e32 vcc_lo, 0, v[28:29]
	s_or_b32 s10, vcc_lo, s10
	s_waitcnt vmcnt(1)
	v_fma_f64 v[14:15], v[57:58], v[49:50], v[14:15]
	v_fma_f64 v[18:19], v[59:60], v[49:50], v[18:19]
	;; [unrolled: 1-line block ×4, first 2 shown]
	v_cvt_f64_f32_e32 v[49:50], v35
	v_cvt_f64_f32_e32 v[57:58], v39
	;; [unrolled: 1-line block ×4, first 2 shown]
	v_fma_f64 v[14:15], v[33:34], v[51:52], v[14:15]
	v_fma_f64 v[18:19], v[37:38], v[51:52], v[18:19]
	;; [unrolled: 1-line block ×4, first 2 shown]
	v_cvt_f64_f32_e32 v[33:34], v36
	v_cvt_f64_f32_e32 v[35:36], v40
	;; [unrolled: 1-line block ×4, first 2 shown]
	s_waitcnt vmcnt(0)
	v_fma_f64 v[14:15], v[49:50], v[53:54], v[14:15]
	v_fma_f64 v[18:19], v[57:58], v[53:54], v[18:19]
	;; [unrolled: 1-line block ×4, first 2 shown]
	s_delay_alu instid0(VALU_DEP_4) | instskip(NEXT) | instid1(VALU_DEP_4)
	v_fma_f64 v[14:15], v[33:34], v[55:56], v[14:15]
	v_fma_f64 v[18:19], v[35:36], v[55:56], v[18:19]
	s_delay_alu instid0(VALU_DEP_4) | instskip(NEXT) | instid1(VALU_DEP_4)
	v_fma_f64 v[16:17], v[37:38], v[55:56], v[16:17]
	v_fma_f64 v[12:13], v[39:40], v[55:56], v[12:13]
	s_and_not1_b32 exec_lo, exec_lo, s10
	s_cbranch_execnz .LBB160_19
; %bb.20:
	s_or_b32 exec_lo, exec_lo, s10
.LBB160_21:
	s_delay_alu instid0(SALU_CYCLE_1) | instskip(NEXT) | instid1(SALU_CYCLE_1)
	s_or_b32 exec_lo, exec_lo, s7
	s_mov_b32 s7, exec_lo
	v_cmpx_lt_u64_e32 11, v[26:27]
	s_cbranch_execz .LBB160_25
; %bb.22:
	v_lshlrev_b64 v[26:27], 3, v[22:23]
	s_mov_b32 s10, 0
	s_delay_alu instid0(VALU_DEP_1) | instskip(NEXT) | instid1(VALU_DEP_2)
	v_add_co_u32 v26, vcc_lo, v26, s8
	v_add_co_ci_u32_e32 v27, vcc_lo, s9, v27, vcc_lo
	s_delay_alu instid0(VALU_DEP_2) | instskip(NEXT) | instid1(VALU_DEP_2)
	v_add_co_u32 v26, vcc_lo, v26, 64
	v_add_co_ci_u32_e32 v27, vcc_lo, 0, v27, vcc_lo
.LBB160_23:                             ; =>This Inner Loop Header: Depth=1
	s_clause 0x1
	global_load_b64 v[45:46], v[26:27], off offset:-64
	global_load_b64 v[69:70], v[26:27], off offset:-32
	s_clause 0x3
	global_load_b128 v[28:31], v[24:25], off
	global_load_b128 v[33:36], v[24:25], off offset:16
	global_load_b128 v[37:40], v[24:25], off offset:32
	;; [unrolled: 1-line block ×3, first 2 shown]
	s_clause 0x1
	global_load_b64 v[93:94], v[26:27], off
	global_load_b64 v[97:98], v[26:27], off offset:32
	v_add_co_u32 v26, s3, 0x80, v26
	s_delay_alu instid0(VALU_DEP_1)
	v_add_co_ci_u32_e64 v27, s3, 0, v27, s3
	s_waitcnt vmcnt(7)
	v_sub_co_u32 v45, vcc_lo, v45, s12
	v_subrev_co_ci_u32_e32 v46, vcc_lo, s15, v46, vcc_lo
	s_waitcnt vmcnt(5)
	v_cvt_f64_f32_e32 v[99:100], v28
	s_waitcnt vmcnt(4)
	v_cvt_f64_f32_e32 v[101:102], v33
	;; [unrolled: 2-line block ×3, first 2 shown]
	v_lshlrev_b64 v[45:46], 5, v[45:46]
	s_waitcnt vmcnt(2)
	v_cvt_f64_f32_e32 v[105:106], v41
	v_cvt_f64_f32_e32 v[28:29], v29
	;; [unrolled: 1-line block ×5, first 2 shown]
	s_waitcnt lgkmcnt(0)
	v_add_co_u32 v49, vcc_lo, s4, v45
	v_add_co_ci_u32_e32 v50, vcc_lo, s5, v46, vcc_lo
	v_sub_co_u32 v69, vcc_lo, v69, s12
	v_subrev_co_ci_u32_e32 v70, vcc_lo, s15, v70, vcc_lo
	s_clause 0x1
	global_load_b128 v[45:48], v[49:50], off
	global_load_b128 v[49:52], v[49:50], off offset:16
	s_clause 0x3
	global_load_b128 v[53:56], v[24:25], off offset:256
	global_load_b128 v[57:60], v[24:25], off offset:272
	;; [unrolled: 1-line block ×4, first 2 shown]
	v_lshlrev_b64 v[69:70], 5, v[69:70]
	s_delay_alu instid0(VALU_DEP_1) | instskip(NEXT) | instid1(VALU_DEP_2)
	v_add_co_u32 v73, vcc_lo, s4, v69
	v_add_co_ci_u32_e32 v74, vcc_lo, s5, v70, vcc_lo
	s_waitcnt vmcnt(7)
	v_sub_co_u32 v93, vcc_lo, v93, s12
	s_clause 0x1
	global_load_b128 v[69:72], v[73:74], off
	global_load_b128 v[73:76], v[73:74], off offset:16
	s_clause 0x3
	global_load_b128 v[77:80], v[24:25], off offset:512
	global_load_b128 v[81:84], v[24:25], off offset:528
	;; [unrolled: 1-line block ×4, first 2 shown]
	v_subrev_co_ci_u32_e32 v94, vcc_lo, s15, v94, vcc_lo
	s_delay_alu instid0(VALU_DEP_1) | instskip(NEXT) | instid1(VALU_DEP_1)
	v_lshlrev_b64 v[93:94], 5, v[93:94]
	v_add_co_u32 v107, vcc_lo, s4, v93
	s_delay_alu instid0(VALU_DEP_2)
	v_add_co_ci_u32_e32 v108, vcc_lo, s5, v94, vcc_lo
	s_waitcnt vmcnt(12)
	v_sub_co_u32 v97, vcc_lo, v97, s12
	v_subrev_co_ci_u32_e32 v98, vcc_lo, s15, v98, vcc_lo
	global_load_b128 v[93:96], v[107:108], off
	s_waitcnt vmcnt(12)
	v_fma_f64 v[14:15], v[99:100], v[45:46], v[14:15]
	v_fma_f64 v[18:19], v[101:102], v[45:46], v[18:19]
	;; [unrolled: 1-line block ×4, first 2 shown]
	v_cvt_f64_f32_e32 v[45:46], v30
	v_cvt_f64_f32_e32 v[99:100], v35
	;; [unrolled: 1-line block ×6, first 2 shown]
	s_waitcnt vmcnt(8)
	v_cvt_f64_f32_e32 v[109:110], v61
	s_waitcnt vmcnt(7)
	v_cvt_f64_f32_e32 v[111:112], v65
	v_cvt_f64_f32_e32 v[61:62], v62
	;; [unrolled: 1-line block ×3, first 2 shown]
	v_fma_f64 v[28:29], v[28:29], v[47:48], v[14:15]
	v_fma_f64 v[18:19], v[33:34], v[47:48], v[18:19]
	;; [unrolled: 1-line block ×4, first 2 shown]
	global_load_b128 v[12:15], v[107:108], off offset:16
	v_cvt_f64_f32_e32 v[41:42], v31
	v_cvt_f64_f32_e32 v[47:48], v36
	;; [unrolled: 1-line block ×4, first 2 shown]
	v_fma_f64 v[45:46], v[45:46], v[49:50], v[28:29]
	v_fma_f64 v[99:100], v[99:100], v[49:50], v[18:19]
	;; [unrolled: 1-line block ×4, first 2 shown]
	s_clause 0x3
	global_load_b128 v[16:19], v[24:25], off offset:768
	global_load_b128 v[28:31], v[24:25], off offset:784
	;; [unrolled: 1-line block ×4, first 2 shown]
	v_cvt_f64_f32_e32 v[103:104], v53
	v_cvt_f64_f32_e32 v[53:54], v54
	v_fma_f64 v[45:46], v[41:42], v[51:52], v[45:46]
	v_fma_f64 v[47:48], v[47:48], v[51:52], v[99:100]
	;; [unrolled: 1-line block ×4, first 2 shown]
	v_lshlrev_b64 v[41:42], 5, v[97:98]
	v_cvt_f64_f32_e32 v[101:102], v63
	s_delay_alu instid0(VALU_DEP_2) | instskip(NEXT) | instid1(VALU_DEP_3)
	v_add_co_u32 v51, vcc_lo, s4, v41
	v_add_co_ci_u32_e32 v52, vcc_lo, s5, v42, vcc_lo
	v_add_co_u32 v22, vcc_lo, v22, 16
	v_add_co_ci_u32_e32 v23, vcc_lo, 0, v23, vcc_lo
	global_load_b128 v[41:44], v[51:52], off
	v_add_co_u32 v24, vcc_lo, 0x400, v24
	v_add_co_ci_u32_e32 v25, vcc_lo, 0, v25, vcc_lo
	v_cmp_ge_i64_e32 vcc_lo, v[22:23], v[4:5]
	s_or_b32 s10, vcc_lo, s10
	s_waitcnt vmcnt(12)
	v_fma_f64 v[45:46], v[103:104], v[69:70], v[45:46]
	v_fma_f64 v[47:48], v[107:108], v[69:70], v[47:48]
	;; [unrolled: 1-line block ×4, first 2 shown]
	v_cvt_f64_f32_e32 v[69:70], v55
	v_cvt_f64_f32_e32 v[99:100], v59
	;; [unrolled: 1-line block ×3, first 2 shown]
	v_fma_f64 v[53:54], v[53:54], v[71:72], v[45:46]
	v_fma_f64 v[57:58], v[57:58], v[71:72], v[47:48]
	global_load_b128 v[45:48], v[51:52], off offset:16
	v_fma_f64 v[61:62], v[61:62], v[71:72], v[97:98]
	v_fma_f64 v[49:50], v[65:66], v[71:72], v[49:50]
	v_cvt_f64_f32_e32 v[51:52], v56
	v_cvt_f64_f32_e32 v[55:56], v60
	;; [unrolled: 1-line block ×4, first 2 shown]
	s_waitcnt vmcnt(11)
	v_cvt_f64_f32_e32 v[65:66], v77
	s_waitcnt vmcnt(10)
	v_cvt_f64_f32_e32 v[67:68], v81
	;; [unrolled: 2-line block ×3, first 2 shown]
	v_fma_f64 v[53:54], v[69:70], v[73:74], v[53:54]
	v_fma_f64 v[57:58], v[99:100], v[73:74], v[57:58]
	v_cvt_f64_f32_e32 v[69:70], v85
	v_fma_f64 v[61:62], v[101:102], v[73:74], v[61:62]
	v_fma_f64 v[49:50], v[103:104], v[73:74], v[49:50]
	;; [unrolled: 1-line block ×4, first 2 shown]
	v_cvt_f64_f32_e32 v[57:58], v78
	v_fma_f64 v[55:56], v[59:60], v[75:76], v[61:62]
	v_fma_f64 v[49:50], v[63:64], v[75:76], v[49:50]
	v_cvt_f64_f32_e32 v[59:60], v82
	v_cvt_f64_f32_e32 v[61:62], v86
	;; [unrolled: 1-line block ×3, first 2 shown]
	s_waitcnt vmcnt(7)
	v_fma_f64 v[51:52], v[65:66], v[93:94], v[51:52]
	v_fma_f64 v[53:54], v[67:68], v[93:94], v[53:54]
	v_cvt_f64_f32_e32 v[65:66], v79
	v_fma_f64 v[55:56], v[69:70], v[93:94], v[55:56]
	v_fma_f64 v[49:50], v[71:72], v[93:94], v[49:50]
	v_cvt_f64_f32_e32 v[67:68], v83
	v_cvt_f64_f32_e32 v[69:70], v87
	;; [unrolled: 1-line block ×3, first 2 shown]
	v_fma_f64 v[51:52], v[57:58], v[95:96], v[51:52]
	v_fma_f64 v[53:54], v[59:60], v[95:96], v[53:54]
	v_cvt_f64_f32_e32 v[57:58], v80
	v_fma_f64 v[55:56], v[61:62], v[95:96], v[55:56]
	v_fma_f64 v[49:50], v[63:64], v[95:96], v[49:50]
	v_cvt_f64_f32_e32 v[59:60], v84
	v_cvt_f64_f32_e32 v[61:62], v88
	v_cvt_f64_f32_e32 v[63:64], v92
	s_waitcnt vmcnt(6)
	v_fma_f64 v[51:52], v[65:66], v[12:13], v[51:52]
	v_fma_f64 v[53:54], v[67:68], v[12:13], v[53:54]
	;; [unrolled: 1-line block ×4, first 2 shown]
	s_waitcnt vmcnt(5)
	v_cvt_f64_f32_e32 v[49:50], v16
	s_waitcnt vmcnt(4)
	v_cvt_f64_f32_e32 v[65:66], v28
	s_waitcnt vmcnt(3)
	v_cvt_f64_f32_e32 v[67:68], v33
	s_waitcnt vmcnt(2)
	v_cvt_f64_f32_e32 v[69:70], v37
	v_fma_f64 v[51:52], v[57:58], v[14:15], v[51:52]
	v_fma_f64 v[53:54], v[59:60], v[14:15], v[53:54]
	v_cvt_f64_f32_e32 v[57:58], v39
	v_fma_f64 v[55:56], v[61:62], v[14:15], v[55:56]
	v_fma_f64 v[12:13], v[63:64], v[14:15], v[12:13]
	v_cvt_f64_f32_e32 v[14:15], v17
	v_cvt_f64_f32_e32 v[16:17], v29
	;; [unrolled: 1-line block ×4, first 2 shown]
	s_waitcnt vmcnt(1)
	v_fma_f64 v[37:38], v[49:50], v[41:42], v[51:52]
	v_fma_f64 v[49:50], v[65:66], v[41:42], v[53:54]
	v_cvt_f64_f32_e32 v[53:54], v30
	v_fma_f64 v[51:52], v[67:68], v[41:42], v[55:56]
	v_fma_f64 v[12:13], v[69:70], v[41:42], v[12:13]
	v_cvt_f64_f32_e32 v[41:42], v18
	v_cvt_f64_f32_e32 v[55:56], v35
	;; [unrolled: 1-line block ×4, first 2 shown]
	v_fma_f64 v[14:15], v[14:15], v[43:44], v[37:38]
	v_fma_f64 v[16:17], v[16:17], v[43:44], v[49:50]
	;; [unrolled: 1-line block ×4, first 2 shown]
	v_cvt_f64_f32_e32 v[33:34], v36
	v_cvt_f64_f32_e32 v[35:36], v40
	s_waitcnt vmcnt(0)
	v_fma_f64 v[14:15], v[41:42], v[45:46], v[14:15]
	v_fma_f64 v[16:17], v[53:54], v[45:46], v[16:17]
	;; [unrolled: 1-line block ×4, first 2 shown]
	s_delay_alu instid0(VALU_DEP_4) | instskip(NEXT) | instid1(VALU_DEP_4)
	v_fma_f64 v[14:15], v[18:19], v[47:48], v[14:15]
	v_fma_f64 v[18:19], v[30:31], v[47:48], v[16:17]
	s_delay_alu instid0(VALU_DEP_4) | instskip(NEXT) | instid1(VALU_DEP_4)
	v_fma_f64 v[16:17], v[33:34], v[47:48], v[28:29]
	v_fma_f64 v[12:13], v[35:36], v[47:48], v[12:13]
	s_and_not1_b32 exec_lo, exec_lo, s10
	s_cbranch_execnz .LBB160_23
; %bb.24:
	s_or_b32 exec_lo, exec_lo, s10
.LBB160_25:
	s_delay_alu instid0(SALU_CYCLE_1)
	s_or_b32 exec_lo, exec_lo, s7
.LBB160_26:
	s_delay_alu instid0(SALU_CYCLE_1)
	s_or_b32 exec_lo, exec_lo, s6
	s_cbranch_execz .LBB160_28
	s_branch .LBB160_39
.LBB160_27:
                                        ; implicit-def: $vgpr12_vgpr13
                                        ; implicit-def: $vgpr16_vgpr17
                                        ; implicit-def: $vgpr18_vgpr19
                                        ; implicit-def: $vgpr14_vgpr15
.LBB160_28:
	v_mov_b32_e32 v12, 0
	v_mov_b32_e32 v13, 0
	s_delay_alu instid0(VALU_DEP_1)
	v_dual_mov_b32 v17, v13 :: v_dual_mov_b32 v16, v12
	v_dual_mov_b32 v19, v13 :: v_dual_mov_b32 v18, v12
	;; [unrolled: 1-line block ×3, first 2 shown]
	s_and_saveexec_b32 s3, s2
	s_cbranch_execz .LBB160_38
; %bb.29:
	v_or_b32_e32 v12, 4, v32
	v_not_b32_e32 v15, v20
	v_not_b32_e32 v14, v21
	s_mov_b32 s7, 0
	s_mov_b32 s6, exec_lo
	v_sub_co_u32 v12, s2, v12, s12
	s_delay_alu instid0(VALU_DEP_1) | instskip(SKIP_1) | instid1(VALU_DEP_3)
	v_sub_co_ci_u32_e64 v13, null, 0, s15, s2
	v_sub_co_u32 v16, s2, s12, v32
	v_add_co_u32 v12, vcc_lo, v12, v20
	s_delay_alu instid0(VALU_DEP_3) | instskip(SKIP_1) | instid1(VALU_DEP_2)
	v_add_co_ci_u32_e32 v13, vcc_lo, v13, v21, vcc_lo
	v_sub_co_ci_u32_e64 v17, null, s15, 0, s2
	v_cmp_gt_i64_e32 vcc_lo, v[12:13], v[4:5]
	v_dual_cndmask_b32 v13, v5, v13 :: v_dual_cndmask_b32 v12, v4, v12
	v_add_co_u32 v15, vcc_lo, v16, v15
	s_delay_alu instid0(VALU_DEP_4) | instskip(NEXT) | instid1(VALU_DEP_2)
	v_add_co_ci_u32_e32 v14, vcc_lo, v17, v14, vcc_lo
	v_add_co_u32 v20, vcc_lo, v15, v12
	s_delay_alu instid0(VALU_DEP_2) | instskip(SKIP_1) | instid1(VALU_DEP_3)
	v_add_co_ci_u32_e32 v21, vcc_lo, v14, v13, vcc_lo
	v_mov_b32_e32 v14, 0
	v_lshrrev_b32_e32 v12, 2, v20
	s_delay_alu instid0(VALU_DEP_1) | instskip(NEXT) | instid1(VALU_DEP_1)
	v_dual_mov_b32 v15, 0 :: v_dual_add_nc_u32 v12, 1, v12
	v_dual_mov_b32 v19, v15 :: v_dual_mov_b32 v18, v14
	v_dual_mov_b32 v17, v15 :: v_dual_mov_b32 v16, v14
	s_delay_alu instid0(VALU_DEP_3) | instskip(SKIP_1) | instid1(VALU_DEP_2)
	v_and_b32_e32 v22, 3, v12
	v_dual_mov_b32 v12, v14 :: v_dual_mov_b32 v13, v15
	v_cmpx_ne_u32_e32 0, v22
	s_cbranch_execz .LBB160_33
; %bb.30:
	v_lshlrev_b64 v[14:15], 3, v[0:1]
	v_dual_mov_b32 v23, 0 :: v_dual_mov_b32 v12, 0
	v_dual_mov_b32 v13, 0 :: v_dual_lshlrev_b32 v22, 3, v22
	s_delay_alu instid0(VALU_DEP_3) | instskip(NEXT) | instid1(VALU_DEP_4)
	v_add_co_u32 v24, vcc_lo, s8, v14
	v_add_co_ci_u32_e32 v25, vcc_lo, s9, v15, vcc_lo
	s_delay_alu instid0(VALU_DEP_3)
	v_dual_mov_b32 v17, v13 :: v_dual_mov_b32 v16, v12
	v_dual_mov_b32 v19, v13 :: v_dual_mov_b32 v18, v12
	;; [unrolled: 1-line block ×3, first 2 shown]
.LBB160_31:                             ; =>This Inner Loop Header: Depth=1
	global_load_b64 v[30:31], v[24:25], off
	s_clause 0x1
	global_load_b128 v[26:29], v[6:7], off
	global_load_b128 v[33:36], v[6:7], off offset:16
	v_add_co_u32 v24, s2, v24, 32
	s_delay_alu instid0(VALU_DEP_1)
	v_add_co_ci_u32_e64 v25, s2, 0, v25, s2
	s_waitcnt vmcnt(2)
	v_sub_co_u32 v30, vcc_lo, v30, s12
	v_subrev_co_ci_u32_e32 v31, vcc_lo, s15, v31, vcc_lo
	s_waitcnt vmcnt(1)
	v_cvt_f64_f32_e32 v[53:54], v28
	v_cvt_f64_f32_e32 v[28:29], v29
	s_waitcnt vmcnt(0)
	v_cvt_f64_f32_e32 v[55:56], v33
	v_lshlrev_b64 v[30:31], 5, v[30:31]
	v_cvt_f64_f32_e32 v[33:34], v34
	v_cvt_f64_f32_e32 v[57:58], v35
	;; [unrolled: 1-line block ×3, first 2 shown]
	s_waitcnt lgkmcnt(0)
	s_delay_alu instid0(VALU_DEP_4)
	v_add_co_u32 v30, vcc_lo, s4, v30
	v_add_co_ci_u32_e32 v31, vcc_lo, s5, v31, vcc_lo
	s_clause 0x1
	global_load_b128 v[37:40], v[30:31], off
	global_load_b128 v[41:44], v[30:31], off offset:16
	s_clause 0x1
	global_load_b128 v[45:48], v[6:7], off offset:32
	global_load_b128 v[49:52], v[6:7], off offset:48
	v_cvt_f64_f32_e32 v[30:31], v26
	v_cvt_f64_f32_e32 v[26:27], v27
	v_add_co_u32 v6, vcc_lo, 0x100, v6
	v_add_co_ci_u32_e32 v7, vcc_lo, 0, v7, vcc_lo
	v_add_co_u32 v22, vcc_lo, v22, -8
	v_add_co_ci_u32_e32 v23, vcc_lo, -1, v23, vcc_lo
	v_add_co_u32 v0, vcc_lo, v0, 4
	v_add_co_ci_u32_e32 v1, vcc_lo, 0, v1, vcc_lo
	s_delay_alu instid0(VALU_DEP_3)
	v_cmp_eq_u64_e32 vcc_lo, 0, v[22:23]
	s_or_b32 s7, vcc_lo, s7
	s_waitcnt vmcnt(3)
	v_fma_f64 v[14:15], v[30:31], v[37:38], v[14:15]
	v_fma_f64 v[18:19], v[26:27], v[37:38], v[18:19]
	v_fma_f64 v[16:17], v[53:54], v[37:38], v[16:17]
	v_fma_f64 v[12:13], v[28:29], v[37:38], v[12:13]
	s_waitcnt vmcnt(1)
	v_cvt_f64_f32_e32 v[26:27], v45
	v_cvt_f64_f32_e32 v[28:29], v46
	;; [unrolled: 1-line block ×4, first 2 shown]
	s_waitcnt vmcnt(0)
	v_cvt_f64_f32_e32 v[45:46], v52
	v_fma_f64 v[14:15], v[55:56], v[39:40], v[14:15]
	v_fma_f64 v[18:19], v[33:34], v[39:40], v[18:19]
	;; [unrolled: 1-line block ×4, first 2 shown]
	v_cvt_f64_f32_e32 v[33:34], v49
	v_cvt_f64_f32_e32 v[35:36], v50
	;; [unrolled: 1-line block ×3, first 2 shown]
	v_fma_f64 v[14:15], v[26:27], v[41:42], v[14:15]
	v_fma_f64 v[18:19], v[28:29], v[41:42], v[18:19]
	;; [unrolled: 1-line block ×4, first 2 shown]
	s_delay_alu instid0(VALU_DEP_4) | instskip(NEXT) | instid1(VALU_DEP_4)
	v_fma_f64 v[14:15], v[33:34], v[43:44], v[14:15]
	v_fma_f64 v[18:19], v[35:36], v[43:44], v[18:19]
	s_delay_alu instid0(VALU_DEP_4) | instskip(NEXT) | instid1(VALU_DEP_4)
	v_fma_f64 v[16:17], v[39:40], v[43:44], v[16:17]
	v_fma_f64 v[12:13], v[45:46], v[43:44], v[12:13]
	s_and_not1_b32 exec_lo, exec_lo, s7
	s_cbranch_execnz .LBB160_31
; %bb.32:
	s_or_b32 exec_lo, exec_lo, s7
.LBB160_33:
	s_delay_alu instid0(SALU_CYCLE_1) | instskip(NEXT) | instid1(SALU_CYCLE_1)
	s_or_b32 exec_lo, exec_lo, s6
	s_mov_b32 s6, exec_lo
	v_cmpx_lt_u64_e32 11, v[20:21]
	s_cbranch_execz .LBB160_37
; %bb.34:
	v_lshlrev_b64 v[20:21], 3, v[0:1]
	s_mov_b32 s7, 0
	s_delay_alu instid0(VALU_DEP_1) | instskip(NEXT) | instid1(VALU_DEP_2)
	v_add_co_u32 v20, vcc_lo, v20, s8
	v_add_co_ci_u32_e32 v21, vcc_lo, s9, v21, vcc_lo
	s_delay_alu instid0(VALU_DEP_2) | instskip(NEXT) | instid1(VALU_DEP_2)
	v_add_co_u32 v20, vcc_lo, v20, 64
	v_add_co_ci_u32_e32 v21, vcc_lo, 0, v21, vcc_lo
.LBB160_35:                             ; =>This Inner Loop Header: Depth=1
	s_clause 0x1
	global_load_b64 v[30:31], v[20:21], off offset:-64
	global_load_b64 v[53:54], v[20:21], off offset:-32
	global_load_b128 v[22:25], v[6:7], off
	global_load_b64 v[77:78], v[20:21], off
	global_load_b128 v[26:29], v[6:7], off offset:16
	global_load_b64 v[81:82], v[20:21], off offset:32
	v_add_co_u32 v20, s2, 0x80, v20
	s_delay_alu instid0(VALU_DEP_1)
	v_add_co_ci_u32_e64 v21, s2, 0, v21, s2
	s_waitcnt vmcnt(5)
	v_sub_co_u32 v30, vcc_lo, v30, s12
	v_subrev_co_ci_u32_e32 v31, vcc_lo, s15, v31, vcc_lo
	s_waitcnt vmcnt(3)
	v_cvt_f64_f32_e32 v[83:84], v23
	v_cvt_f64_f32_e32 v[85:86], v24
	;; [unrolled: 1-line block ×3, first 2 shown]
	v_lshlrev_b64 v[30:31], 5, v[30:31]
	s_waitcnt vmcnt(1)
	v_cvt_f64_f32_e32 v[91:92], v26
	v_cvt_f64_f32_e32 v[26:27], v27
	;; [unrolled: 1-line block ×4, first 2 shown]
	s_waitcnt lgkmcnt(0)
	v_add_co_u32 v30, vcc_lo, s4, v30
	v_add_co_ci_u32_e32 v31, vcc_lo, s5, v31, vcc_lo
	global_load_b128 v[33:36], v[30:31], off
	s_clause 0x1
	global_load_b128 v[37:40], v[6:7], off offset:32
	global_load_b128 v[41:44], v[6:7], off offset:48
	;; [unrolled: 1-line block ×4, first 2 shown]
	v_sub_co_u32 v30, vcc_lo, v53, s12
	v_subrev_co_ci_u32_e32 v31, vcc_lo, s15, v54, vcc_lo
	s_delay_alu instid0(VALU_DEP_1) | instskip(NEXT) | instid1(VALU_DEP_1)
	v_lshlrev_b64 v[30:31], 5, v[30:31]
	v_add_co_u32 v30, vcc_lo, s4, v30
	s_delay_alu instid0(VALU_DEP_2)
	v_add_co_ci_u32_e32 v31, vcc_lo, s5, v31, vcc_lo
	global_load_b128 v[53:56], v[6:7], off offset:272
	global_load_b128 v[57:60], v[30:31], off
	s_clause 0x1
	global_load_b128 v[61:64], v[6:7], off offset:288
	global_load_b128 v[65:68], v[6:7], off offset:304
	;; [unrolled: 1-line block ×4, first 2 shown]
	v_cvt_f64_f32_e32 v[30:31], v22
	v_sub_co_u32 v22, vcc_lo, v77, s12
	v_subrev_co_ci_u32_e32 v23, vcc_lo, s15, v78, vcc_lo
	s_delay_alu instid0(VALU_DEP_1) | instskip(NEXT) | instid1(VALU_DEP_1)
	v_lshlrev_b64 v[22:23], 5, v[22:23]
	v_add_co_u32 v89, vcc_lo, s4, v22
	s_delay_alu instid0(VALU_DEP_2)
	v_add_co_ci_u32_e32 v90, vcc_lo, s5, v23, vcc_lo
	global_load_b128 v[22:25], v[6:7], off offset:528
	global_load_b128 v[77:80], v[89:90], off
	s_waitcnt vmcnt(13)
	v_sub_co_u32 v81, vcc_lo, v81, s12
	v_subrev_co_ci_u32_e32 v82, vcc_lo, s15, v82, vcc_lo
	s_waitcnt vmcnt(12)
	v_fma_f64 v[30:31], v[30:31], v[33:34], v[14:15]
	v_fma_f64 v[18:19], v[83:84], v[33:34], v[18:19]
	;; [unrolled: 1-line block ×4, first 2 shown]
	global_load_b128 v[12:15], v[6:7], off offset:544
	s_waitcnt vmcnt(12)
	v_cvt_f64_f32_e32 v[83:84], v37
	v_cvt_f64_f32_e32 v[37:38], v38
	;; [unrolled: 1-line block ×4, first 2 shown]
	v_fma_f64 v[30:31], v[91:92], v[35:36], v[30:31]
	v_fma_f64 v[87:88], v[26:27], v[35:36], v[18:19]
	;; [unrolled: 1-line block ×4, first 2 shown]
	global_load_b128 v[16:19], v[6:7], off offset:560
	global_load_b128 v[26:29], v[89:90], off offset:16
	s_waitcnt vmcnt(13)
	v_cvt_f64_f32_e32 v[89:90], v41
	v_cvt_f64_f32_e32 v[41:42], v42
	;; [unrolled: 1-line block ×4, first 2 shown]
	s_waitcnt vmcnt(12)
	v_fma_f64 v[30:31], v[83:84], v[45:46], v[30:31]
	v_fma_f64 v[37:38], v[37:38], v[45:46], v[87:88]
	v_fma_f64 v[83:84], v[85:86], v[45:46], v[91:92]
	v_fma_f64 v[39:40], v[39:40], v[45:46], v[33:34]
	global_load_b128 v[33:36], v[6:7], off offset:768
	s_waitcnt vmcnt(12)
	v_cvt_f64_f32_e32 v[45:46], v49
	v_cvt_f64_f32_e32 v[49:50], v50
	;; [unrolled: 1-line block ×4, first 2 shown]
	s_waitcnt vmcnt(11)
	v_cvt_f64_f32_e32 v[91:92], v55
	v_cvt_f64_f32_e32 v[55:56], v56
	v_fma_f64 v[30:31], v[89:90], v[47:48], v[30:31]
	v_fma_f64 v[87:88], v[41:42], v[47:48], v[37:38]
	;; [unrolled: 1-line block ×4, first 2 shown]
	v_lshlrev_b64 v[37:38], 5, v[81:82]
	v_cvt_f64_f32_e32 v[89:90], v53
	v_cvt_f64_f32_e32 v[53:54], v54
	s_delay_alu instid0(VALU_DEP_3) | instskip(NEXT) | instid1(VALU_DEP_4)
	v_add_co_u32 v81, vcc_lo, s4, v37
	v_add_co_ci_u32_e32 v82, vcc_lo, s5, v38, vcc_lo
	global_load_b128 v[37:40], v[6:7], off offset:784
	global_load_b128 v[41:44], v[81:82], off
	v_add_co_u32 v0, vcc_lo, v0, 16
	v_add_co_ci_u32_e32 v1, vcc_lo, 0, v1, vcc_lo
	s_waitcnt vmcnt(12)
	v_fma_f64 v[30:31], v[45:46], v[57:58], v[30:31]
	v_fma_f64 v[49:50], v[49:50], v[57:58], v[87:88]
	;; [unrolled: 1-line block ×4, first 2 shown]
	global_load_b128 v[45:48], v[6:7], off offset:800
	s_waitcnt vmcnt(12)
	v_cvt_f64_f32_e32 v[57:58], v61
	v_cvt_f64_f32_e32 v[61:62], v62
	;; [unrolled: 1-line block ×4, first 2 shown]
	v_fma_f64 v[30:31], v[89:90], v[59:60], v[30:31]
	v_fma_f64 v[87:88], v[53:54], v[59:60], v[49:50]
	;; [unrolled: 1-line block ×4, first 2 shown]
	global_load_b128 v[49:52], v[6:7], off offset:816
	global_load_b128 v[53:56], v[81:82], off offset:16
	s_waitcnt vmcnt(13)
	v_cvt_f64_f32_e32 v[81:82], v65
	v_cvt_f64_f32_e32 v[65:66], v66
	v_cvt_f64_f32_e32 v[89:90], v67
	v_cvt_f64_f32_e32 v[67:68], v68
	v_add_co_u32 v6, vcc_lo, 0x400, v6
	v_add_co_ci_u32_e32 v7, vcc_lo, 0, v7, vcc_lo
	v_cmp_ge_i64_e32 vcc_lo, v[0:1], v[4:5]
	s_or_b32 s7, vcc_lo, s7
	s_waitcnt vmcnt(12)
	v_fma_f64 v[30:31], v[57:58], v[69:70], v[30:31]
	v_fma_f64 v[57:58], v[61:62], v[69:70], v[87:88]
	v_fma_f64 v[61:62], v[85:86], v[69:70], v[83:84]
	v_fma_f64 v[59:60], v[63:64], v[69:70], v[59:60]
	s_waitcnt vmcnt(11)
	v_cvt_f64_f32_e32 v[63:64], v73
	v_cvt_f64_f32_e32 v[69:70], v74
	v_cvt_f64_f32_e32 v[73:74], v75
	v_cvt_f64_f32_e32 v[75:76], v76
	v_fma_f64 v[30:31], v[81:82], v[71:72], v[30:31]
	v_fma_f64 v[57:58], v[65:66], v[71:72], v[57:58]
	v_fma_f64 v[61:62], v[89:90], v[71:72], v[61:62]
	v_fma_f64 v[59:60], v[67:68], v[71:72], v[59:60]
	s_waitcnt vmcnt(10)
	v_cvt_f64_f32_e32 v[65:66], v22
	v_cvt_f64_f32_e32 v[22:23], v23
	v_cvt_f64_f32_e32 v[67:68], v24
	v_cvt_f64_f32_e32 v[24:25], v25
	s_waitcnt vmcnt(9)
	v_fma_f64 v[30:31], v[63:64], v[77:78], v[30:31]
	v_fma_f64 v[57:58], v[69:70], v[77:78], v[57:58]
	v_fma_f64 v[61:62], v[73:74], v[77:78], v[61:62]
	v_fma_f64 v[59:60], v[75:76], v[77:78], v[59:60]
	s_waitcnt vmcnt(8)
	v_cvt_f64_f32_e32 v[63:64], v12
	v_cvt_f64_f32_e32 v[12:13], v13
	v_cvt_f64_f32_e32 v[69:70], v14
	v_cvt_f64_f32_e32 v[14:15], v15
	v_fma_f64 v[30:31], v[65:66], v[79:80], v[30:31]
	v_fma_f64 v[22:23], v[22:23], v[79:80], v[57:58]
	v_fma_f64 v[57:58], v[67:68], v[79:80], v[61:62]
	v_fma_f64 v[24:25], v[24:25], v[79:80], v[59:60]
	s_waitcnt vmcnt(7)
	v_cvt_f64_f32_e32 v[59:60], v16
	v_cvt_f64_f32_e32 v[16:17], v17
	v_cvt_f64_f32_e32 v[61:62], v18
	v_cvt_f64_f32_e32 v[18:19], v19
	;; [unrolled: 19-line block ×4, first 2 shown]
	s_waitcnt vmcnt(0)
	v_fma_f64 v[18:19], v[26:27], v[53:54], v[18:19]
	v_fma_f64 v[12:13], v[30:31], v[53:54], v[12:13]
	;; [unrolled: 1-line block ×4, first 2 shown]
	s_delay_alu instid0(VALU_DEP_4) | instskip(NEXT) | instid1(VALU_DEP_4)
	v_fma_f64 v[14:15], v[22:23], v[55:56], v[18:19]
	v_fma_f64 v[18:19], v[24:25], v[55:56], v[12:13]
	s_delay_alu instid0(VALU_DEP_4) | instskip(NEXT) | instid1(VALU_DEP_4)
	v_fma_f64 v[16:17], v[28:29], v[55:56], v[16:17]
	v_fma_f64 v[12:13], v[37:38], v[55:56], v[26:27]
	s_and_not1_b32 exec_lo, exec_lo, s7
	s_cbranch_execnz .LBB160_35
; %bb.36:
	s_or_b32 exec_lo, exec_lo, s7
.LBB160_37:
	s_delay_alu instid0(SALU_CYCLE_1)
	s_or_b32 exec_lo, exec_lo, s6
.LBB160_38:
	s_delay_alu instid0(SALU_CYCLE_1)
	s_or_b32 exec_lo, exec_lo, s3
.LBB160_39:
	v_mbcnt_lo_u32_b32 v24, -1, 0
	s_delay_alu instid0(VALU_DEP_1) | instskip(NEXT) | instid1(VALU_DEP_1)
	v_xor_b32_e32 v0, 2, v24
	v_cmp_gt_i32_e32 vcc_lo, 32, v0
	v_cndmask_b32_e32 v0, v24, v0, vcc_lo
	s_delay_alu instid0(VALU_DEP_1)
	v_lshlrev_b32_e32 v6, 2, v0
	ds_bpermute_b32 v0, v6, v14
	ds_bpermute_b32 v1, v6, v15
	ds_bpermute_b32 v4, v6, v18
	ds_bpermute_b32 v5, v6, v19
	ds_bpermute_b32 v20, v6, v16
	ds_bpermute_b32 v21, v6, v17
	ds_bpermute_b32 v22, v6, v12
	ds_bpermute_b32 v23, v6, v13
	s_waitcnt lgkmcnt(0)
	v_add_f64 v[14:15], v[14:15], v[0:1]
	v_add_f64 v[6:7], v[18:19], v[4:5]
	;; [unrolled: 1-line block ×4, first 2 shown]
	v_xor_b32_e32 v12, 1, v24
	s_delay_alu instid0(VALU_DEP_1) | instskip(SKIP_2) | instid1(VALU_DEP_2)
	v_cmp_gt_i32_e32 vcc_lo, 32, v12
	v_cndmask_b32_e32 v12, v24, v12, vcc_lo
	v_cmp_eq_u32_e32 vcc_lo, 3, v32
	v_lshlrev_b32_e32 v13, 2, v12
	ds_bpermute_b32 v20, v13, v14
	ds_bpermute_b32 v21, v13, v15
	;; [unrolled: 1-line block ×8, first 2 shown]
	s_and_b32 exec_lo, exec_lo, vcc_lo
	s_cbranch_execz .LBB160_10
; %bb.40:
	s_waitcnt lgkmcnt(6)
	v_add_f64 v[14:15], v[14:15], v[20:21]
	s_waitcnt lgkmcnt(4)
	v_add_f64 v[6:7], v[6:7], v[18:19]
	;; [unrolled: 2-line block ×4, first 2 shown]
	s_load_b64 s[0:1], s[0:1], 0x58
	v_lshlrev_b64 v[10:11], 5, v[10:11]
	s_mov_b32 s2, exec_lo
	v_mul_f64 v[4:5], v[2:3], v[14:15]
	v_mul_f64 v[6:7], v[2:3], v[6:7]
	;; [unrolled: 1-line block ×4, first 2 shown]
	v_cmpx_eq_f64_e32 0, v[8:9]
	s_xor_b32 s2, exec_lo, s2
	s_cbranch_execz .LBB160_42
; %bb.41:
	s_waitcnt lgkmcnt(0)
	v_add_co_u32 v8, vcc_lo, s0, v10
	v_add_co_ci_u32_e32 v9, vcc_lo, s1, v11, vcc_lo
                                        ; implicit-def: $vgpr10_vgpr11
	s_clause 0x1
	global_store_b128 v[8:9], v[4:7], off
	global_store_b128 v[8:9], v[0:3], off offset:16
                                        ; implicit-def: $vgpr8_vgpr9
                                        ; implicit-def: $vgpr4_vgpr5
                                        ; implicit-def: $vgpr0_vgpr1
.LBB160_42:
	s_and_not1_saveexec_b32 s2, s2
	s_cbranch_execz .LBB160_10
; %bb.43:
	s_waitcnt lgkmcnt(0)
	v_add_co_u32 v18, vcc_lo, s0, v10
	v_add_co_ci_u32_e32 v19, vcc_lo, s1, v11, vcc_lo
	s_clause 0x1
	global_load_b128 v[10:13], v[18:19], off
	global_load_b128 v[14:17], v[18:19], off offset:16
	s_waitcnt vmcnt(1)
	v_fma_f64 v[4:5], v[8:9], v[10:11], v[4:5]
	v_fma_f64 v[6:7], v[8:9], v[12:13], v[6:7]
	s_waitcnt vmcnt(0)
	v_fma_f64 v[0:1], v[8:9], v[14:15], v[0:1]
	v_fma_f64 v[2:3], v[8:9], v[16:17], v[2:3]
	s_clause 0x1
	global_store_b128 v[18:19], v[4:7], off
	global_store_b128 v[18:19], v[0:3], off offset:16
	s_nop 0
	s_sendmsg sendmsg(MSG_DEALLOC_VGPRS)
	s_endpgm
	.section	.rodata,"a",@progbits
	.p2align	6, 0x0
	.amdhsa_kernel _ZN9rocsparseL18bsrxmvn_4x4_kernelILj128ELj4EdllfddEEvT3_20rocsparse_direction_NS_24const_host_device_scalarIT1_EES1_PKS1_PKT2_SA_S7_PKT4_PKT5_S5_PT6_21rocsparse_index_base_b
		.amdhsa_group_segment_fixed_size 0
		.amdhsa_private_segment_fixed_size 0
		.amdhsa_kernarg_size 104
		.amdhsa_user_sgpr_count 15
		.amdhsa_user_sgpr_dispatch_ptr 0
		.amdhsa_user_sgpr_queue_ptr 0
		.amdhsa_user_sgpr_kernarg_segment_ptr 1
		.amdhsa_user_sgpr_dispatch_id 0
		.amdhsa_user_sgpr_private_segment_size 0
		.amdhsa_wavefront_size32 1
		.amdhsa_uses_dynamic_stack 0
		.amdhsa_enable_private_segment 0
		.amdhsa_system_sgpr_workgroup_id_x 1
		.amdhsa_system_sgpr_workgroup_id_y 0
		.amdhsa_system_sgpr_workgroup_id_z 0
		.amdhsa_system_sgpr_workgroup_info 0
		.amdhsa_system_vgpr_workitem_id 0
		.amdhsa_next_free_vgpr 113
		.amdhsa_next_free_sgpr 16
		.amdhsa_reserve_vcc 1
		.amdhsa_float_round_mode_32 0
		.amdhsa_float_round_mode_16_64 0
		.amdhsa_float_denorm_mode_32 3
		.amdhsa_float_denorm_mode_16_64 3
		.amdhsa_dx10_clamp 1
		.amdhsa_ieee_mode 1
		.amdhsa_fp16_overflow 0
		.amdhsa_workgroup_processor_mode 1
		.amdhsa_memory_ordered 1
		.amdhsa_forward_progress 0
		.amdhsa_shared_vgpr_count 0
		.amdhsa_exception_fp_ieee_invalid_op 0
		.amdhsa_exception_fp_denorm_src 0
		.amdhsa_exception_fp_ieee_div_zero 0
		.amdhsa_exception_fp_ieee_overflow 0
		.amdhsa_exception_fp_ieee_underflow 0
		.amdhsa_exception_fp_ieee_inexact 0
		.amdhsa_exception_int_div_zero 0
	.end_amdhsa_kernel
	.section	.text._ZN9rocsparseL18bsrxmvn_4x4_kernelILj128ELj4EdllfddEEvT3_20rocsparse_direction_NS_24const_host_device_scalarIT1_EES1_PKS1_PKT2_SA_S7_PKT4_PKT5_S5_PT6_21rocsparse_index_base_b,"axG",@progbits,_ZN9rocsparseL18bsrxmvn_4x4_kernelILj128ELj4EdllfddEEvT3_20rocsparse_direction_NS_24const_host_device_scalarIT1_EES1_PKS1_PKT2_SA_S7_PKT4_PKT5_S5_PT6_21rocsparse_index_base_b,comdat
.Lfunc_end160:
	.size	_ZN9rocsparseL18bsrxmvn_4x4_kernelILj128ELj4EdllfddEEvT3_20rocsparse_direction_NS_24const_host_device_scalarIT1_EES1_PKS1_PKT2_SA_S7_PKT4_PKT5_S5_PT6_21rocsparse_index_base_b, .Lfunc_end160-_ZN9rocsparseL18bsrxmvn_4x4_kernelILj128ELj4EdllfddEEvT3_20rocsparse_direction_NS_24const_host_device_scalarIT1_EES1_PKS1_PKT2_SA_S7_PKT4_PKT5_S5_PT6_21rocsparse_index_base_b
                                        ; -- End function
	.section	.AMDGPU.csdata,"",@progbits
; Kernel info:
; codeLenInByte = 5340
; NumSgprs: 18
; NumVgprs: 113
; ScratchSize: 0
; MemoryBound: 0
; FloatMode: 240
; IeeeMode: 1
; LDSByteSize: 0 bytes/workgroup (compile time only)
; SGPRBlocks: 2
; VGPRBlocks: 14
; NumSGPRsForWavesPerEU: 18
; NumVGPRsForWavesPerEU: 113
; Occupancy: 12
; WaveLimiterHint : 1
; COMPUTE_PGM_RSRC2:SCRATCH_EN: 0
; COMPUTE_PGM_RSRC2:USER_SGPR: 15
; COMPUTE_PGM_RSRC2:TRAP_HANDLER: 0
; COMPUTE_PGM_RSRC2:TGID_X_EN: 1
; COMPUTE_PGM_RSRC2:TGID_Y_EN: 0
; COMPUTE_PGM_RSRC2:TGID_Z_EN: 0
; COMPUTE_PGM_RSRC2:TIDIG_COMP_CNT: 0
	.section	.text._ZN9rocsparseL18bsrxmvn_4x4_kernelILj128ELj8EdllfddEEvT3_20rocsparse_direction_NS_24const_host_device_scalarIT1_EES1_PKS1_PKT2_SA_S7_PKT4_PKT5_S5_PT6_21rocsparse_index_base_b,"axG",@progbits,_ZN9rocsparseL18bsrxmvn_4x4_kernelILj128ELj8EdllfddEEvT3_20rocsparse_direction_NS_24const_host_device_scalarIT1_EES1_PKS1_PKT2_SA_S7_PKT4_PKT5_S5_PT6_21rocsparse_index_base_b,comdat
	.globl	_ZN9rocsparseL18bsrxmvn_4x4_kernelILj128ELj8EdllfddEEvT3_20rocsparse_direction_NS_24const_host_device_scalarIT1_EES1_PKS1_PKT2_SA_S7_PKT4_PKT5_S5_PT6_21rocsparse_index_base_b ; -- Begin function _ZN9rocsparseL18bsrxmvn_4x4_kernelILj128ELj8EdllfddEEvT3_20rocsparse_direction_NS_24const_host_device_scalarIT1_EES1_PKS1_PKT2_SA_S7_PKT4_PKT5_S5_PT6_21rocsparse_index_base_b
	.p2align	8
	.type	_ZN9rocsparseL18bsrxmvn_4x4_kernelILj128ELj8EdllfddEEvT3_20rocsparse_direction_NS_24const_host_device_scalarIT1_EES1_PKS1_PKT2_SA_S7_PKT4_PKT5_S5_PT6_21rocsparse_index_base_b,@function
_ZN9rocsparseL18bsrxmvn_4x4_kernelILj128ELj8EdllfddEEvT3_20rocsparse_direction_NS_24const_host_device_scalarIT1_EES1_PKS1_PKT2_SA_S7_PKT4_PKT5_S5_PT6_21rocsparse_index_base_b: ; @_ZN9rocsparseL18bsrxmvn_4x4_kernelILj128ELj8EdllfddEEvT3_20rocsparse_direction_NS_24const_host_device_scalarIT1_EES1_PKS1_PKT2_SA_S7_PKT4_PKT5_S5_PT6_21rocsparse_index_base_b
; %bb.0:
	s_clause 0x2
	s_load_b64 s[12:13], s[0:1], 0x60
	s_load_b128 s[4:7], s[0:1], 0x10
	s_load_b64 s[2:3], s[0:1], 0x50
	s_waitcnt lgkmcnt(0)
	s_bitcmp1_b32 s13, 0
	v_dual_mov_b32 v2, s4 :: v_dual_mov_b32 v3, s5
	s_cselect_b32 s8, -1, 0
	s_delay_alu instid0(SALU_CYCLE_1)
	s_and_b32 vcc_lo, exec_lo, s8
	s_xor_b32 s8, s8, -1
	s_cbranch_vccnz .LBB161_2
; %bb.1:
	v_dual_mov_b32 v1, s4 :: v_dual_mov_b32 v2, s5
	flat_load_b64 v[2:3], v[1:2]
.LBB161_2:
	v_dual_mov_b32 v9, s3 :: v_dual_mov_b32 v8, s2
	s_and_not1_b32 vcc_lo, exec_lo, s8
	s_cbranch_vccnz .LBB161_4
; %bb.3:
	v_dual_mov_b32 v5, s3 :: v_dual_mov_b32 v4, s2
	flat_load_b64 v[8:9], v[4:5]
.LBB161_4:
	s_waitcnt vmcnt(0) lgkmcnt(0)
	v_cmp_neq_f64_e32 vcc_lo, 0, v[2:3]
	v_cmp_neq_f64_e64 s2, 1.0, v[8:9]
	s_delay_alu instid0(VALU_DEP_1) | instskip(NEXT) | instid1(SALU_CYCLE_1)
	s_or_b32 s2, vcc_lo, s2
	s_and_saveexec_b32 s3, s2
	s_cbranch_execz .LBB161_10
; %bb.5:
	s_load_b64 s[2:3], s[0:1], 0x20
	v_lshrrev_b32_e32 v1, 3, v0
	v_mov_b32_e32 v5, 0
	s_mov_b32 s4, 0
	s_delay_alu instid0(VALU_DEP_2)
	v_lshl_or_b32 v4, s15, 4, v1
	s_waitcnt lgkmcnt(0)
	s_cmp_lg_u64 s[2:3], 0
	s_cbranch_scc0 .LBB161_11
; %bb.6:
	s_delay_alu instid0(VALU_DEP_1) | instskip(SKIP_2) | instid1(SALU_CYCLE_1)
	v_cmp_gt_i64_e32 vcc_lo, s[6:7], v[4:5]
	s_mov_b32 s5, 0
                                        ; implicit-def: $vgpr10_vgpr11
	s_and_saveexec_b32 s6, vcc_lo
	s_xor_b32 s6, exec_lo, s6
                                        ; implicit-def: $sgpr14_sgpr15
	s_cbranch_execz .LBB161_8
; %bb.7:
	v_lshlrev_b64 v[6:7], 3, v[4:5]
	s_mov_b32 s4, exec_lo
	s_mov_b32 s15, 0
	s_delay_alu instid0(VALU_DEP_1) | instskip(NEXT) | instid1(VALU_DEP_2)
	v_add_co_u32 v6, vcc_lo, s2, v6
	v_add_co_ci_u32_e32 v7, vcc_lo, s3, v7, vcc_lo
	global_load_b64 v[6:7], v[6:7], off
	s_waitcnt vmcnt(0)
	v_sub_co_u32 v10, vcc_lo, v6, s12
	v_subrev_co_ci_u32_e32 v11, vcc_lo, 0, v7, vcc_lo
.LBB161_8:
	s_or_b32 exec_lo, exec_lo, s6
	s_delay_alu instid0(SALU_CYCLE_1)
	s_and_b32 vcc_lo, exec_lo, s5
	s_cbranch_vccnz .LBB161_12
.LBB161_9:
	s_and_b32 exec_lo, exec_lo, s4
	s_cbranch_execnz .LBB161_15
.LBB161_10:
	s_nop 0
	s_sendmsg sendmsg(MSG_DEALLOC_VGPRS)
	s_endpgm
.LBB161_11:
                                        ; implicit-def: $vgpr10_vgpr11
                                        ; implicit-def: $sgpr14_sgpr15
	s_cbranch_execz .LBB161_9
.LBB161_12:
	s_load_b64 s[2:3], s[0:1], 0x0
                                        ; implicit-def: $vgpr10_vgpr11
	s_waitcnt lgkmcnt(0)
	v_cmp_gt_i64_e32 vcc_lo, s[2:3], v[4:5]
	s_and_saveexec_b32 s2, vcc_lo
                                        ; implicit-def: $sgpr14_sgpr15
; %bb.13:
	v_dual_mov_b32 v11, v5 :: v_dual_mov_b32 v10, v4
	s_mov_b32 s15, 0
	s_or_b32 s4, s4, exec_lo
; %bb.14:
	s_or_b32 exec_lo, exec_lo, s2
	s_delay_alu instid0(SALU_CYCLE_1)
	s_and_b32 exec_lo, exec_lo, s4
	s_cbranch_execz .LBB161_10
.LBB161_15:
	s_load_b256 s[4:11], s[0:1], 0x28
	v_lshlrev_b64 v[4:5], 3, v[10:11]
	v_and_b32_e32 v32, 7, v0
	s_load_b32 s3, s[0:1], 0x8
	s_waitcnt lgkmcnt(0)
	s_delay_alu instid0(VALU_DEP_2) | instskip(NEXT) | instid1(VALU_DEP_3)
	v_add_co_u32 v6, vcc_lo, s4, v4
	v_add_co_ci_u32_e32 v7, vcc_lo, s5, v5, vcc_lo
	v_add_co_u32 v1, vcc_lo, s6, v4
	v_add_co_ci_u32_e32 v4, vcc_lo, s7, v5, vcc_lo
	s_delay_alu instid0(VALU_DEP_4)
	v_add_co_u32 v12, vcc_lo, v6, 8
	global_load_b64 v[20:21], v[6:7], off
	v_add_co_ci_u32_e32 v5, vcc_lo, 0, v7, vcc_lo
	s_cmp_eq_u64 s[6:7], 0
	s_load_b64 s[4:5], s[0:1], 0x48
	s_cselect_b32 vcc_lo, -1, 0
	s_cmp_eq_u32 s3, 1
	v_dual_cndmask_b32 v5, v4, v5 :: v_dual_cndmask_b32 v4, v1, v12
	global_load_b64 v[4:5], v[4:5], off
	s_waitcnt vmcnt(1)
	v_sub_co_u32 v0, vcc_lo, v20, s12
	v_subrev_co_ci_u32_e32 v1, vcc_lo, s15, v21, vcc_lo
	s_delay_alu instid0(VALU_DEP_2) | instskip(NEXT) | instid1(VALU_DEP_2)
	v_add_co_u32 v0, vcc_lo, v0, v32
	v_add_co_ci_u32_e32 v1, vcc_lo, 0, v1, vcc_lo
	s_delay_alu instid0(VALU_DEP_1) | instskip(SKIP_3) | instid1(VALU_DEP_3)
	v_lshlrev_b64 v[6:7], 6, v[0:1]
	s_waitcnt vmcnt(0)
	v_sub_co_u32 v4, vcc_lo, v4, s12
	v_subrev_co_ci_u32_e32 v5, vcc_lo, s15, v5, vcc_lo
	v_add_co_u32 v6, vcc_lo, s10, v6
	s_delay_alu instid0(VALU_DEP_2)
	v_cmp_lt_i64_e64 s2, v[0:1], v[4:5]
	v_add_co_ci_u32_e32 v7, vcc_lo, s11, v7, vcc_lo
	s_cbranch_scc1 .LBB161_27
; %bb.16:
	v_mov_b32_e32 v12, 0
	v_mov_b32_e32 v13, 0
	s_delay_alu instid0(VALU_DEP_1)
	v_dual_mov_b32 v17, v13 :: v_dual_mov_b32 v16, v12
	v_dual_mov_b32 v19, v13 :: v_dual_mov_b32 v18, v12
	;; [unrolled: 1-line block ×3, first 2 shown]
	s_and_saveexec_b32 s6, s2
	s_cbranch_execz .LBB161_26
; %bb.17:
	v_or_b32_e32 v12, 8, v32
	v_not_b32_e32 v15, v20
	v_not_b32_e32 v14, v21
	s_mov_b32 s10, 0
	s_mov_b32 s7, exec_lo
	v_sub_co_u32 v12, s3, v12, s12
	s_delay_alu instid0(VALU_DEP_1) | instskip(SKIP_1) | instid1(VALU_DEP_3)
	v_sub_co_ci_u32_e64 v13, null, 0, s15, s3
	v_sub_co_u32 v16, s3, s12, v32
	v_add_co_u32 v12, vcc_lo, v12, v20
	s_delay_alu instid0(VALU_DEP_3) | instskip(SKIP_2) | instid1(VALU_DEP_3)
	v_add_co_ci_u32_e32 v13, vcc_lo, v13, v21, vcc_lo
	v_sub_co_ci_u32_e64 v17, null, s15, 0, s3
	v_mov_b32_e32 v23, v1
	v_cmp_gt_i64_e32 vcc_lo, v[12:13], v[4:5]
	v_dual_mov_b32 v25, v7 :: v_dual_mov_b32 v24, v6
	v_dual_cndmask_b32 v13, v5, v13 :: v_dual_cndmask_b32 v12, v4, v12
	v_add_co_u32 v15, vcc_lo, v16, v15
	v_add_co_ci_u32_e32 v14, vcc_lo, v17, v14, vcc_lo
	s_delay_alu instid0(VALU_DEP_2) | instskip(NEXT) | instid1(VALU_DEP_2)
	v_add_co_u32 v26, vcc_lo, v15, v12
	v_add_co_ci_u32_e32 v27, vcc_lo, v14, v13, vcc_lo
	v_mov_b32_e32 v14, 0
	s_delay_alu instid0(VALU_DEP_3) | instskip(SKIP_1) | instid1(VALU_DEP_1)
	v_lshrrev_b32_e32 v12, 3, v26
	v_dual_mov_b32 v15, 0 :: v_dual_mov_b32 v22, v0
	v_dual_mov_b32 v17, v15 :: v_dual_add_nc_u32 v12, 1, v12
	s_delay_alu instid0(VALU_DEP_4) | instskip(SKIP_1) | instid1(VALU_DEP_3)
	v_dual_mov_b32 v19, v15 :: v_dual_mov_b32 v16, v14
	v_mov_b32_e32 v18, v14
	v_and_b32_e32 v28, 3, v12
	v_dual_mov_b32 v12, v14 :: v_dual_mov_b32 v13, v15
	s_delay_alu instid0(VALU_DEP_2)
	v_cmpx_ne_u32_e32 0, v28
	s_cbranch_execz .LBB161_21
; %bb.18:
	v_lshlrev_b64 v[14:15], 3, v[0:1]
	v_dual_mov_b32 v29, 0 :: v_dual_mov_b32 v12, 0
	v_dual_mov_b32 v13, 0 :: v_dual_lshlrev_b32 v28, 3, v28
	v_dual_mov_b32 v25, v7 :: v_dual_mov_b32 v24, v6
	s_delay_alu instid0(VALU_DEP_4)
	v_add_co_u32 v30, vcc_lo, s8, v14
	v_add_co_ci_u32_e32 v31, vcc_lo, s9, v15, vcc_lo
	v_dual_mov_b32 v23, v1 :: v_dual_mov_b32 v22, v0
	v_dual_mov_b32 v17, v13 :: v_dual_mov_b32 v16, v12
	;; [unrolled: 1-line block ×4, first 2 shown]
.LBB161_19:                             ; =>This Inner Loop Header: Depth=1
	global_load_b64 v[49:50], v[30:31], off
	s_clause 0x3
	global_load_b128 v[33:36], v[24:25], off
	global_load_b128 v[37:40], v[24:25], off offset:16
	global_load_b128 v[41:44], v[24:25], off offset:32
	global_load_b128 v[45:48], v[24:25], off offset:48
	v_add_co_u32 v30, s3, v30, 64
	s_delay_alu instid0(VALU_DEP_1)
	v_add_co_ci_u32_e64 v31, s3, 0, v31, s3
	s_waitcnt vmcnt(4)
	v_sub_co_u32 v49, vcc_lo, v49, s12
	v_subrev_co_ci_u32_e32 v50, vcc_lo, s15, v50, vcc_lo
	s_waitcnt vmcnt(3)
	v_cvt_f64_f32_e32 v[57:58], v33
	s_waitcnt vmcnt(2)
	v_cvt_f64_f32_e32 v[59:60], v37
	;; [unrolled: 2-line block ×3, first 2 shown]
	v_lshlrev_b64 v[49:50], 5, v[49:50]
	s_waitcnt vmcnt(0)
	v_cvt_f64_f32_e32 v[63:64], v45
	v_cvt_f64_f32_e32 v[33:34], v34
	;; [unrolled: 1-line block ×5, first 2 shown]
	s_waitcnt lgkmcnt(0)
	v_add_co_u32 v53, vcc_lo, s4, v49
	v_add_co_ci_u32_e32 v54, vcc_lo, s5, v50, vcc_lo
	v_add_co_u32 v24, vcc_lo, 0x200, v24
	v_add_co_ci_u32_e32 v25, vcc_lo, 0, v25, vcc_lo
	s_clause 0x1
	global_load_b128 v[49:52], v[53:54], off
	global_load_b128 v[53:56], v[53:54], off offset:16
	v_add_co_u32 v28, vcc_lo, v28, -8
	v_add_co_ci_u32_e32 v29, vcc_lo, -1, v29, vcc_lo
	v_add_co_u32 v22, vcc_lo, v22, 8
	v_add_co_ci_u32_e32 v23, vcc_lo, 0, v23, vcc_lo
	s_delay_alu instid0(VALU_DEP_3)
	v_cmp_eq_u64_e32 vcc_lo, 0, v[28:29]
	s_or_b32 s10, vcc_lo, s10
	s_waitcnt vmcnt(1)
	v_fma_f64 v[14:15], v[57:58], v[49:50], v[14:15]
	v_fma_f64 v[18:19], v[59:60], v[49:50], v[18:19]
	v_fma_f64 v[16:17], v[61:62], v[49:50], v[16:17]
	v_fma_f64 v[12:13], v[63:64], v[49:50], v[12:13]
	v_cvt_f64_f32_e32 v[49:50], v35
	v_cvt_f64_f32_e32 v[57:58], v39
	;; [unrolled: 1-line block ×4, first 2 shown]
	v_fma_f64 v[14:15], v[33:34], v[51:52], v[14:15]
	v_fma_f64 v[18:19], v[37:38], v[51:52], v[18:19]
	v_fma_f64 v[16:17], v[41:42], v[51:52], v[16:17]
	v_fma_f64 v[12:13], v[45:46], v[51:52], v[12:13]
	v_cvt_f64_f32_e32 v[33:34], v36
	v_cvt_f64_f32_e32 v[35:36], v40
	;; [unrolled: 1-line block ×4, first 2 shown]
	s_waitcnt vmcnt(0)
	v_fma_f64 v[14:15], v[49:50], v[53:54], v[14:15]
	v_fma_f64 v[18:19], v[57:58], v[53:54], v[18:19]
	;; [unrolled: 1-line block ×4, first 2 shown]
	s_delay_alu instid0(VALU_DEP_4) | instskip(NEXT) | instid1(VALU_DEP_4)
	v_fma_f64 v[14:15], v[33:34], v[55:56], v[14:15]
	v_fma_f64 v[18:19], v[35:36], v[55:56], v[18:19]
	s_delay_alu instid0(VALU_DEP_4) | instskip(NEXT) | instid1(VALU_DEP_4)
	v_fma_f64 v[16:17], v[37:38], v[55:56], v[16:17]
	v_fma_f64 v[12:13], v[39:40], v[55:56], v[12:13]
	s_and_not1_b32 exec_lo, exec_lo, s10
	s_cbranch_execnz .LBB161_19
; %bb.20:
	s_or_b32 exec_lo, exec_lo, s10
.LBB161_21:
	s_delay_alu instid0(SALU_CYCLE_1) | instskip(NEXT) | instid1(SALU_CYCLE_1)
	s_or_b32 exec_lo, exec_lo, s7
	s_mov_b32 s7, exec_lo
	v_cmpx_lt_u64_e32 23, v[26:27]
	s_cbranch_execz .LBB161_25
; %bb.22:
	v_lshlrev_b64 v[26:27], 3, v[22:23]
	s_mov_b32 s10, 0
	s_delay_alu instid0(VALU_DEP_1) | instskip(NEXT) | instid1(VALU_DEP_2)
	v_add_co_u32 v26, vcc_lo, v26, s8
	v_add_co_ci_u32_e32 v27, vcc_lo, s9, v27, vcc_lo
	s_delay_alu instid0(VALU_DEP_2) | instskip(NEXT) | instid1(VALU_DEP_2)
	v_add_co_u32 v26, vcc_lo, 0x80, v26
	v_add_co_ci_u32_e32 v27, vcc_lo, 0, v27, vcc_lo
.LBB161_23:                             ; =>This Inner Loop Header: Depth=1
	s_clause 0x1
	global_load_b64 v[45:46], v[26:27], off offset:-128
	global_load_b64 v[69:70], v[26:27], off offset:-64
	s_clause 0x3
	global_load_b128 v[28:31], v[24:25], off
	global_load_b128 v[33:36], v[24:25], off offset:16
	global_load_b128 v[37:40], v[24:25], off offset:32
	;; [unrolled: 1-line block ×3, first 2 shown]
	s_clause 0x1
	global_load_b64 v[93:94], v[26:27], off
	global_load_b64 v[97:98], v[26:27], off offset:64
	v_add_co_u32 v26, s3, 0x100, v26
	s_delay_alu instid0(VALU_DEP_1)
	v_add_co_ci_u32_e64 v27, s3, 0, v27, s3
	s_waitcnt vmcnt(7)
	v_sub_co_u32 v45, vcc_lo, v45, s12
	v_subrev_co_ci_u32_e32 v46, vcc_lo, s15, v46, vcc_lo
	s_waitcnt vmcnt(5)
	v_cvt_f64_f32_e32 v[99:100], v28
	s_waitcnt vmcnt(4)
	v_cvt_f64_f32_e32 v[101:102], v33
	;; [unrolled: 2-line block ×3, first 2 shown]
	v_lshlrev_b64 v[45:46], 5, v[45:46]
	s_waitcnt vmcnt(2)
	v_cvt_f64_f32_e32 v[105:106], v41
	v_cvt_f64_f32_e32 v[28:29], v29
	;; [unrolled: 1-line block ×5, first 2 shown]
	s_waitcnt lgkmcnt(0)
	v_add_co_u32 v49, vcc_lo, s4, v45
	v_add_co_ci_u32_e32 v50, vcc_lo, s5, v46, vcc_lo
	v_sub_co_u32 v69, vcc_lo, v69, s12
	v_subrev_co_ci_u32_e32 v70, vcc_lo, s15, v70, vcc_lo
	s_clause 0x1
	global_load_b128 v[45:48], v[49:50], off
	global_load_b128 v[49:52], v[49:50], off offset:16
	s_clause 0x3
	global_load_b128 v[53:56], v[24:25], off offset:512
	global_load_b128 v[57:60], v[24:25], off offset:528
	;; [unrolled: 1-line block ×4, first 2 shown]
	v_lshlrev_b64 v[69:70], 5, v[69:70]
	s_delay_alu instid0(VALU_DEP_1) | instskip(NEXT) | instid1(VALU_DEP_2)
	v_add_co_u32 v73, vcc_lo, s4, v69
	v_add_co_ci_u32_e32 v74, vcc_lo, s5, v70, vcc_lo
	s_waitcnt vmcnt(7)
	v_sub_co_u32 v93, vcc_lo, v93, s12
	s_clause 0x1
	global_load_b128 v[69:72], v[73:74], off
	global_load_b128 v[73:76], v[73:74], off offset:16
	s_clause 0x3
	global_load_b128 v[77:80], v[24:25], off offset:1024
	global_load_b128 v[81:84], v[24:25], off offset:1040
	;; [unrolled: 1-line block ×4, first 2 shown]
	v_subrev_co_ci_u32_e32 v94, vcc_lo, s15, v94, vcc_lo
	s_delay_alu instid0(VALU_DEP_1) | instskip(NEXT) | instid1(VALU_DEP_1)
	v_lshlrev_b64 v[93:94], 5, v[93:94]
	v_add_co_u32 v107, vcc_lo, s4, v93
	s_delay_alu instid0(VALU_DEP_2)
	v_add_co_ci_u32_e32 v108, vcc_lo, s5, v94, vcc_lo
	s_waitcnt vmcnt(12)
	v_sub_co_u32 v97, vcc_lo, v97, s12
	v_subrev_co_ci_u32_e32 v98, vcc_lo, s15, v98, vcc_lo
	global_load_b128 v[93:96], v[107:108], off
	s_waitcnt vmcnt(12)
	v_fma_f64 v[14:15], v[99:100], v[45:46], v[14:15]
	v_fma_f64 v[18:19], v[101:102], v[45:46], v[18:19]
	;; [unrolled: 1-line block ×4, first 2 shown]
	v_cvt_f64_f32_e32 v[45:46], v30
	v_cvt_f64_f32_e32 v[99:100], v35
	;; [unrolled: 1-line block ×6, first 2 shown]
	s_waitcnt vmcnt(8)
	v_cvt_f64_f32_e32 v[109:110], v61
	s_waitcnt vmcnt(7)
	v_cvt_f64_f32_e32 v[111:112], v65
	v_cvt_f64_f32_e32 v[61:62], v62
	;; [unrolled: 1-line block ×3, first 2 shown]
	v_fma_f64 v[28:29], v[28:29], v[47:48], v[14:15]
	v_fma_f64 v[18:19], v[33:34], v[47:48], v[18:19]
	;; [unrolled: 1-line block ×4, first 2 shown]
	global_load_b128 v[12:15], v[107:108], off offset:16
	v_cvt_f64_f32_e32 v[41:42], v31
	v_cvt_f64_f32_e32 v[47:48], v36
	;; [unrolled: 1-line block ×4, first 2 shown]
	v_fma_f64 v[45:46], v[45:46], v[49:50], v[28:29]
	v_fma_f64 v[99:100], v[99:100], v[49:50], v[18:19]
	v_fma_f64 v[101:102], v[101:102], v[49:50], v[16:17]
	v_fma_f64 v[49:50], v[103:104], v[49:50], v[33:34]
	s_clause 0x3
	global_load_b128 v[16:19], v[24:25], off offset:1536
	global_load_b128 v[28:31], v[24:25], off offset:1552
	;; [unrolled: 1-line block ×4, first 2 shown]
	v_cvt_f64_f32_e32 v[103:104], v53
	v_cvt_f64_f32_e32 v[53:54], v54
	v_fma_f64 v[45:46], v[41:42], v[51:52], v[45:46]
	v_fma_f64 v[47:48], v[47:48], v[51:52], v[99:100]
	;; [unrolled: 1-line block ×4, first 2 shown]
	v_lshlrev_b64 v[41:42], 5, v[97:98]
	v_cvt_f64_f32_e32 v[101:102], v63
	s_delay_alu instid0(VALU_DEP_2) | instskip(NEXT) | instid1(VALU_DEP_3)
	v_add_co_u32 v51, vcc_lo, s4, v41
	v_add_co_ci_u32_e32 v52, vcc_lo, s5, v42, vcc_lo
	v_add_co_u32 v22, vcc_lo, v22, 32
	v_add_co_ci_u32_e32 v23, vcc_lo, 0, v23, vcc_lo
	global_load_b128 v[41:44], v[51:52], off
	v_add_co_u32 v24, vcc_lo, 0x800, v24
	v_add_co_ci_u32_e32 v25, vcc_lo, 0, v25, vcc_lo
	v_cmp_ge_i64_e32 vcc_lo, v[22:23], v[4:5]
	s_or_b32 s10, vcc_lo, s10
	s_waitcnt vmcnt(12)
	v_fma_f64 v[45:46], v[103:104], v[69:70], v[45:46]
	v_fma_f64 v[47:48], v[107:108], v[69:70], v[47:48]
	;; [unrolled: 1-line block ×4, first 2 shown]
	v_cvt_f64_f32_e32 v[69:70], v55
	v_cvt_f64_f32_e32 v[99:100], v59
	;; [unrolled: 1-line block ×3, first 2 shown]
	v_fma_f64 v[53:54], v[53:54], v[71:72], v[45:46]
	v_fma_f64 v[57:58], v[57:58], v[71:72], v[47:48]
	global_load_b128 v[45:48], v[51:52], off offset:16
	v_fma_f64 v[61:62], v[61:62], v[71:72], v[97:98]
	v_fma_f64 v[49:50], v[65:66], v[71:72], v[49:50]
	v_cvt_f64_f32_e32 v[51:52], v56
	v_cvt_f64_f32_e32 v[55:56], v60
	;; [unrolled: 1-line block ×4, first 2 shown]
	s_waitcnt vmcnt(11)
	v_cvt_f64_f32_e32 v[65:66], v77
	s_waitcnt vmcnt(10)
	v_cvt_f64_f32_e32 v[67:68], v81
	;; [unrolled: 2-line block ×3, first 2 shown]
	v_fma_f64 v[53:54], v[69:70], v[73:74], v[53:54]
	v_fma_f64 v[57:58], v[99:100], v[73:74], v[57:58]
	v_cvt_f64_f32_e32 v[69:70], v85
	v_fma_f64 v[61:62], v[101:102], v[73:74], v[61:62]
	v_fma_f64 v[49:50], v[103:104], v[73:74], v[49:50]
	v_fma_f64 v[51:52], v[51:52], v[75:76], v[53:54]
	v_fma_f64 v[53:54], v[55:56], v[75:76], v[57:58]
	v_cvt_f64_f32_e32 v[57:58], v78
	v_fma_f64 v[55:56], v[59:60], v[75:76], v[61:62]
	v_fma_f64 v[49:50], v[63:64], v[75:76], v[49:50]
	v_cvt_f64_f32_e32 v[59:60], v82
	v_cvt_f64_f32_e32 v[61:62], v86
	v_cvt_f64_f32_e32 v[63:64], v90
	s_waitcnt vmcnt(7)
	v_fma_f64 v[51:52], v[65:66], v[93:94], v[51:52]
	v_fma_f64 v[53:54], v[67:68], v[93:94], v[53:54]
	v_cvt_f64_f32_e32 v[65:66], v79
	v_fma_f64 v[55:56], v[69:70], v[93:94], v[55:56]
	v_fma_f64 v[49:50], v[71:72], v[93:94], v[49:50]
	v_cvt_f64_f32_e32 v[67:68], v83
	v_cvt_f64_f32_e32 v[69:70], v87
	;; [unrolled: 1-line block ×3, first 2 shown]
	v_fma_f64 v[51:52], v[57:58], v[95:96], v[51:52]
	v_fma_f64 v[53:54], v[59:60], v[95:96], v[53:54]
	v_cvt_f64_f32_e32 v[57:58], v80
	v_fma_f64 v[55:56], v[61:62], v[95:96], v[55:56]
	v_fma_f64 v[49:50], v[63:64], v[95:96], v[49:50]
	v_cvt_f64_f32_e32 v[59:60], v84
	v_cvt_f64_f32_e32 v[61:62], v88
	;; [unrolled: 1-line block ×3, first 2 shown]
	s_waitcnt vmcnt(6)
	v_fma_f64 v[51:52], v[65:66], v[12:13], v[51:52]
	v_fma_f64 v[53:54], v[67:68], v[12:13], v[53:54]
	;; [unrolled: 1-line block ×4, first 2 shown]
	s_waitcnt vmcnt(5)
	v_cvt_f64_f32_e32 v[49:50], v16
	s_waitcnt vmcnt(4)
	v_cvt_f64_f32_e32 v[65:66], v28
	;; [unrolled: 2-line block ×4, first 2 shown]
	v_fma_f64 v[51:52], v[57:58], v[14:15], v[51:52]
	v_fma_f64 v[53:54], v[59:60], v[14:15], v[53:54]
	v_cvt_f64_f32_e32 v[57:58], v39
	v_fma_f64 v[55:56], v[61:62], v[14:15], v[55:56]
	v_fma_f64 v[12:13], v[63:64], v[14:15], v[12:13]
	v_cvt_f64_f32_e32 v[14:15], v17
	v_cvt_f64_f32_e32 v[16:17], v29
	;; [unrolled: 1-line block ×4, first 2 shown]
	s_waitcnt vmcnt(1)
	v_fma_f64 v[37:38], v[49:50], v[41:42], v[51:52]
	v_fma_f64 v[49:50], v[65:66], v[41:42], v[53:54]
	v_cvt_f64_f32_e32 v[53:54], v30
	v_fma_f64 v[51:52], v[67:68], v[41:42], v[55:56]
	v_fma_f64 v[12:13], v[69:70], v[41:42], v[12:13]
	v_cvt_f64_f32_e32 v[41:42], v18
	v_cvt_f64_f32_e32 v[55:56], v35
	v_cvt_f64_f32_e32 v[18:19], v19
	v_cvt_f64_f32_e32 v[30:31], v31
	v_fma_f64 v[14:15], v[14:15], v[43:44], v[37:38]
	v_fma_f64 v[16:17], v[16:17], v[43:44], v[49:50]
	;; [unrolled: 1-line block ×4, first 2 shown]
	v_cvt_f64_f32_e32 v[33:34], v36
	v_cvt_f64_f32_e32 v[35:36], v40
	s_waitcnt vmcnt(0)
	v_fma_f64 v[14:15], v[41:42], v[45:46], v[14:15]
	v_fma_f64 v[16:17], v[53:54], v[45:46], v[16:17]
	;; [unrolled: 1-line block ×4, first 2 shown]
	s_delay_alu instid0(VALU_DEP_4) | instskip(NEXT) | instid1(VALU_DEP_4)
	v_fma_f64 v[14:15], v[18:19], v[47:48], v[14:15]
	v_fma_f64 v[18:19], v[30:31], v[47:48], v[16:17]
	s_delay_alu instid0(VALU_DEP_4) | instskip(NEXT) | instid1(VALU_DEP_4)
	v_fma_f64 v[16:17], v[33:34], v[47:48], v[28:29]
	v_fma_f64 v[12:13], v[35:36], v[47:48], v[12:13]
	s_and_not1_b32 exec_lo, exec_lo, s10
	s_cbranch_execnz .LBB161_23
; %bb.24:
	s_or_b32 exec_lo, exec_lo, s10
.LBB161_25:
	s_delay_alu instid0(SALU_CYCLE_1)
	s_or_b32 exec_lo, exec_lo, s7
.LBB161_26:
	s_delay_alu instid0(SALU_CYCLE_1)
	s_or_b32 exec_lo, exec_lo, s6
	s_cbranch_execz .LBB161_28
	s_branch .LBB161_39
.LBB161_27:
                                        ; implicit-def: $vgpr12_vgpr13
                                        ; implicit-def: $vgpr16_vgpr17
                                        ; implicit-def: $vgpr18_vgpr19
                                        ; implicit-def: $vgpr14_vgpr15
.LBB161_28:
	v_mov_b32_e32 v12, 0
	v_mov_b32_e32 v13, 0
	s_delay_alu instid0(VALU_DEP_1)
	v_dual_mov_b32 v17, v13 :: v_dual_mov_b32 v16, v12
	v_dual_mov_b32 v19, v13 :: v_dual_mov_b32 v18, v12
	;; [unrolled: 1-line block ×3, first 2 shown]
	s_and_saveexec_b32 s3, s2
	s_cbranch_execz .LBB161_38
; %bb.29:
	v_or_b32_e32 v12, 8, v32
	v_not_b32_e32 v15, v20
	v_not_b32_e32 v14, v21
	s_mov_b32 s7, 0
	s_mov_b32 s6, exec_lo
	v_sub_co_u32 v12, s2, v12, s12
	s_delay_alu instid0(VALU_DEP_1) | instskip(SKIP_1) | instid1(VALU_DEP_3)
	v_sub_co_ci_u32_e64 v13, null, 0, s15, s2
	v_sub_co_u32 v16, s2, s12, v32
	v_add_co_u32 v12, vcc_lo, v12, v20
	s_delay_alu instid0(VALU_DEP_3) | instskip(SKIP_1) | instid1(VALU_DEP_2)
	v_add_co_ci_u32_e32 v13, vcc_lo, v13, v21, vcc_lo
	v_sub_co_ci_u32_e64 v17, null, s15, 0, s2
	v_cmp_gt_i64_e32 vcc_lo, v[12:13], v[4:5]
	v_dual_cndmask_b32 v13, v5, v13 :: v_dual_cndmask_b32 v12, v4, v12
	v_add_co_u32 v15, vcc_lo, v16, v15
	s_delay_alu instid0(VALU_DEP_4) | instskip(NEXT) | instid1(VALU_DEP_2)
	v_add_co_ci_u32_e32 v14, vcc_lo, v17, v14, vcc_lo
	v_add_co_u32 v20, vcc_lo, v15, v12
	s_delay_alu instid0(VALU_DEP_2) | instskip(SKIP_1) | instid1(VALU_DEP_3)
	v_add_co_ci_u32_e32 v21, vcc_lo, v14, v13, vcc_lo
	v_mov_b32_e32 v14, 0
	v_lshrrev_b32_e32 v12, 3, v20
	s_delay_alu instid0(VALU_DEP_1) | instskip(NEXT) | instid1(VALU_DEP_1)
	v_dual_mov_b32 v15, 0 :: v_dual_add_nc_u32 v12, 1, v12
	v_dual_mov_b32 v19, v15 :: v_dual_mov_b32 v18, v14
	v_dual_mov_b32 v17, v15 :: v_dual_mov_b32 v16, v14
	s_delay_alu instid0(VALU_DEP_3) | instskip(SKIP_1) | instid1(VALU_DEP_2)
	v_and_b32_e32 v22, 3, v12
	v_dual_mov_b32 v12, v14 :: v_dual_mov_b32 v13, v15
	v_cmpx_ne_u32_e32 0, v22
	s_cbranch_execz .LBB161_33
; %bb.30:
	v_lshlrev_b64 v[14:15], 3, v[0:1]
	v_dual_mov_b32 v23, 0 :: v_dual_mov_b32 v12, 0
	v_dual_mov_b32 v13, 0 :: v_dual_lshlrev_b32 v22, 3, v22
	s_delay_alu instid0(VALU_DEP_3) | instskip(NEXT) | instid1(VALU_DEP_4)
	v_add_co_u32 v24, vcc_lo, s8, v14
	v_add_co_ci_u32_e32 v25, vcc_lo, s9, v15, vcc_lo
	s_delay_alu instid0(VALU_DEP_3)
	v_dual_mov_b32 v17, v13 :: v_dual_mov_b32 v16, v12
	v_dual_mov_b32 v19, v13 :: v_dual_mov_b32 v18, v12
	;; [unrolled: 1-line block ×3, first 2 shown]
.LBB161_31:                             ; =>This Inner Loop Header: Depth=1
	global_load_b64 v[30:31], v[24:25], off
	s_clause 0x1
	global_load_b128 v[26:29], v[6:7], off
	global_load_b128 v[33:36], v[6:7], off offset:16
	v_add_co_u32 v24, s2, v24, 64
	s_delay_alu instid0(VALU_DEP_1)
	v_add_co_ci_u32_e64 v25, s2, 0, v25, s2
	s_waitcnt vmcnt(2)
	v_sub_co_u32 v30, vcc_lo, v30, s12
	v_subrev_co_ci_u32_e32 v31, vcc_lo, s15, v31, vcc_lo
	s_waitcnt vmcnt(1)
	v_cvt_f64_f32_e32 v[53:54], v28
	v_cvt_f64_f32_e32 v[28:29], v29
	s_waitcnt vmcnt(0)
	v_cvt_f64_f32_e32 v[55:56], v33
	v_lshlrev_b64 v[30:31], 5, v[30:31]
	v_cvt_f64_f32_e32 v[33:34], v34
	v_cvt_f64_f32_e32 v[57:58], v35
	;; [unrolled: 1-line block ×3, first 2 shown]
	s_waitcnt lgkmcnt(0)
	s_delay_alu instid0(VALU_DEP_4)
	v_add_co_u32 v30, vcc_lo, s4, v30
	v_add_co_ci_u32_e32 v31, vcc_lo, s5, v31, vcc_lo
	s_clause 0x1
	global_load_b128 v[37:40], v[30:31], off
	global_load_b128 v[41:44], v[30:31], off offset:16
	s_clause 0x1
	global_load_b128 v[45:48], v[6:7], off offset:32
	global_load_b128 v[49:52], v[6:7], off offset:48
	v_cvt_f64_f32_e32 v[30:31], v26
	v_cvt_f64_f32_e32 v[26:27], v27
	v_add_co_u32 v6, vcc_lo, 0x200, v6
	v_add_co_ci_u32_e32 v7, vcc_lo, 0, v7, vcc_lo
	v_add_co_u32 v22, vcc_lo, v22, -8
	v_add_co_ci_u32_e32 v23, vcc_lo, -1, v23, vcc_lo
	v_add_co_u32 v0, vcc_lo, v0, 8
	v_add_co_ci_u32_e32 v1, vcc_lo, 0, v1, vcc_lo
	s_delay_alu instid0(VALU_DEP_3)
	v_cmp_eq_u64_e32 vcc_lo, 0, v[22:23]
	s_or_b32 s7, vcc_lo, s7
	s_waitcnt vmcnt(3)
	v_fma_f64 v[14:15], v[30:31], v[37:38], v[14:15]
	v_fma_f64 v[18:19], v[26:27], v[37:38], v[18:19]
	;; [unrolled: 1-line block ×4, first 2 shown]
	s_waitcnt vmcnt(1)
	v_cvt_f64_f32_e32 v[26:27], v45
	v_cvt_f64_f32_e32 v[28:29], v46
	;; [unrolled: 1-line block ×4, first 2 shown]
	s_waitcnt vmcnt(0)
	v_cvt_f64_f32_e32 v[45:46], v52
	v_fma_f64 v[14:15], v[55:56], v[39:40], v[14:15]
	v_fma_f64 v[18:19], v[33:34], v[39:40], v[18:19]
	;; [unrolled: 1-line block ×4, first 2 shown]
	v_cvt_f64_f32_e32 v[33:34], v49
	v_cvt_f64_f32_e32 v[35:36], v50
	;; [unrolled: 1-line block ×3, first 2 shown]
	v_fma_f64 v[14:15], v[26:27], v[41:42], v[14:15]
	v_fma_f64 v[18:19], v[28:29], v[41:42], v[18:19]
	v_fma_f64 v[16:17], v[30:31], v[41:42], v[16:17]
	v_fma_f64 v[12:13], v[37:38], v[41:42], v[12:13]
	s_delay_alu instid0(VALU_DEP_4) | instskip(NEXT) | instid1(VALU_DEP_4)
	v_fma_f64 v[14:15], v[33:34], v[43:44], v[14:15]
	v_fma_f64 v[18:19], v[35:36], v[43:44], v[18:19]
	s_delay_alu instid0(VALU_DEP_4) | instskip(NEXT) | instid1(VALU_DEP_4)
	v_fma_f64 v[16:17], v[39:40], v[43:44], v[16:17]
	v_fma_f64 v[12:13], v[45:46], v[43:44], v[12:13]
	s_and_not1_b32 exec_lo, exec_lo, s7
	s_cbranch_execnz .LBB161_31
; %bb.32:
	s_or_b32 exec_lo, exec_lo, s7
.LBB161_33:
	s_delay_alu instid0(SALU_CYCLE_1) | instskip(NEXT) | instid1(SALU_CYCLE_1)
	s_or_b32 exec_lo, exec_lo, s6
	s_mov_b32 s6, exec_lo
	v_cmpx_lt_u64_e32 23, v[20:21]
	s_cbranch_execz .LBB161_37
; %bb.34:
	v_lshlrev_b64 v[20:21], 3, v[0:1]
	s_mov_b32 s7, 0
	s_delay_alu instid0(VALU_DEP_1) | instskip(NEXT) | instid1(VALU_DEP_2)
	v_add_co_u32 v20, vcc_lo, v20, s8
	v_add_co_ci_u32_e32 v21, vcc_lo, s9, v21, vcc_lo
	s_delay_alu instid0(VALU_DEP_2) | instskip(NEXT) | instid1(VALU_DEP_2)
	v_add_co_u32 v20, vcc_lo, 0x80, v20
	v_add_co_ci_u32_e32 v21, vcc_lo, 0, v21, vcc_lo
.LBB161_35:                             ; =>This Inner Loop Header: Depth=1
	s_clause 0x1
	global_load_b64 v[30:31], v[20:21], off offset:-128
	global_load_b64 v[53:54], v[20:21], off offset:-64
	global_load_b128 v[22:25], v[6:7], off
	global_load_b64 v[77:78], v[20:21], off
	global_load_b128 v[26:29], v[6:7], off offset:16
	global_load_b64 v[81:82], v[20:21], off offset:64
	v_add_co_u32 v20, s2, 0x100, v20
	s_delay_alu instid0(VALU_DEP_1)
	v_add_co_ci_u32_e64 v21, s2, 0, v21, s2
	s_waitcnt vmcnt(5)
	v_sub_co_u32 v30, vcc_lo, v30, s12
	v_subrev_co_ci_u32_e32 v31, vcc_lo, s15, v31, vcc_lo
	s_waitcnt vmcnt(3)
	v_cvt_f64_f32_e32 v[83:84], v23
	v_cvt_f64_f32_e32 v[85:86], v24
	v_cvt_f64_f32_e32 v[87:88], v25
	v_lshlrev_b64 v[30:31], 5, v[30:31]
	s_waitcnt vmcnt(1)
	v_cvt_f64_f32_e32 v[91:92], v26
	v_cvt_f64_f32_e32 v[26:27], v27
	;; [unrolled: 1-line block ×4, first 2 shown]
	s_waitcnt lgkmcnt(0)
	v_add_co_u32 v30, vcc_lo, s4, v30
	v_add_co_ci_u32_e32 v31, vcc_lo, s5, v31, vcc_lo
	global_load_b128 v[33:36], v[30:31], off
	s_clause 0x1
	global_load_b128 v[37:40], v[6:7], off offset:32
	global_load_b128 v[41:44], v[6:7], off offset:48
	;; [unrolled: 1-line block ×4, first 2 shown]
	v_sub_co_u32 v30, vcc_lo, v53, s12
	v_subrev_co_ci_u32_e32 v31, vcc_lo, s15, v54, vcc_lo
	s_delay_alu instid0(VALU_DEP_1) | instskip(NEXT) | instid1(VALU_DEP_1)
	v_lshlrev_b64 v[30:31], 5, v[30:31]
	v_add_co_u32 v30, vcc_lo, s4, v30
	s_delay_alu instid0(VALU_DEP_2)
	v_add_co_ci_u32_e32 v31, vcc_lo, s5, v31, vcc_lo
	global_load_b128 v[53:56], v[6:7], off offset:528
	global_load_b128 v[57:60], v[30:31], off
	s_clause 0x1
	global_load_b128 v[61:64], v[6:7], off offset:544
	global_load_b128 v[65:68], v[6:7], off offset:560
	;; [unrolled: 1-line block ×4, first 2 shown]
	v_cvt_f64_f32_e32 v[30:31], v22
	v_sub_co_u32 v22, vcc_lo, v77, s12
	v_subrev_co_ci_u32_e32 v23, vcc_lo, s15, v78, vcc_lo
	s_delay_alu instid0(VALU_DEP_1) | instskip(NEXT) | instid1(VALU_DEP_1)
	v_lshlrev_b64 v[22:23], 5, v[22:23]
	v_add_co_u32 v89, vcc_lo, s4, v22
	s_delay_alu instid0(VALU_DEP_2)
	v_add_co_ci_u32_e32 v90, vcc_lo, s5, v23, vcc_lo
	global_load_b128 v[22:25], v[6:7], off offset:1040
	global_load_b128 v[77:80], v[89:90], off
	s_waitcnt vmcnt(13)
	v_sub_co_u32 v81, vcc_lo, v81, s12
	v_subrev_co_ci_u32_e32 v82, vcc_lo, s15, v82, vcc_lo
	s_waitcnt vmcnt(12)
	v_fma_f64 v[30:31], v[30:31], v[33:34], v[14:15]
	v_fma_f64 v[18:19], v[83:84], v[33:34], v[18:19]
	;; [unrolled: 1-line block ×4, first 2 shown]
	global_load_b128 v[12:15], v[6:7], off offset:1056
	s_waitcnt vmcnt(12)
	v_cvt_f64_f32_e32 v[83:84], v37
	v_cvt_f64_f32_e32 v[37:38], v38
	;; [unrolled: 1-line block ×4, first 2 shown]
	v_fma_f64 v[30:31], v[91:92], v[35:36], v[30:31]
	v_fma_f64 v[87:88], v[26:27], v[35:36], v[18:19]
	;; [unrolled: 1-line block ×4, first 2 shown]
	global_load_b128 v[16:19], v[6:7], off offset:1072
	global_load_b128 v[26:29], v[89:90], off offset:16
	s_waitcnt vmcnt(13)
	v_cvt_f64_f32_e32 v[89:90], v41
	v_cvt_f64_f32_e32 v[41:42], v42
	;; [unrolled: 1-line block ×4, first 2 shown]
	s_waitcnt vmcnt(12)
	v_fma_f64 v[30:31], v[83:84], v[45:46], v[30:31]
	v_fma_f64 v[37:38], v[37:38], v[45:46], v[87:88]
	;; [unrolled: 1-line block ×4, first 2 shown]
	global_load_b128 v[33:36], v[6:7], off offset:1536
	s_waitcnt vmcnt(12)
	v_cvt_f64_f32_e32 v[45:46], v49
	v_cvt_f64_f32_e32 v[49:50], v50
	;; [unrolled: 1-line block ×4, first 2 shown]
	s_waitcnt vmcnt(11)
	v_cvt_f64_f32_e32 v[91:92], v55
	v_cvt_f64_f32_e32 v[55:56], v56
	v_fma_f64 v[30:31], v[89:90], v[47:48], v[30:31]
	v_fma_f64 v[87:88], v[41:42], v[47:48], v[37:38]
	v_fma_f64 v[83:84], v[93:94], v[47:48], v[83:84]
	v_fma_f64 v[47:48], v[43:44], v[47:48], v[39:40]
	v_lshlrev_b64 v[37:38], 5, v[81:82]
	v_cvt_f64_f32_e32 v[89:90], v53
	v_cvt_f64_f32_e32 v[53:54], v54
	s_delay_alu instid0(VALU_DEP_3) | instskip(NEXT) | instid1(VALU_DEP_4)
	v_add_co_u32 v81, vcc_lo, s4, v37
	v_add_co_ci_u32_e32 v82, vcc_lo, s5, v38, vcc_lo
	global_load_b128 v[37:40], v[6:7], off offset:1552
	global_load_b128 v[41:44], v[81:82], off
	v_add_co_u32 v0, vcc_lo, v0, 32
	v_add_co_ci_u32_e32 v1, vcc_lo, 0, v1, vcc_lo
	s_waitcnt vmcnt(12)
	v_fma_f64 v[30:31], v[45:46], v[57:58], v[30:31]
	v_fma_f64 v[49:50], v[49:50], v[57:58], v[87:88]
	;; [unrolled: 1-line block ×4, first 2 shown]
	global_load_b128 v[45:48], v[6:7], off offset:1568
	s_waitcnt vmcnt(12)
	v_cvt_f64_f32_e32 v[57:58], v61
	v_cvt_f64_f32_e32 v[61:62], v62
	;; [unrolled: 1-line block ×4, first 2 shown]
	v_fma_f64 v[30:31], v[89:90], v[59:60], v[30:31]
	v_fma_f64 v[87:88], v[53:54], v[59:60], v[49:50]
	;; [unrolled: 1-line block ×4, first 2 shown]
	global_load_b128 v[49:52], v[6:7], off offset:1584
	global_load_b128 v[53:56], v[81:82], off offset:16
	s_waitcnt vmcnt(13)
	v_cvt_f64_f32_e32 v[81:82], v65
	v_cvt_f64_f32_e32 v[65:66], v66
	;; [unrolled: 1-line block ×4, first 2 shown]
	v_add_co_u32 v6, vcc_lo, 0x800, v6
	v_add_co_ci_u32_e32 v7, vcc_lo, 0, v7, vcc_lo
	v_cmp_ge_i64_e32 vcc_lo, v[0:1], v[4:5]
	s_or_b32 s7, vcc_lo, s7
	s_waitcnt vmcnt(12)
	v_fma_f64 v[30:31], v[57:58], v[69:70], v[30:31]
	v_fma_f64 v[57:58], v[61:62], v[69:70], v[87:88]
	v_fma_f64 v[61:62], v[85:86], v[69:70], v[83:84]
	v_fma_f64 v[59:60], v[63:64], v[69:70], v[59:60]
	s_waitcnt vmcnt(11)
	v_cvt_f64_f32_e32 v[63:64], v73
	v_cvt_f64_f32_e32 v[69:70], v74
	v_cvt_f64_f32_e32 v[73:74], v75
	v_cvt_f64_f32_e32 v[75:76], v76
	v_fma_f64 v[30:31], v[81:82], v[71:72], v[30:31]
	v_fma_f64 v[57:58], v[65:66], v[71:72], v[57:58]
	v_fma_f64 v[61:62], v[89:90], v[71:72], v[61:62]
	v_fma_f64 v[59:60], v[67:68], v[71:72], v[59:60]
	s_waitcnt vmcnt(10)
	v_cvt_f64_f32_e32 v[65:66], v22
	v_cvt_f64_f32_e32 v[22:23], v23
	v_cvt_f64_f32_e32 v[67:68], v24
	v_cvt_f64_f32_e32 v[24:25], v25
	s_waitcnt vmcnt(9)
	v_fma_f64 v[30:31], v[63:64], v[77:78], v[30:31]
	v_fma_f64 v[57:58], v[69:70], v[77:78], v[57:58]
	v_fma_f64 v[61:62], v[73:74], v[77:78], v[61:62]
	v_fma_f64 v[59:60], v[75:76], v[77:78], v[59:60]
	s_waitcnt vmcnt(8)
	v_cvt_f64_f32_e32 v[63:64], v12
	v_cvt_f64_f32_e32 v[12:13], v13
	v_cvt_f64_f32_e32 v[69:70], v14
	v_cvt_f64_f32_e32 v[14:15], v15
	v_fma_f64 v[30:31], v[65:66], v[79:80], v[30:31]
	v_fma_f64 v[22:23], v[22:23], v[79:80], v[57:58]
	v_fma_f64 v[57:58], v[67:68], v[79:80], v[61:62]
	v_fma_f64 v[24:25], v[24:25], v[79:80], v[59:60]
	s_waitcnt vmcnt(7)
	v_cvt_f64_f32_e32 v[59:60], v16
	v_cvt_f64_f32_e32 v[16:17], v17
	v_cvt_f64_f32_e32 v[61:62], v18
	v_cvt_f64_f32_e32 v[18:19], v19
	;; [unrolled: 19-line block ×4, first 2 shown]
	s_waitcnt vmcnt(0)
	v_fma_f64 v[18:19], v[26:27], v[53:54], v[18:19]
	v_fma_f64 v[12:13], v[30:31], v[53:54], v[12:13]
	;; [unrolled: 1-line block ×4, first 2 shown]
	s_delay_alu instid0(VALU_DEP_4) | instskip(NEXT) | instid1(VALU_DEP_4)
	v_fma_f64 v[14:15], v[22:23], v[55:56], v[18:19]
	v_fma_f64 v[18:19], v[24:25], v[55:56], v[12:13]
	s_delay_alu instid0(VALU_DEP_4) | instskip(NEXT) | instid1(VALU_DEP_4)
	v_fma_f64 v[16:17], v[28:29], v[55:56], v[16:17]
	v_fma_f64 v[12:13], v[37:38], v[55:56], v[26:27]
	s_and_not1_b32 exec_lo, exec_lo, s7
	s_cbranch_execnz .LBB161_35
; %bb.36:
	s_or_b32 exec_lo, exec_lo, s7
.LBB161_37:
	s_delay_alu instid0(SALU_CYCLE_1)
	s_or_b32 exec_lo, exec_lo, s6
.LBB161_38:
	s_delay_alu instid0(SALU_CYCLE_1)
	s_or_b32 exec_lo, exec_lo, s3
.LBB161_39:
	v_mbcnt_lo_u32_b32 v24, -1, 0
	s_delay_alu instid0(VALU_DEP_1) | instskip(NEXT) | instid1(VALU_DEP_1)
	v_xor_b32_e32 v0, 4, v24
	v_cmp_gt_i32_e32 vcc_lo, 32, v0
	v_cndmask_b32_e32 v0, v24, v0, vcc_lo
	s_delay_alu instid0(VALU_DEP_1)
	v_lshlrev_b32_e32 v21, 2, v0
	ds_bpermute_b32 v0, v21, v14
	ds_bpermute_b32 v1, v21, v15
	ds_bpermute_b32 v6, v21, v16
	ds_bpermute_b32 v7, v21, v17
	s_waitcnt lgkmcnt(0)
	v_add_f64 v[0:1], v[14:15], v[0:1]
	v_add_f64 v[14:15], v[16:17], v[6:7]
	v_xor_b32_e32 v6, 2, v24
	s_delay_alu instid0(VALU_DEP_1)
	v_cmp_gt_i32_e32 vcc_lo, 32, v6
	v_cndmask_b32_e32 v6, v24, v6, vcc_lo
	ds_bpermute_b32 v4, v21, v18
	ds_bpermute_b32 v5, v21, v19
	;; [unrolled: 1-line block ×4, first 2 shown]
	s_waitcnt lgkmcnt(2)
	v_add_f64 v[4:5], v[18:19], v[4:5]
	s_waitcnt lgkmcnt(0)
	v_add_f64 v[16:17], v[12:13], v[20:21]
	v_lshlrev_b32_e32 v12, 2, v6
	ds_bpermute_b32 v6, v12, v0
	ds_bpermute_b32 v7, v12, v1
	;; [unrolled: 1-line block ×8, first 2 shown]
	s_waitcnt lgkmcnt(6)
	v_add_f64 v[12:13], v[0:1], v[6:7]
	s_waitcnt lgkmcnt(4)
	v_add_f64 v[0:1], v[14:15], v[20:21]
	v_xor_b32_e32 v14, 1, v24
	s_delay_alu instid0(VALU_DEP_1) | instskip(SKIP_4) | instid1(VALU_DEP_3)
	v_cmp_gt_i32_e32 vcc_lo, 32, v14
	v_cndmask_b32_e32 v14, v24, v14, vcc_lo
	v_cmp_eq_u32_e32 vcc_lo, 7, v32
	s_waitcnt lgkmcnt(2)
	v_add_f64 v[6:7], v[4:5], v[18:19]
	v_lshlrev_b32_e32 v15, 2, v14
	s_waitcnt lgkmcnt(0)
	v_add_f64 v[4:5], v[16:17], v[22:23]
	ds_bpermute_b32 v20, v15, v12
	ds_bpermute_b32 v21, v15, v13
	;; [unrolled: 1-line block ×8, first 2 shown]
	s_and_b32 exec_lo, exec_lo, vcc_lo
	s_cbranch_execz .LBB161_10
; %bb.40:
	s_waitcnt lgkmcnt(6)
	v_add_f64 v[12:13], v[12:13], v[20:21]
	s_waitcnt lgkmcnt(2)
	v_add_f64 v[6:7], v[6:7], v[18:19]
	v_add_f64 v[0:1], v[0:1], v[16:17]
	s_waitcnt lgkmcnt(0)
	v_add_f64 v[14:15], v[4:5], v[14:15]
	s_load_b64 s[0:1], s[0:1], 0x58
	v_lshlrev_b64 v[10:11], 5, v[10:11]
	s_mov_b32 s2, exec_lo
	v_mul_f64 v[4:5], v[2:3], v[12:13]
	v_mul_f64 v[6:7], v[2:3], v[6:7]
	;; [unrolled: 1-line block ×4, first 2 shown]
	v_cmpx_eq_f64_e32 0, v[8:9]
	s_xor_b32 s2, exec_lo, s2
	s_cbranch_execz .LBB161_42
; %bb.41:
	s_waitcnt lgkmcnt(0)
	v_add_co_u32 v8, vcc_lo, s0, v10
	v_add_co_ci_u32_e32 v9, vcc_lo, s1, v11, vcc_lo
                                        ; implicit-def: $vgpr10_vgpr11
	s_clause 0x1
	global_store_b128 v[8:9], v[4:7], off
	global_store_b128 v[8:9], v[0:3], off offset:16
                                        ; implicit-def: $vgpr8_vgpr9
                                        ; implicit-def: $vgpr4_vgpr5
                                        ; implicit-def: $vgpr0_vgpr1
.LBB161_42:
	s_and_not1_saveexec_b32 s2, s2
	s_cbranch_execz .LBB161_10
; %bb.43:
	s_waitcnt lgkmcnt(0)
	v_add_co_u32 v18, vcc_lo, s0, v10
	v_add_co_ci_u32_e32 v19, vcc_lo, s1, v11, vcc_lo
	s_clause 0x1
	global_load_b128 v[10:13], v[18:19], off
	global_load_b128 v[14:17], v[18:19], off offset:16
	s_waitcnt vmcnt(1)
	v_fma_f64 v[4:5], v[8:9], v[10:11], v[4:5]
	v_fma_f64 v[6:7], v[8:9], v[12:13], v[6:7]
	s_waitcnt vmcnt(0)
	v_fma_f64 v[0:1], v[8:9], v[14:15], v[0:1]
	v_fma_f64 v[2:3], v[8:9], v[16:17], v[2:3]
	s_clause 0x1
	global_store_b128 v[18:19], v[4:7], off
	global_store_b128 v[18:19], v[0:3], off offset:16
	s_nop 0
	s_sendmsg sendmsg(MSG_DEALLOC_VGPRS)
	s_endpgm
	.section	.rodata,"a",@progbits
	.p2align	6, 0x0
	.amdhsa_kernel _ZN9rocsparseL18bsrxmvn_4x4_kernelILj128ELj8EdllfddEEvT3_20rocsparse_direction_NS_24const_host_device_scalarIT1_EES1_PKS1_PKT2_SA_S7_PKT4_PKT5_S5_PT6_21rocsparse_index_base_b
		.amdhsa_group_segment_fixed_size 0
		.amdhsa_private_segment_fixed_size 0
		.amdhsa_kernarg_size 104
		.amdhsa_user_sgpr_count 15
		.amdhsa_user_sgpr_dispatch_ptr 0
		.amdhsa_user_sgpr_queue_ptr 0
		.amdhsa_user_sgpr_kernarg_segment_ptr 1
		.amdhsa_user_sgpr_dispatch_id 0
		.amdhsa_user_sgpr_private_segment_size 0
		.amdhsa_wavefront_size32 1
		.amdhsa_uses_dynamic_stack 0
		.amdhsa_enable_private_segment 0
		.amdhsa_system_sgpr_workgroup_id_x 1
		.amdhsa_system_sgpr_workgroup_id_y 0
		.amdhsa_system_sgpr_workgroup_id_z 0
		.amdhsa_system_sgpr_workgroup_info 0
		.amdhsa_system_vgpr_workitem_id 0
		.amdhsa_next_free_vgpr 113
		.amdhsa_next_free_sgpr 16
		.amdhsa_reserve_vcc 1
		.amdhsa_float_round_mode_32 0
		.amdhsa_float_round_mode_16_64 0
		.amdhsa_float_denorm_mode_32 3
		.amdhsa_float_denorm_mode_16_64 3
		.amdhsa_dx10_clamp 1
		.amdhsa_ieee_mode 1
		.amdhsa_fp16_overflow 0
		.amdhsa_workgroup_processor_mode 1
		.amdhsa_memory_ordered 1
		.amdhsa_forward_progress 0
		.amdhsa_shared_vgpr_count 0
		.amdhsa_exception_fp_ieee_invalid_op 0
		.amdhsa_exception_fp_denorm_src 0
		.amdhsa_exception_fp_ieee_div_zero 0
		.amdhsa_exception_fp_ieee_overflow 0
		.amdhsa_exception_fp_ieee_underflow 0
		.amdhsa_exception_fp_ieee_inexact 0
		.amdhsa_exception_int_div_zero 0
	.end_amdhsa_kernel
	.section	.text._ZN9rocsparseL18bsrxmvn_4x4_kernelILj128ELj8EdllfddEEvT3_20rocsparse_direction_NS_24const_host_device_scalarIT1_EES1_PKS1_PKT2_SA_S7_PKT4_PKT5_S5_PT6_21rocsparse_index_base_b,"axG",@progbits,_ZN9rocsparseL18bsrxmvn_4x4_kernelILj128ELj8EdllfddEEvT3_20rocsparse_direction_NS_24const_host_device_scalarIT1_EES1_PKS1_PKT2_SA_S7_PKT4_PKT5_S5_PT6_21rocsparse_index_base_b,comdat
.Lfunc_end161:
	.size	_ZN9rocsparseL18bsrxmvn_4x4_kernelILj128ELj8EdllfddEEvT3_20rocsparse_direction_NS_24const_host_device_scalarIT1_EES1_PKS1_PKT2_SA_S7_PKT4_PKT5_S5_PT6_21rocsparse_index_base_b, .Lfunc_end161-_ZN9rocsparseL18bsrxmvn_4x4_kernelILj128ELj8EdllfddEEvT3_20rocsparse_direction_NS_24const_host_device_scalarIT1_EES1_PKS1_PKT2_SA_S7_PKT4_PKT5_S5_PT6_21rocsparse_index_base_b
                                        ; -- End function
	.section	.AMDGPU.csdata,"",@progbits
; Kernel info:
; codeLenInByte = 5484
; NumSgprs: 18
; NumVgprs: 113
; ScratchSize: 0
; MemoryBound: 0
; FloatMode: 240
; IeeeMode: 1
; LDSByteSize: 0 bytes/workgroup (compile time only)
; SGPRBlocks: 2
; VGPRBlocks: 14
; NumSGPRsForWavesPerEU: 18
; NumVGPRsForWavesPerEU: 113
; Occupancy: 12
; WaveLimiterHint : 1
; COMPUTE_PGM_RSRC2:SCRATCH_EN: 0
; COMPUTE_PGM_RSRC2:USER_SGPR: 15
; COMPUTE_PGM_RSRC2:TRAP_HANDLER: 0
; COMPUTE_PGM_RSRC2:TGID_X_EN: 1
; COMPUTE_PGM_RSRC2:TGID_Y_EN: 0
; COMPUTE_PGM_RSRC2:TGID_Z_EN: 0
; COMPUTE_PGM_RSRC2:TIDIG_COMP_CNT: 0
	.section	.text._ZN9rocsparseL18bsrxmvn_4x4_kernelILj128ELj16EdllfddEEvT3_20rocsparse_direction_NS_24const_host_device_scalarIT1_EES1_PKS1_PKT2_SA_S7_PKT4_PKT5_S5_PT6_21rocsparse_index_base_b,"axG",@progbits,_ZN9rocsparseL18bsrxmvn_4x4_kernelILj128ELj16EdllfddEEvT3_20rocsparse_direction_NS_24const_host_device_scalarIT1_EES1_PKS1_PKT2_SA_S7_PKT4_PKT5_S5_PT6_21rocsparse_index_base_b,comdat
	.globl	_ZN9rocsparseL18bsrxmvn_4x4_kernelILj128ELj16EdllfddEEvT3_20rocsparse_direction_NS_24const_host_device_scalarIT1_EES1_PKS1_PKT2_SA_S7_PKT4_PKT5_S5_PT6_21rocsparse_index_base_b ; -- Begin function _ZN9rocsparseL18bsrxmvn_4x4_kernelILj128ELj16EdllfddEEvT3_20rocsparse_direction_NS_24const_host_device_scalarIT1_EES1_PKS1_PKT2_SA_S7_PKT4_PKT5_S5_PT6_21rocsparse_index_base_b
	.p2align	8
	.type	_ZN9rocsparseL18bsrxmvn_4x4_kernelILj128ELj16EdllfddEEvT3_20rocsparse_direction_NS_24const_host_device_scalarIT1_EES1_PKS1_PKT2_SA_S7_PKT4_PKT5_S5_PT6_21rocsparse_index_base_b,@function
_ZN9rocsparseL18bsrxmvn_4x4_kernelILj128ELj16EdllfddEEvT3_20rocsparse_direction_NS_24const_host_device_scalarIT1_EES1_PKS1_PKT2_SA_S7_PKT4_PKT5_S5_PT6_21rocsparse_index_base_b: ; @_ZN9rocsparseL18bsrxmvn_4x4_kernelILj128ELj16EdllfddEEvT3_20rocsparse_direction_NS_24const_host_device_scalarIT1_EES1_PKS1_PKT2_SA_S7_PKT4_PKT5_S5_PT6_21rocsparse_index_base_b
; %bb.0:
	s_clause 0x2
	s_load_b64 s[12:13], s[0:1], 0x60
	s_load_b128 s[4:7], s[0:1], 0x10
	s_load_b64 s[2:3], s[0:1], 0x50
	s_waitcnt lgkmcnt(0)
	s_bitcmp1_b32 s13, 0
	v_dual_mov_b32 v2, s4 :: v_dual_mov_b32 v3, s5
	s_cselect_b32 s8, -1, 0
	s_delay_alu instid0(SALU_CYCLE_1)
	s_and_b32 vcc_lo, exec_lo, s8
	s_xor_b32 s8, s8, -1
	s_cbranch_vccnz .LBB162_2
; %bb.1:
	v_dual_mov_b32 v1, s4 :: v_dual_mov_b32 v2, s5
	flat_load_b64 v[2:3], v[1:2]
.LBB162_2:
	v_dual_mov_b32 v9, s3 :: v_dual_mov_b32 v8, s2
	s_and_not1_b32 vcc_lo, exec_lo, s8
	s_cbranch_vccnz .LBB162_4
; %bb.3:
	v_dual_mov_b32 v5, s3 :: v_dual_mov_b32 v4, s2
	flat_load_b64 v[8:9], v[4:5]
.LBB162_4:
	s_waitcnt vmcnt(0) lgkmcnt(0)
	v_cmp_neq_f64_e32 vcc_lo, 0, v[2:3]
	v_cmp_neq_f64_e64 s2, 1.0, v[8:9]
	s_delay_alu instid0(VALU_DEP_1) | instskip(NEXT) | instid1(SALU_CYCLE_1)
	s_or_b32 s2, vcc_lo, s2
	s_and_saveexec_b32 s3, s2
	s_cbranch_execz .LBB162_10
; %bb.5:
	s_load_b64 s[2:3], s[0:1], 0x20
	v_lshrrev_b32_e32 v1, 4, v0
	v_mov_b32_e32 v5, 0
	s_mov_b32 s4, 0
	s_delay_alu instid0(VALU_DEP_2)
	v_lshl_or_b32 v4, s15, 3, v1
	s_waitcnt lgkmcnt(0)
	s_cmp_lg_u64 s[2:3], 0
	s_cbranch_scc0 .LBB162_11
; %bb.6:
	s_delay_alu instid0(VALU_DEP_1) | instskip(SKIP_2) | instid1(SALU_CYCLE_1)
	v_cmp_gt_i64_e32 vcc_lo, s[6:7], v[4:5]
	s_mov_b32 s5, 0
                                        ; implicit-def: $vgpr10_vgpr11
	s_and_saveexec_b32 s6, vcc_lo
	s_xor_b32 s6, exec_lo, s6
                                        ; implicit-def: $sgpr14_sgpr15
	s_cbranch_execz .LBB162_8
; %bb.7:
	v_lshlrev_b64 v[6:7], 3, v[4:5]
	s_mov_b32 s4, exec_lo
	s_mov_b32 s15, 0
	s_delay_alu instid0(VALU_DEP_1) | instskip(NEXT) | instid1(VALU_DEP_2)
	v_add_co_u32 v6, vcc_lo, s2, v6
	v_add_co_ci_u32_e32 v7, vcc_lo, s3, v7, vcc_lo
	global_load_b64 v[6:7], v[6:7], off
	s_waitcnt vmcnt(0)
	v_sub_co_u32 v10, vcc_lo, v6, s12
	v_subrev_co_ci_u32_e32 v11, vcc_lo, 0, v7, vcc_lo
.LBB162_8:
	s_or_b32 exec_lo, exec_lo, s6
	s_delay_alu instid0(SALU_CYCLE_1)
	s_and_b32 vcc_lo, exec_lo, s5
	s_cbranch_vccnz .LBB162_12
.LBB162_9:
	s_and_b32 exec_lo, exec_lo, s4
	s_cbranch_execnz .LBB162_15
.LBB162_10:
	s_nop 0
	s_sendmsg sendmsg(MSG_DEALLOC_VGPRS)
	s_endpgm
.LBB162_11:
                                        ; implicit-def: $vgpr10_vgpr11
                                        ; implicit-def: $sgpr14_sgpr15
	s_cbranch_execz .LBB162_9
.LBB162_12:
	s_load_b64 s[2:3], s[0:1], 0x0
                                        ; implicit-def: $vgpr10_vgpr11
	s_waitcnt lgkmcnt(0)
	v_cmp_gt_i64_e32 vcc_lo, s[2:3], v[4:5]
	s_and_saveexec_b32 s2, vcc_lo
                                        ; implicit-def: $sgpr14_sgpr15
; %bb.13:
	v_dual_mov_b32 v11, v5 :: v_dual_mov_b32 v10, v4
	s_mov_b32 s15, 0
	s_or_b32 s4, s4, exec_lo
; %bb.14:
	s_or_b32 exec_lo, exec_lo, s2
	s_delay_alu instid0(SALU_CYCLE_1)
	s_and_b32 exec_lo, exec_lo, s4
	s_cbranch_execz .LBB162_10
.LBB162_15:
	s_load_b256 s[4:11], s[0:1], 0x28
	v_lshlrev_b64 v[4:5], 3, v[10:11]
	v_and_b32_e32 v32, 15, v0
	s_load_b32 s3, s[0:1], 0x8
	s_waitcnt lgkmcnt(0)
	s_delay_alu instid0(VALU_DEP_2) | instskip(NEXT) | instid1(VALU_DEP_3)
	v_add_co_u32 v6, vcc_lo, s4, v4
	v_add_co_ci_u32_e32 v7, vcc_lo, s5, v5, vcc_lo
	v_add_co_u32 v1, vcc_lo, s6, v4
	v_add_co_ci_u32_e32 v4, vcc_lo, s7, v5, vcc_lo
	s_delay_alu instid0(VALU_DEP_4)
	v_add_co_u32 v12, vcc_lo, v6, 8
	global_load_b64 v[20:21], v[6:7], off
	v_add_co_ci_u32_e32 v5, vcc_lo, 0, v7, vcc_lo
	s_cmp_eq_u64 s[6:7], 0
	s_load_b64 s[4:5], s[0:1], 0x48
	s_cselect_b32 vcc_lo, -1, 0
	s_cmp_eq_u32 s3, 1
	v_dual_cndmask_b32 v5, v4, v5 :: v_dual_cndmask_b32 v4, v1, v12
	global_load_b64 v[4:5], v[4:5], off
	s_waitcnt vmcnt(1)
	v_sub_co_u32 v0, vcc_lo, v20, s12
	v_subrev_co_ci_u32_e32 v1, vcc_lo, s15, v21, vcc_lo
	s_delay_alu instid0(VALU_DEP_2) | instskip(NEXT) | instid1(VALU_DEP_2)
	v_add_co_u32 v0, vcc_lo, v0, v32
	v_add_co_ci_u32_e32 v1, vcc_lo, 0, v1, vcc_lo
	s_delay_alu instid0(VALU_DEP_1) | instskip(SKIP_3) | instid1(VALU_DEP_3)
	v_lshlrev_b64 v[6:7], 6, v[0:1]
	s_waitcnt vmcnt(0)
	v_sub_co_u32 v4, vcc_lo, v4, s12
	v_subrev_co_ci_u32_e32 v5, vcc_lo, s15, v5, vcc_lo
	v_add_co_u32 v6, vcc_lo, s10, v6
	s_delay_alu instid0(VALU_DEP_2)
	v_cmp_lt_i64_e64 s2, v[0:1], v[4:5]
	v_add_co_ci_u32_e32 v7, vcc_lo, s11, v7, vcc_lo
	s_cbranch_scc1 .LBB162_27
; %bb.16:
	v_mov_b32_e32 v12, 0
	v_mov_b32_e32 v13, 0
	s_delay_alu instid0(VALU_DEP_1)
	v_dual_mov_b32 v17, v13 :: v_dual_mov_b32 v16, v12
	v_dual_mov_b32 v19, v13 :: v_dual_mov_b32 v18, v12
	;; [unrolled: 1-line block ×3, first 2 shown]
	s_and_saveexec_b32 s6, s2
	s_cbranch_execz .LBB162_26
; %bb.17:
	v_or_b32_e32 v12, 16, v32
	v_not_b32_e32 v15, v20
	v_not_b32_e32 v14, v21
	s_mov_b32 s10, 0
	s_mov_b32 s7, exec_lo
	v_sub_co_u32 v12, s3, v12, s12
	s_delay_alu instid0(VALU_DEP_1) | instskip(SKIP_1) | instid1(VALU_DEP_3)
	v_sub_co_ci_u32_e64 v13, null, 0, s15, s3
	v_sub_co_u32 v16, s3, s12, v32
	v_add_co_u32 v12, vcc_lo, v12, v20
	s_delay_alu instid0(VALU_DEP_3) | instskip(SKIP_2) | instid1(VALU_DEP_3)
	v_add_co_ci_u32_e32 v13, vcc_lo, v13, v21, vcc_lo
	v_sub_co_ci_u32_e64 v17, null, s15, 0, s3
	v_mov_b32_e32 v23, v1
	v_cmp_gt_i64_e32 vcc_lo, v[12:13], v[4:5]
	v_dual_mov_b32 v25, v7 :: v_dual_mov_b32 v24, v6
	v_dual_cndmask_b32 v13, v5, v13 :: v_dual_cndmask_b32 v12, v4, v12
	v_add_co_u32 v15, vcc_lo, v16, v15
	v_add_co_ci_u32_e32 v14, vcc_lo, v17, v14, vcc_lo
	s_delay_alu instid0(VALU_DEP_2) | instskip(NEXT) | instid1(VALU_DEP_2)
	v_add_co_u32 v26, vcc_lo, v15, v12
	v_add_co_ci_u32_e32 v27, vcc_lo, v14, v13, vcc_lo
	v_mov_b32_e32 v14, 0
	s_delay_alu instid0(VALU_DEP_3) | instskip(SKIP_1) | instid1(VALU_DEP_1)
	v_lshrrev_b32_e32 v12, 4, v26
	v_dual_mov_b32 v15, 0 :: v_dual_mov_b32 v22, v0
	v_dual_mov_b32 v17, v15 :: v_dual_add_nc_u32 v12, 1, v12
	s_delay_alu instid0(VALU_DEP_4) | instskip(SKIP_1) | instid1(VALU_DEP_3)
	v_dual_mov_b32 v19, v15 :: v_dual_mov_b32 v16, v14
	v_mov_b32_e32 v18, v14
	v_and_b32_e32 v28, 3, v12
	v_dual_mov_b32 v12, v14 :: v_dual_mov_b32 v13, v15
	s_delay_alu instid0(VALU_DEP_2)
	v_cmpx_ne_u32_e32 0, v28
	s_cbranch_execz .LBB162_21
; %bb.18:
	v_lshlrev_b64 v[14:15], 3, v[0:1]
	v_dual_mov_b32 v29, 0 :: v_dual_mov_b32 v12, 0
	v_dual_mov_b32 v13, 0 :: v_dual_lshlrev_b32 v28, 3, v28
	v_dual_mov_b32 v25, v7 :: v_dual_mov_b32 v24, v6
	s_delay_alu instid0(VALU_DEP_4)
	v_add_co_u32 v30, vcc_lo, s8, v14
	v_add_co_ci_u32_e32 v31, vcc_lo, s9, v15, vcc_lo
	v_dual_mov_b32 v23, v1 :: v_dual_mov_b32 v22, v0
	v_dual_mov_b32 v17, v13 :: v_dual_mov_b32 v16, v12
	;; [unrolled: 1-line block ×4, first 2 shown]
.LBB162_19:                             ; =>This Inner Loop Header: Depth=1
	global_load_b64 v[49:50], v[30:31], off
	s_clause 0x3
	global_load_b128 v[33:36], v[24:25], off
	global_load_b128 v[37:40], v[24:25], off offset:16
	global_load_b128 v[41:44], v[24:25], off offset:32
	;; [unrolled: 1-line block ×3, first 2 shown]
	v_add_co_u32 v30, s3, 0x80, v30
	s_delay_alu instid0(VALU_DEP_1)
	v_add_co_ci_u32_e64 v31, s3, 0, v31, s3
	s_waitcnt vmcnt(4)
	v_sub_co_u32 v49, vcc_lo, v49, s12
	v_subrev_co_ci_u32_e32 v50, vcc_lo, s15, v50, vcc_lo
	s_waitcnt vmcnt(3)
	v_cvt_f64_f32_e32 v[57:58], v33
	s_waitcnt vmcnt(2)
	v_cvt_f64_f32_e32 v[59:60], v37
	;; [unrolled: 2-line block ×3, first 2 shown]
	v_lshlrev_b64 v[49:50], 5, v[49:50]
	s_waitcnt vmcnt(0)
	v_cvt_f64_f32_e32 v[63:64], v45
	v_cvt_f64_f32_e32 v[33:34], v34
	;; [unrolled: 1-line block ×5, first 2 shown]
	s_waitcnt lgkmcnt(0)
	v_add_co_u32 v53, vcc_lo, s4, v49
	v_add_co_ci_u32_e32 v54, vcc_lo, s5, v50, vcc_lo
	v_add_co_u32 v24, vcc_lo, 0x400, v24
	v_add_co_ci_u32_e32 v25, vcc_lo, 0, v25, vcc_lo
	s_clause 0x1
	global_load_b128 v[49:52], v[53:54], off
	global_load_b128 v[53:56], v[53:54], off offset:16
	v_add_co_u32 v28, vcc_lo, v28, -8
	v_add_co_ci_u32_e32 v29, vcc_lo, -1, v29, vcc_lo
	v_add_co_u32 v22, vcc_lo, v22, 16
	v_add_co_ci_u32_e32 v23, vcc_lo, 0, v23, vcc_lo
	s_delay_alu instid0(VALU_DEP_3)
	v_cmp_eq_u64_e32 vcc_lo, 0, v[28:29]
	s_or_b32 s10, vcc_lo, s10
	s_waitcnt vmcnt(1)
	v_fma_f64 v[14:15], v[57:58], v[49:50], v[14:15]
	v_fma_f64 v[18:19], v[59:60], v[49:50], v[18:19]
	;; [unrolled: 1-line block ×4, first 2 shown]
	v_cvt_f64_f32_e32 v[49:50], v35
	v_cvt_f64_f32_e32 v[57:58], v39
	v_cvt_f64_f32_e32 v[59:60], v43
	v_cvt_f64_f32_e32 v[61:62], v47
	v_fma_f64 v[14:15], v[33:34], v[51:52], v[14:15]
	v_fma_f64 v[18:19], v[37:38], v[51:52], v[18:19]
	;; [unrolled: 1-line block ×4, first 2 shown]
	v_cvt_f64_f32_e32 v[33:34], v36
	v_cvt_f64_f32_e32 v[35:36], v40
	v_cvt_f64_f32_e32 v[37:38], v44
	v_cvt_f64_f32_e32 v[39:40], v48
	s_waitcnt vmcnt(0)
	v_fma_f64 v[14:15], v[49:50], v[53:54], v[14:15]
	v_fma_f64 v[18:19], v[57:58], v[53:54], v[18:19]
	;; [unrolled: 1-line block ×4, first 2 shown]
	s_delay_alu instid0(VALU_DEP_4) | instskip(NEXT) | instid1(VALU_DEP_4)
	v_fma_f64 v[14:15], v[33:34], v[55:56], v[14:15]
	v_fma_f64 v[18:19], v[35:36], v[55:56], v[18:19]
	s_delay_alu instid0(VALU_DEP_4) | instskip(NEXT) | instid1(VALU_DEP_4)
	v_fma_f64 v[16:17], v[37:38], v[55:56], v[16:17]
	v_fma_f64 v[12:13], v[39:40], v[55:56], v[12:13]
	s_and_not1_b32 exec_lo, exec_lo, s10
	s_cbranch_execnz .LBB162_19
; %bb.20:
	s_or_b32 exec_lo, exec_lo, s10
.LBB162_21:
	s_delay_alu instid0(SALU_CYCLE_1) | instskip(NEXT) | instid1(SALU_CYCLE_1)
	s_or_b32 exec_lo, exec_lo, s7
	s_mov_b32 s7, exec_lo
	v_cmpx_lt_u64_e32 47, v[26:27]
	s_cbranch_execz .LBB162_25
; %bb.22:
	v_lshlrev_b64 v[26:27], 3, v[22:23]
	s_mov_b32 s10, 0
	s_delay_alu instid0(VALU_DEP_1) | instskip(NEXT) | instid1(VALU_DEP_2)
	v_add_co_u32 v26, vcc_lo, v26, s8
	v_add_co_ci_u32_e32 v27, vcc_lo, s9, v27, vcc_lo
	s_delay_alu instid0(VALU_DEP_2) | instskip(NEXT) | instid1(VALU_DEP_2)
	v_add_co_u32 v26, vcc_lo, 0x100, v26
	v_add_co_ci_u32_e32 v27, vcc_lo, 0, v27, vcc_lo
.LBB162_23:                             ; =>This Inner Loop Header: Depth=1
	s_clause 0x1
	global_load_b64 v[45:46], v[26:27], off offset:-256
	global_load_b64 v[69:70], v[26:27], off offset:-128
	s_clause 0x3
	global_load_b128 v[28:31], v[24:25], off
	global_load_b128 v[33:36], v[24:25], off offset:16
	global_load_b128 v[37:40], v[24:25], off offset:32
	;; [unrolled: 1-line block ×3, first 2 shown]
	s_clause 0x1
	global_load_b64 v[93:94], v[26:27], off
	global_load_b64 v[97:98], v[26:27], off offset:128
	v_add_co_u32 v26, s3, 0x200, v26
	s_delay_alu instid0(VALU_DEP_1)
	v_add_co_ci_u32_e64 v27, s3, 0, v27, s3
	s_waitcnt vmcnt(7)
	v_sub_co_u32 v45, vcc_lo, v45, s12
	v_subrev_co_ci_u32_e32 v46, vcc_lo, s15, v46, vcc_lo
	s_waitcnt vmcnt(5)
	v_cvt_f64_f32_e32 v[99:100], v28
	s_waitcnt vmcnt(4)
	v_cvt_f64_f32_e32 v[101:102], v33
	s_waitcnt vmcnt(3)
	v_cvt_f64_f32_e32 v[103:104], v37
	v_lshlrev_b64 v[45:46], 5, v[45:46]
	s_waitcnt vmcnt(2)
	v_cvt_f64_f32_e32 v[105:106], v41
	v_cvt_f64_f32_e32 v[28:29], v29
	;; [unrolled: 1-line block ×5, first 2 shown]
	s_waitcnt lgkmcnt(0)
	v_add_co_u32 v49, vcc_lo, s4, v45
	v_add_co_ci_u32_e32 v50, vcc_lo, s5, v46, vcc_lo
	v_sub_co_u32 v69, vcc_lo, v69, s12
	v_subrev_co_ci_u32_e32 v70, vcc_lo, s15, v70, vcc_lo
	s_clause 0x1
	global_load_b128 v[45:48], v[49:50], off
	global_load_b128 v[49:52], v[49:50], off offset:16
	s_clause 0x3
	global_load_b128 v[53:56], v[24:25], off offset:1024
	global_load_b128 v[57:60], v[24:25], off offset:1040
	global_load_b128 v[61:64], v[24:25], off offset:1056
	global_load_b128 v[65:68], v[24:25], off offset:1072
	v_lshlrev_b64 v[69:70], 5, v[69:70]
	s_delay_alu instid0(VALU_DEP_1) | instskip(NEXT) | instid1(VALU_DEP_2)
	v_add_co_u32 v73, vcc_lo, s4, v69
	v_add_co_ci_u32_e32 v74, vcc_lo, s5, v70, vcc_lo
	s_waitcnt vmcnt(7)
	v_sub_co_u32 v93, vcc_lo, v93, s12
	s_clause 0x1
	global_load_b128 v[69:72], v[73:74], off
	global_load_b128 v[73:76], v[73:74], off offset:16
	s_clause 0x3
	global_load_b128 v[77:80], v[24:25], off offset:2048
	global_load_b128 v[81:84], v[24:25], off offset:2064
	;; [unrolled: 1-line block ×4, first 2 shown]
	v_subrev_co_ci_u32_e32 v94, vcc_lo, s15, v94, vcc_lo
	s_delay_alu instid0(VALU_DEP_1) | instskip(NEXT) | instid1(VALU_DEP_1)
	v_lshlrev_b64 v[93:94], 5, v[93:94]
	v_add_co_u32 v107, vcc_lo, s4, v93
	s_delay_alu instid0(VALU_DEP_2)
	v_add_co_ci_u32_e32 v108, vcc_lo, s5, v94, vcc_lo
	s_waitcnt vmcnt(12)
	v_sub_co_u32 v97, vcc_lo, v97, s12
	v_subrev_co_ci_u32_e32 v98, vcc_lo, s15, v98, vcc_lo
	global_load_b128 v[93:96], v[107:108], off
	s_waitcnt vmcnt(12)
	v_fma_f64 v[14:15], v[99:100], v[45:46], v[14:15]
	v_fma_f64 v[18:19], v[101:102], v[45:46], v[18:19]
	;; [unrolled: 1-line block ×4, first 2 shown]
	v_cvt_f64_f32_e32 v[45:46], v30
	v_cvt_f64_f32_e32 v[99:100], v35
	;; [unrolled: 1-line block ×6, first 2 shown]
	s_waitcnt vmcnt(8)
	v_cvt_f64_f32_e32 v[109:110], v61
	s_waitcnt vmcnt(7)
	v_cvt_f64_f32_e32 v[111:112], v65
	v_cvt_f64_f32_e32 v[61:62], v62
	;; [unrolled: 1-line block ×3, first 2 shown]
	v_fma_f64 v[28:29], v[28:29], v[47:48], v[14:15]
	v_fma_f64 v[18:19], v[33:34], v[47:48], v[18:19]
	;; [unrolled: 1-line block ×4, first 2 shown]
	global_load_b128 v[12:15], v[107:108], off offset:16
	v_cvt_f64_f32_e32 v[41:42], v31
	v_cvt_f64_f32_e32 v[47:48], v36
	;; [unrolled: 1-line block ×4, first 2 shown]
	v_fma_f64 v[45:46], v[45:46], v[49:50], v[28:29]
	v_fma_f64 v[99:100], v[99:100], v[49:50], v[18:19]
	;; [unrolled: 1-line block ×4, first 2 shown]
	s_clause 0x3
	global_load_b128 v[16:19], v[24:25], off offset:3072
	global_load_b128 v[28:31], v[24:25], off offset:3088
	;; [unrolled: 1-line block ×4, first 2 shown]
	v_cvt_f64_f32_e32 v[103:104], v53
	v_cvt_f64_f32_e32 v[53:54], v54
	v_fma_f64 v[45:46], v[41:42], v[51:52], v[45:46]
	v_fma_f64 v[47:48], v[47:48], v[51:52], v[99:100]
	;; [unrolled: 1-line block ×4, first 2 shown]
	v_lshlrev_b64 v[41:42], 5, v[97:98]
	v_cvt_f64_f32_e32 v[101:102], v63
	s_delay_alu instid0(VALU_DEP_2) | instskip(NEXT) | instid1(VALU_DEP_3)
	v_add_co_u32 v51, vcc_lo, s4, v41
	v_add_co_ci_u32_e32 v52, vcc_lo, s5, v42, vcc_lo
	v_add_co_u32 v22, vcc_lo, v22, 64
	v_add_co_ci_u32_e32 v23, vcc_lo, 0, v23, vcc_lo
	global_load_b128 v[41:44], v[51:52], off
	v_add_co_u32 v24, vcc_lo, 0x1000, v24
	v_add_co_ci_u32_e32 v25, vcc_lo, 0, v25, vcc_lo
	v_cmp_ge_i64_e32 vcc_lo, v[22:23], v[4:5]
	s_or_b32 s10, vcc_lo, s10
	s_waitcnt vmcnt(12)
	v_fma_f64 v[45:46], v[103:104], v[69:70], v[45:46]
	v_fma_f64 v[47:48], v[107:108], v[69:70], v[47:48]
	;; [unrolled: 1-line block ×4, first 2 shown]
	v_cvt_f64_f32_e32 v[69:70], v55
	v_cvt_f64_f32_e32 v[99:100], v59
	;; [unrolled: 1-line block ×3, first 2 shown]
	v_fma_f64 v[53:54], v[53:54], v[71:72], v[45:46]
	v_fma_f64 v[57:58], v[57:58], v[71:72], v[47:48]
	global_load_b128 v[45:48], v[51:52], off offset:16
	v_fma_f64 v[61:62], v[61:62], v[71:72], v[97:98]
	v_fma_f64 v[49:50], v[65:66], v[71:72], v[49:50]
	v_cvt_f64_f32_e32 v[51:52], v56
	v_cvt_f64_f32_e32 v[55:56], v60
	;; [unrolled: 1-line block ×4, first 2 shown]
	s_waitcnt vmcnt(11)
	v_cvt_f64_f32_e32 v[65:66], v77
	s_waitcnt vmcnt(10)
	v_cvt_f64_f32_e32 v[67:68], v81
	;; [unrolled: 2-line block ×3, first 2 shown]
	v_fma_f64 v[53:54], v[69:70], v[73:74], v[53:54]
	v_fma_f64 v[57:58], v[99:100], v[73:74], v[57:58]
	v_cvt_f64_f32_e32 v[69:70], v85
	v_fma_f64 v[61:62], v[101:102], v[73:74], v[61:62]
	v_fma_f64 v[49:50], v[103:104], v[73:74], v[49:50]
	;; [unrolled: 1-line block ×4, first 2 shown]
	v_cvt_f64_f32_e32 v[57:58], v78
	v_fma_f64 v[55:56], v[59:60], v[75:76], v[61:62]
	v_fma_f64 v[49:50], v[63:64], v[75:76], v[49:50]
	v_cvt_f64_f32_e32 v[59:60], v82
	v_cvt_f64_f32_e32 v[61:62], v86
	;; [unrolled: 1-line block ×3, first 2 shown]
	s_waitcnt vmcnt(7)
	v_fma_f64 v[51:52], v[65:66], v[93:94], v[51:52]
	v_fma_f64 v[53:54], v[67:68], v[93:94], v[53:54]
	v_cvt_f64_f32_e32 v[65:66], v79
	v_fma_f64 v[55:56], v[69:70], v[93:94], v[55:56]
	v_fma_f64 v[49:50], v[71:72], v[93:94], v[49:50]
	v_cvt_f64_f32_e32 v[67:68], v83
	v_cvt_f64_f32_e32 v[69:70], v87
	;; [unrolled: 1-line block ×3, first 2 shown]
	v_fma_f64 v[51:52], v[57:58], v[95:96], v[51:52]
	v_fma_f64 v[53:54], v[59:60], v[95:96], v[53:54]
	v_cvt_f64_f32_e32 v[57:58], v80
	v_fma_f64 v[55:56], v[61:62], v[95:96], v[55:56]
	v_fma_f64 v[49:50], v[63:64], v[95:96], v[49:50]
	v_cvt_f64_f32_e32 v[59:60], v84
	v_cvt_f64_f32_e32 v[61:62], v88
	;; [unrolled: 1-line block ×3, first 2 shown]
	s_waitcnt vmcnt(6)
	v_fma_f64 v[51:52], v[65:66], v[12:13], v[51:52]
	v_fma_f64 v[53:54], v[67:68], v[12:13], v[53:54]
	;; [unrolled: 1-line block ×4, first 2 shown]
	s_waitcnt vmcnt(5)
	v_cvt_f64_f32_e32 v[49:50], v16
	s_waitcnt vmcnt(4)
	v_cvt_f64_f32_e32 v[65:66], v28
	;; [unrolled: 2-line block ×4, first 2 shown]
	v_fma_f64 v[51:52], v[57:58], v[14:15], v[51:52]
	v_fma_f64 v[53:54], v[59:60], v[14:15], v[53:54]
	v_cvt_f64_f32_e32 v[57:58], v39
	v_fma_f64 v[55:56], v[61:62], v[14:15], v[55:56]
	v_fma_f64 v[12:13], v[63:64], v[14:15], v[12:13]
	v_cvt_f64_f32_e32 v[14:15], v17
	v_cvt_f64_f32_e32 v[16:17], v29
	;; [unrolled: 1-line block ×4, first 2 shown]
	s_waitcnt vmcnt(1)
	v_fma_f64 v[37:38], v[49:50], v[41:42], v[51:52]
	v_fma_f64 v[49:50], v[65:66], v[41:42], v[53:54]
	v_cvt_f64_f32_e32 v[53:54], v30
	v_fma_f64 v[51:52], v[67:68], v[41:42], v[55:56]
	v_fma_f64 v[12:13], v[69:70], v[41:42], v[12:13]
	v_cvt_f64_f32_e32 v[41:42], v18
	v_cvt_f64_f32_e32 v[55:56], v35
	;; [unrolled: 1-line block ×4, first 2 shown]
	v_fma_f64 v[14:15], v[14:15], v[43:44], v[37:38]
	v_fma_f64 v[16:17], v[16:17], v[43:44], v[49:50]
	;; [unrolled: 1-line block ×4, first 2 shown]
	v_cvt_f64_f32_e32 v[33:34], v36
	v_cvt_f64_f32_e32 v[35:36], v40
	s_waitcnt vmcnt(0)
	v_fma_f64 v[14:15], v[41:42], v[45:46], v[14:15]
	v_fma_f64 v[16:17], v[53:54], v[45:46], v[16:17]
	;; [unrolled: 1-line block ×4, first 2 shown]
	s_delay_alu instid0(VALU_DEP_4) | instskip(NEXT) | instid1(VALU_DEP_4)
	v_fma_f64 v[14:15], v[18:19], v[47:48], v[14:15]
	v_fma_f64 v[18:19], v[30:31], v[47:48], v[16:17]
	s_delay_alu instid0(VALU_DEP_4) | instskip(NEXT) | instid1(VALU_DEP_4)
	v_fma_f64 v[16:17], v[33:34], v[47:48], v[28:29]
	v_fma_f64 v[12:13], v[35:36], v[47:48], v[12:13]
	s_and_not1_b32 exec_lo, exec_lo, s10
	s_cbranch_execnz .LBB162_23
; %bb.24:
	s_or_b32 exec_lo, exec_lo, s10
.LBB162_25:
	s_delay_alu instid0(SALU_CYCLE_1)
	s_or_b32 exec_lo, exec_lo, s7
.LBB162_26:
	s_delay_alu instid0(SALU_CYCLE_1)
	s_or_b32 exec_lo, exec_lo, s6
	s_cbranch_execz .LBB162_28
	s_branch .LBB162_39
.LBB162_27:
                                        ; implicit-def: $vgpr12_vgpr13
                                        ; implicit-def: $vgpr16_vgpr17
                                        ; implicit-def: $vgpr18_vgpr19
                                        ; implicit-def: $vgpr14_vgpr15
.LBB162_28:
	v_mov_b32_e32 v12, 0
	v_mov_b32_e32 v13, 0
	s_delay_alu instid0(VALU_DEP_1)
	v_dual_mov_b32 v17, v13 :: v_dual_mov_b32 v16, v12
	v_dual_mov_b32 v19, v13 :: v_dual_mov_b32 v18, v12
	v_dual_mov_b32 v15, v13 :: v_dual_mov_b32 v14, v12
	s_and_saveexec_b32 s3, s2
	s_cbranch_execz .LBB162_38
; %bb.29:
	v_or_b32_e32 v12, 16, v32
	v_not_b32_e32 v15, v20
	v_not_b32_e32 v14, v21
	s_mov_b32 s7, 0
	s_mov_b32 s6, exec_lo
	v_sub_co_u32 v12, s2, v12, s12
	s_delay_alu instid0(VALU_DEP_1) | instskip(SKIP_1) | instid1(VALU_DEP_3)
	v_sub_co_ci_u32_e64 v13, null, 0, s15, s2
	v_sub_co_u32 v16, s2, s12, v32
	v_add_co_u32 v12, vcc_lo, v12, v20
	s_delay_alu instid0(VALU_DEP_3) | instskip(SKIP_1) | instid1(VALU_DEP_2)
	v_add_co_ci_u32_e32 v13, vcc_lo, v13, v21, vcc_lo
	v_sub_co_ci_u32_e64 v17, null, s15, 0, s2
	v_cmp_gt_i64_e32 vcc_lo, v[12:13], v[4:5]
	v_dual_cndmask_b32 v13, v5, v13 :: v_dual_cndmask_b32 v12, v4, v12
	v_add_co_u32 v15, vcc_lo, v16, v15
	s_delay_alu instid0(VALU_DEP_4) | instskip(NEXT) | instid1(VALU_DEP_2)
	v_add_co_ci_u32_e32 v14, vcc_lo, v17, v14, vcc_lo
	v_add_co_u32 v20, vcc_lo, v15, v12
	s_delay_alu instid0(VALU_DEP_2) | instskip(SKIP_1) | instid1(VALU_DEP_3)
	v_add_co_ci_u32_e32 v21, vcc_lo, v14, v13, vcc_lo
	v_mov_b32_e32 v14, 0
	v_lshrrev_b32_e32 v12, 4, v20
	s_delay_alu instid0(VALU_DEP_1) | instskip(NEXT) | instid1(VALU_DEP_1)
	v_dual_mov_b32 v15, 0 :: v_dual_add_nc_u32 v12, 1, v12
	v_dual_mov_b32 v19, v15 :: v_dual_mov_b32 v18, v14
	v_dual_mov_b32 v17, v15 :: v_dual_mov_b32 v16, v14
	s_delay_alu instid0(VALU_DEP_3) | instskip(SKIP_1) | instid1(VALU_DEP_2)
	v_and_b32_e32 v22, 3, v12
	v_dual_mov_b32 v12, v14 :: v_dual_mov_b32 v13, v15
	v_cmpx_ne_u32_e32 0, v22
	s_cbranch_execz .LBB162_33
; %bb.30:
	v_lshlrev_b64 v[14:15], 3, v[0:1]
	v_dual_mov_b32 v23, 0 :: v_dual_mov_b32 v12, 0
	v_dual_mov_b32 v13, 0 :: v_dual_lshlrev_b32 v22, 3, v22
	s_delay_alu instid0(VALU_DEP_3) | instskip(NEXT) | instid1(VALU_DEP_4)
	v_add_co_u32 v24, vcc_lo, s8, v14
	v_add_co_ci_u32_e32 v25, vcc_lo, s9, v15, vcc_lo
	s_delay_alu instid0(VALU_DEP_3)
	v_dual_mov_b32 v17, v13 :: v_dual_mov_b32 v16, v12
	v_dual_mov_b32 v19, v13 :: v_dual_mov_b32 v18, v12
	;; [unrolled: 1-line block ×3, first 2 shown]
.LBB162_31:                             ; =>This Inner Loop Header: Depth=1
	global_load_b64 v[30:31], v[24:25], off
	s_clause 0x1
	global_load_b128 v[26:29], v[6:7], off
	global_load_b128 v[33:36], v[6:7], off offset:16
	v_add_co_u32 v24, s2, 0x80, v24
	s_delay_alu instid0(VALU_DEP_1)
	v_add_co_ci_u32_e64 v25, s2, 0, v25, s2
	s_waitcnt vmcnt(2)
	v_sub_co_u32 v30, vcc_lo, v30, s12
	v_subrev_co_ci_u32_e32 v31, vcc_lo, s15, v31, vcc_lo
	s_waitcnt vmcnt(1)
	v_cvt_f64_f32_e32 v[53:54], v28
	v_cvt_f64_f32_e32 v[28:29], v29
	s_waitcnt vmcnt(0)
	v_cvt_f64_f32_e32 v[55:56], v33
	v_lshlrev_b64 v[30:31], 5, v[30:31]
	v_cvt_f64_f32_e32 v[33:34], v34
	v_cvt_f64_f32_e32 v[57:58], v35
	;; [unrolled: 1-line block ×3, first 2 shown]
	s_waitcnt lgkmcnt(0)
	s_delay_alu instid0(VALU_DEP_4)
	v_add_co_u32 v30, vcc_lo, s4, v30
	v_add_co_ci_u32_e32 v31, vcc_lo, s5, v31, vcc_lo
	s_clause 0x1
	global_load_b128 v[37:40], v[30:31], off
	global_load_b128 v[41:44], v[30:31], off offset:16
	s_clause 0x1
	global_load_b128 v[45:48], v[6:7], off offset:32
	global_load_b128 v[49:52], v[6:7], off offset:48
	v_cvt_f64_f32_e32 v[30:31], v26
	v_cvt_f64_f32_e32 v[26:27], v27
	v_add_co_u32 v6, vcc_lo, 0x400, v6
	v_add_co_ci_u32_e32 v7, vcc_lo, 0, v7, vcc_lo
	v_add_co_u32 v22, vcc_lo, v22, -8
	v_add_co_ci_u32_e32 v23, vcc_lo, -1, v23, vcc_lo
	v_add_co_u32 v0, vcc_lo, v0, 16
	v_add_co_ci_u32_e32 v1, vcc_lo, 0, v1, vcc_lo
	s_delay_alu instid0(VALU_DEP_3)
	v_cmp_eq_u64_e32 vcc_lo, 0, v[22:23]
	s_or_b32 s7, vcc_lo, s7
	s_waitcnt vmcnt(3)
	v_fma_f64 v[14:15], v[30:31], v[37:38], v[14:15]
	v_fma_f64 v[18:19], v[26:27], v[37:38], v[18:19]
	v_fma_f64 v[16:17], v[53:54], v[37:38], v[16:17]
	v_fma_f64 v[12:13], v[28:29], v[37:38], v[12:13]
	s_waitcnt vmcnt(1)
	v_cvt_f64_f32_e32 v[26:27], v45
	v_cvt_f64_f32_e32 v[28:29], v46
	;; [unrolled: 1-line block ×4, first 2 shown]
	s_waitcnt vmcnt(0)
	v_cvt_f64_f32_e32 v[45:46], v52
	v_fma_f64 v[14:15], v[55:56], v[39:40], v[14:15]
	v_fma_f64 v[18:19], v[33:34], v[39:40], v[18:19]
	;; [unrolled: 1-line block ×4, first 2 shown]
	v_cvt_f64_f32_e32 v[33:34], v49
	v_cvt_f64_f32_e32 v[35:36], v50
	;; [unrolled: 1-line block ×3, first 2 shown]
	v_fma_f64 v[14:15], v[26:27], v[41:42], v[14:15]
	v_fma_f64 v[18:19], v[28:29], v[41:42], v[18:19]
	;; [unrolled: 1-line block ×4, first 2 shown]
	s_delay_alu instid0(VALU_DEP_4) | instskip(NEXT) | instid1(VALU_DEP_4)
	v_fma_f64 v[14:15], v[33:34], v[43:44], v[14:15]
	v_fma_f64 v[18:19], v[35:36], v[43:44], v[18:19]
	s_delay_alu instid0(VALU_DEP_4) | instskip(NEXT) | instid1(VALU_DEP_4)
	v_fma_f64 v[16:17], v[39:40], v[43:44], v[16:17]
	v_fma_f64 v[12:13], v[45:46], v[43:44], v[12:13]
	s_and_not1_b32 exec_lo, exec_lo, s7
	s_cbranch_execnz .LBB162_31
; %bb.32:
	s_or_b32 exec_lo, exec_lo, s7
.LBB162_33:
	s_delay_alu instid0(SALU_CYCLE_1) | instskip(NEXT) | instid1(SALU_CYCLE_1)
	s_or_b32 exec_lo, exec_lo, s6
	s_mov_b32 s6, exec_lo
	v_cmpx_lt_u64_e32 47, v[20:21]
	s_cbranch_execz .LBB162_37
; %bb.34:
	v_lshlrev_b64 v[20:21], 3, v[0:1]
	s_mov_b32 s7, 0
	s_delay_alu instid0(VALU_DEP_1) | instskip(NEXT) | instid1(VALU_DEP_2)
	v_add_co_u32 v20, vcc_lo, v20, s8
	v_add_co_ci_u32_e32 v21, vcc_lo, s9, v21, vcc_lo
	s_delay_alu instid0(VALU_DEP_2) | instskip(NEXT) | instid1(VALU_DEP_2)
	v_add_co_u32 v20, vcc_lo, 0x100, v20
	v_add_co_ci_u32_e32 v21, vcc_lo, 0, v21, vcc_lo
.LBB162_35:                             ; =>This Inner Loop Header: Depth=1
	s_clause 0x1
	global_load_b64 v[30:31], v[20:21], off offset:-256
	global_load_b64 v[53:54], v[20:21], off offset:-128
	global_load_b128 v[22:25], v[6:7], off
	global_load_b64 v[77:78], v[20:21], off
	global_load_b128 v[26:29], v[6:7], off offset:16
	global_load_b64 v[81:82], v[20:21], off offset:128
	v_add_co_u32 v20, s2, 0x200, v20
	s_delay_alu instid0(VALU_DEP_1)
	v_add_co_ci_u32_e64 v21, s2, 0, v21, s2
	s_waitcnt vmcnt(5)
	v_sub_co_u32 v30, vcc_lo, v30, s12
	v_subrev_co_ci_u32_e32 v31, vcc_lo, s15, v31, vcc_lo
	s_waitcnt vmcnt(3)
	v_cvt_f64_f32_e32 v[83:84], v23
	v_cvt_f64_f32_e32 v[85:86], v24
	;; [unrolled: 1-line block ×3, first 2 shown]
	v_lshlrev_b64 v[30:31], 5, v[30:31]
	s_waitcnt vmcnt(1)
	v_cvt_f64_f32_e32 v[91:92], v26
	v_cvt_f64_f32_e32 v[26:27], v27
	;; [unrolled: 1-line block ×4, first 2 shown]
	s_waitcnt lgkmcnt(0)
	v_add_co_u32 v30, vcc_lo, s4, v30
	v_add_co_ci_u32_e32 v31, vcc_lo, s5, v31, vcc_lo
	global_load_b128 v[33:36], v[30:31], off
	s_clause 0x1
	global_load_b128 v[37:40], v[6:7], off offset:32
	global_load_b128 v[41:44], v[6:7], off offset:48
	;; [unrolled: 1-line block ×4, first 2 shown]
	v_sub_co_u32 v30, vcc_lo, v53, s12
	v_subrev_co_ci_u32_e32 v31, vcc_lo, s15, v54, vcc_lo
	s_delay_alu instid0(VALU_DEP_1) | instskip(NEXT) | instid1(VALU_DEP_1)
	v_lshlrev_b64 v[30:31], 5, v[30:31]
	v_add_co_u32 v30, vcc_lo, s4, v30
	s_delay_alu instid0(VALU_DEP_2)
	v_add_co_ci_u32_e32 v31, vcc_lo, s5, v31, vcc_lo
	global_load_b128 v[53:56], v[6:7], off offset:1040
	global_load_b128 v[57:60], v[30:31], off
	s_clause 0x1
	global_load_b128 v[61:64], v[6:7], off offset:1056
	global_load_b128 v[65:68], v[6:7], off offset:1072
	;; [unrolled: 1-line block ×4, first 2 shown]
	v_cvt_f64_f32_e32 v[30:31], v22
	v_sub_co_u32 v22, vcc_lo, v77, s12
	v_subrev_co_ci_u32_e32 v23, vcc_lo, s15, v78, vcc_lo
	s_delay_alu instid0(VALU_DEP_1) | instskip(NEXT) | instid1(VALU_DEP_1)
	v_lshlrev_b64 v[22:23], 5, v[22:23]
	v_add_co_u32 v89, vcc_lo, s4, v22
	s_delay_alu instid0(VALU_DEP_2)
	v_add_co_ci_u32_e32 v90, vcc_lo, s5, v23, vcc_lo
	global_load_b128 v[22:25], v[6:7], off offset:2064
	global_load_b128 v[77:80], v[89:90], off
	s_waitcnt vmcnt(13)
	v_sub_co_u32 v81, vcc_lo, v81, s12
	v_subrev_co_ci_u32_e32 v82, vcc_lo, s15, v82, vcc_lo
	s_waitcnt vmcnt(12)
	v_fma_f64 v[30:31], v[30:31], v[33:34], v[14:15]
	v_fma_f64 v[18:19], v[83:84], v[33:34], v[18:19]
	;; [unrolled: 1-line block ×4, first 2 shown]
	global_load_b128 v[12:15], v[6:7], off offset:2080
	s_waitcnt vmcnt(12)
	v_cvt_f64_f32_e32 v[83:84], v37
	v_cvt_f64_f32_e32 v[37:38], v38
	;; [unrolled: 1-line block ×4, first 2 shown]
	v_fma_f64 v[30:31], v[91:92], v[35:36], v[30:31]
	v_fma_f64 v[87:88], v[26:27], v[35:36], v[18:19]
	;; [unrolled: 1-line block ×4, first 2 shown]
	global_load_b128 v[16:19], v[6:7], off offset:2096
	global_load_b128 v[26:29], v[89:90], off offset:16
	s_waitcnt vmcnt(13)
	v_cvt_f64_f32_e32 v[89:90], v41
	v_cvt_f64_f32_e32 v[41:42], v42
	;; [unrolled: 1-line block ×4, first 2 shown]
	s_waitcnt vmcnt(12)
	v_fma_f64 v[30:31], v[83:84], v[45:46], v[30:31]
	v_fma_f64 v[37:38], v[37:38], v[45:46], v[87:88]
	;; [unrolled: 1-line block ×4, first 2 shown]
	global_load_b128 v[33:36], v[6:7], off offset:3072
	s_waitcnt vmcnt(12)
	v_cvt_f64_f32_e32 v[45:46], v49
	v_cvt_f64_f32_e32 v[49:50], v50
	;; [unrolled: 1-line block ×4, first 2 shown]
	s_waitcnt vmcnt(11)
	v_cvt_f64_f32_e32 v[91:92], v55
	v_cvt_f64_f32_e32 v[55:56], v56
	v_fma_f64 v[30:31], v[89:90], v[47:48], v[30:31]
	v_fma_f64 v[87:88], v[41:42], v[47:48], v[37:38]
	;; [unrolled: 1-line block ×4, first 2 shown]
	v_lshlrev_b64 v[37:38], 5, v[81:82]
	v_cvt_f64_f32_e32 v[89:90], v53
	v_cvt_f64_f32_e32 v[53:54], v54
	s_delay_alu instid0(VALU_DEP_3) | instskip(NEXT) | instid1(VALU_DEP_4)
	v_add_co_u32 v81, vcc_lo, s4, v37
	v_add_co_ci_u32_e32 v82, vcc_lo, s5, v38, vcc_lo
	global_load_b128 v[37:40], v[6:7], off offset:3088
	global_load_b128 v[41:44], v[81:82], off
	v_add_co_u32 v0, vcc_lo, v0, 64
	v_add_co_ci_u32_e32 v1, vcc_lo, 0, v1, vcc_lo
	s_waitcnt vmcnt(12)
	v_fma_f64 v[30:31], v[45:46], v[57:58], v[30:31]
	v_fma_f64 v[49:50], v[49:50], v[57:58], v[87:88]
	v_fma_f64 v[83:84], v[85:86], v[57:58], v[83:84]
	v_fma_f64 v[51:52], v[51:52], v[57:58], v[47:48]
	global_load_b128 v[45:48], v[6:7], off offset:3104
	s_waitcnt vmcnt(12)
	v_cvt_f64_f32_e32 v[57:58], v61
	v_cvt_f64_f32_e32 v[61:62], v62
	;; [unrolled: 1-line block ×4, first 2 shown]
	v_fma_f64 v[30:31], v[89:90], v[59:60], v[30:31]
	v_fma_f64 v[87:88], v[53:54], v[59:60], v[49:50]
	;; [unrolled: 1-line block ×4, first 2 shown]
	global_load_b128 v[49:52], v[6:7], off offset:3120
	global_load_b128 v[53:56], v[81:82], off offset:16
	s_waitcnt vmcnt(13)
	v_cvt_f64_f32_e32 v[81:82], v65
	v_cvt_f64_f32_e32 v[65:66], v66
	;; [unrolled: 1-line block ×4, first 2 shown]
	v_add_co_u32 v6, vcc_lo, 0x1000, v6
	v_add_co_ci_u32_e32 v7, vcc_lo, 0, v7, vcc_lo
	v_cmp_ge_i64_e32 vcc_lo, v[0:1], v[4:5]
	s_or_b32 s7, vcc_lo, s7
	s_waitcnt vmcnt(12)
	v_fma_f64 v[30:31], v[57:58], v[69:70], v[30:31]
	v_fma_f64 v[57:58], v[61:62], v[69:70], v[87:88]
	v_fma_f64 v[61:62], v[85:86], v[69:70], v[83:84]
	v_fma_f64 v[59:60], v[63:64], v[69:70], v[59:60]
	s_waitcnt vmcnt(11)
	v_cvt_f64_f32_e32 v[63:64], v73
	v_cvt_f64_f32_e32 v[69:70], v74
	v_cvt_f64_f32_e32 v[73:74], v75
	v_cvt_f64_f32_e32 v[75:76], v76
	v_fma_f64 v[30:31], v[81:82], v[71:72], v[30:31]
	v_fma_f64 v[57:58], v[65:66], v[71:72], v[57:58]
	v_fma_f64 v[61:62], v[89:90], v[71:72], v[61:62]
	v_fma_f64 v[59:60], v[67:68], v[71:72], v[59:60]
	s_waitcnt vmcnt(10)
	v_cvt_f64_f32_e32 v[65:66], v22
	v_cvt_f64_f32_e32 v[22:23], v23
	v_cvt_f64_f32_e32 v[67:68], v24
	v_cvt_f64_f32_e32 v[24:25], v25
	s_waitcnt vmcnt(9)
	v_fma_f64 v[30:31], v[63:64], v[77:78], v[30:31]
	v_fma_f64 v[57:58], v[69:70], v[77:78], v[57:58]
	v_fma_f64 v[61:62], v[73:74], v[77:78], v[61:62]
	v_fma_f64 v[59:60], v[75:76], v[77:78], v[59:60]
	s_waitcnt vmcnt(8)
	v_cvt_f64_f32_e32 v[63:64], v12
	v_cvt_f64_f32_e32 v[12:13], v13
	v_cvt_f64_f32_e32 v[69:70], v14
	v_cvt_f64_f32_e32 v[14:15], v15
	v_fma_f64 v[30:31], v[65:66], v[79:80], v[30:31]
	v_fma_f64 v[22:23], v[22:23], v[79:80], v[57:58]
	v_fma_f64 v[57:58], v[67:68], v[79:80], v[61:62]
	v_fma_f64 v[24:25], v[24:25], v[79:80], v[59:60]
	s_waitcnt vmcnt(7)
	v_cvt_f64_f32_e32 v[59:60], v16
	v_cvt_f64_f32_e32 v[16:17], v17
	v_cvt_f64_f32_e32 v[61:62], v18
	v_cvt_f64_f32_e32 v[18:19], v19
	;; [unrolled: 19-line block ×4, first 2 shown]
	s_waitcnt vmcnt(0)
	v_fma_f64 v[18:19], v[26:27], v[53:54], v[18:19]
	v_fma_f64 v[12:13], v[30:31], v[53:54], v[12:13]
	;; [unrolled: 1-line block ×4, first 2 shown]
	s_delay_alu instid0(VALU_DEP_4) | instskip(NEXT) | instid1(VALU_DEP_4)
	v_fma_f64 v[14:15], v[22:23], v[55:56], v[18:19]
	v_fma_f64 v[18:19], v[24:25], v[55:56], v[12:13]
	s_delay_alu instid0(VALU_DEP_4) | instskip(NEXT) | instid1(VALU_DEP_4)
	v_fma_f64 v[16:17], v[28:29], v[55:56], v[16:17]
	v_fma_f64 v[12:13], v[37:38], v[55:56], v[26:27]
	s_and_not1_b32 exec_lo, exec_lo, s7
	s_cbranch_execnz .LBB162_35
; %bb.36:
	s_or_b32 exec_lo, exec_lo, s7
.LBB162_37:
	s_delay_alu instid0(SALU_CYCLE_1)
	s_or_b32 exec_lo, exec_lo, s6
.LBB162_38:
	s_delay_alu instid0(SALU_CYCLE_1)
	s_or_b32 exec_lo, exec_lo, s3
.LBB162_39:
	v_mbcnt_lo_u32_b32 v24, -1, 0
	s_delay_alu instid0(VALU_DEP_1) | instskip(NEXT) | instid1(VALU_DEP_1)
	v_xor_b32_e32 v0, 8, v24
	v_cmp_gt_i32_e32 vcc_lo, 32, v0
	v_cndmask_b32_e32 v0, v24, v0, vcc_lo
	s_delay_alu instid0(VALU_DEP_1)
	v_lshlrev_b32_e32 v21, 2, v0
	ds_bpermute_b32 v0, v21, v14
	ds_bpermute_b32 v1, v21, v15
	s_waitcnt lgkmcnt(0)
	v_add_f64 v[0:1], v[14:15], v[0:1]
	v_xor_b32_e32 v14, 4, v24
	s_delay_alu instid0(VALU_DEP_1)
	v_cmp_gt_i32_e32 vcc_lo, 32, v14
	v_cndmask_b32_e32 v14, v24, v14, vcc_lo
	ds_bpermute_b32 v4, v21, v18
	ds_bpermute_b32 v5, v21, v19
	;; [unrolled: 1-line block ×6, first 2 shown]
	s_waitcnt lgkmcnt(4)
	v_add_f64 v[4:5], v[18:19], v[4:5]
	s_waitcnt lgkmcnt(2)
	v_add_f64 v[6:7], v[16:17], v[6:7]
	;; [unrolled: 2-line block ×3, first 2 shown]
	v_lshlrev_b32_e32 v21, 2, v14
	ds_bpermute_b32 v14, v21, v0
	ds_bpermute_b32 v15, v21, v1
	s_waitcnt lgkmcnt(0)
	v_add_f64 v[0:1], v[0:1], v[14:15]
	ds_bpermute_b32 v16, v21, v4
	ds_bpermute_b32 v17, v21, v5
	ds_bpermute_b32 v18, v21, v6
	ds_bpermute_b32 v19, v21, v7
	ds_bpermute_b32 v20, v21, v12
	ds_bpermute_b32 v21, v21, v13
	s_waitcnt lgkmcnt(4)
	v_add_f64 v[4:5], v[4:5], v[16:17]
	s_waitcnt lgkmcnt(2)
	v_add_f64 v[14:15], v[6:7], v[18:19]
	v_xor_b32_e32 v6, 2, v24
	s_waitcnt lgkmcnt(0)
	v_add_f64 v[16:17], v[12:13], v[20:21]
	s_delay_alu instid0(VALU_DEP_2) | instskip(SKIP_1) | instid1(VALU_DEP_1)
	v_cmp_gt_i32_e32 vcc_lo, 32, v6
	v_cndmask_b32_e32 v6, v24, v6, vcc_lo
	v_lshlrev_b32_e32 v12, 2, v6
	ds_bpermute_b32 v6, v12, v0
	ds_bpermute_b32 v7, v12, v1
	;; [unrolled: 1-line block ×8, first 2 shown]
	s_waitcnt lgkmcnt(6)
	v_add_f64 v[12:13], v[0:1], v[6:7]
	s_waitcnt lgkmcnt(4)
	v_add_f64 v[6:7], v[4:5], v[18:19]
	;; [unrolled: 2-line block ×3, first 2 shown]
	v_xor_b32_e32 v14, 1, v24
	s_waitcnt lgkmcnt(0)
	v_add_f64 v[4:5], v[16:17], v[22:23]
	s_delay_alu instid0(VALU_DEP_2) | instskip(SKIP_2) | instid1(VALU_DEP_2)
	v_cmp_gt_i32_e32 vcc_lo, 32, v14
	v_cndmask_b32_e32 v14, v24, v14, vcc_lo
	v_cmp_eq_u32_e32 vcc_lo, 15, v32
	v_lshlrev_b32_e32 v15, 2, v14
	ds_bpermute_b32 v20, v15, v12
	ds_bpermute_b32 v21, v15, v13
	;; [unrolled: 1-line block ×8, first 2 shown]
	s_and_b32 exec_lo, exec_lo, vcc_lo
	s_cbranch_execz .LBB162_10
; %bb.40:
	s_waitcnt lgkmcnt(6)
	v_add_f64 v[12:13], v[12:13], v[20:21]
	s_waitcnt lgkmcnt(4)
	v_add_f64 v[6:7], v[6:7], v[18:19]
	;; [unrolled: 2-line block ×4, first 2 shown]
	s_load_b64 s[0:1], s[0:1], 0x58
	v_lshlrev_b64 v[10:11], 5, v[10:11]
	s_mov_b32 s2, exec_lo
	v_mul_f64 v[4:5], v[2:3], v[12:13]
	v_mul_f64 v[6:7], v[2:3], v[6:7]
	;; [unrolled: 1-line block ×4, first 2 shown]
	v_cmpx_eq_f64_e32 0, v[8:9]
	s_xor_b32 s2, exec_lo, s2
	s_cbranch_execz .LBB162_42
; %bb.41:
	s_waitcnt lgkmcnt(0)
	v_add_co_u32 v8, vcc_lo, s0, v10
	v_add_co_ci_u32_e32 v9, vcc_lo, s1, v11, vcc_lo
                                        ; implicit-def: $vgpr10_vgpr11
	s_clause 0x1
	global_store_b128 v[8:9], v[4:7], off
	global_store_b128 v[8:9], v[0:3], off offset:16
                                        ; implicit-def: $vgpr8_vgpr9
                                        ; implicit-def: $vgpr4_vgpr5
                                        ; implicit-def: $vgpr0_vgpr1
.LBB162_42:
	s_and_not1_saveexec_b32 s2, s2
	s_cbranch_execz .LBB162_10
; %bb.43:
	s_waitcnt lgkmcnt(0)
	v_add_co_u32 v18, vcc_lo, s0, v10
	v_add_co_ci_u32_e32 v19, vcc_lo, s1, v11, vcc_lo
	s_clause 0x1
	global_load_b128 v[10:13], v[18:19], off
	global_load_b128 v[14:17], v[18:19], off offset:16
	s_waitcnt vmcnt(1)
	v_fma_f64 v[4:5], v[8:9], v[10:11], v[4:5]
	v_fma_f64 v[6:7], v[8:9], v[12:13], v[6:7]
	s_waitcnt vmcnt(0)
	v_fma_f64 v[0:1], v[8:9], v[14:15], v[0:1]
	v_fma_f64 v[2:3], v[8:9], v[16:17], v[2:3]
	s_clause 0x1
	global_store_b128 v[18:19], v[4:7], off
	global_store_b128 v[18:19], v[0:3], off offset:16
	s_nop 0
	s_sendmsg sendmsg(MSG_DEALLOC_VGPRS)
	s_endpgm
	.section	.rodata,"a",@progbits
	.p2align	6, 0x0
	.amdhsa_kernel _ZN9rocsparseL18bsrxmvn_4x4_kernelILj128ELj16EdllfddEEvT3_20rocsparse_direction_NS_24const_host_device_scalarIT1_EES1_PKS1_PKT2_SA_S7_PKT4_PKT5_S5_PT6_21rocsparse_index_base_b
		.amdhsa_group_segment_fixed_size 0
		.amdhsa_private_segment_fixed_size 0
		.amdhsa_kernarg_size 104
		.amdhsa_user_sgpr_count 15
		.amdhsa_user_sgpr_dispatch_ptr 0
		.amdhsa_user_sgpr_queue_ptr 0
		.amdhsa_user_sgpr_kernarg_segment_ptr 1
		.amdhsa_user_sgpr_dispatch_id 0
		.amdhsa_user_sgpr_private_segment_size 0
		.amdhsa_wavefront_size32 1
		.amdhsa_uses_dynamic_stack 0
		.amdhsa_enable_private_segment 0
		.amdhsa_system_sgpr_workgroup_id_x 1
		.amdhsa_system_sgpr_workgroup_id_y 0
		.amdhsa_system_sgpr_workgroup_id_z 0
		.amdhsa_system_sgpr_workgroup_info 0
		.amdhsa_system_vgpr_workitem_id 0
		.amdhsa_next_free_vgpr 113
		.amdhsa_next_free_sgpr 16
		.amdhsa_reserve_vcc 1
		.amdhsa_float_round_mode_32 0
		.amdhsa_float_round_mode_16_64 0
		.amdhsa_float_denorm_mode_32 3
		.amdhsa_float_denorm_mode_16_64 3
		.amdhsa_dx10_clamp 1
		.amdhsa_ieee_mode 1
		.amdhsa_fp16_overflow 0
		.amdhsa_workgroup_processor_mode 1
		.amdhsa_memory_ordered 1
		.amdhsa_forward_progress 0
		.amdhsa_shared_vgpr_count 0
		.amdhsa_exception_fp_ieee_invalid_op 0
		.amdhsa_exception_fp_denorm_src 0
		.amdhsa_exception_fp_ieee_div_zero 0
		.amdhsa_exception_fp_ieee_overflow 0
		.amdhsa_exception_fp_ieee_underflow 0
		.amdhsa_exception_fp_ieee_inexact 0
		.amdhsa_exception_int_div_zero 0
	.end_amdhsa_kernel
	.section	.text._ZN9rocsparseL18bsrxmvn_4x4_kernelILj128ELj16EdllfddEEvT3_20rocsparse_direction_NS_24const_host_device_scalarIT1_EES1_PKS1_PKT2_SA_S7_PKT4_PKT5_S5_PT6_21rocsparse_index_base_b,"axG",@progbits,_ZN9rocsparseL18bsrxmvn_4x4_kernelILj128ELj16EdllfddEEvT3_20rocsparse_direction_NS_24const_host_device_scalarIT1_EES1_PKS1_PKT2_SA_S7_PKT4_PKT5_S5_PT6_21rocsparse_index_base_b,comdat
.Lfunc_end162:
	.size	_ZN9rocsparseL18bsrxmvn_4x4_kernelILj128ELj16EdllfddEEvT3_20rocsparse_direction_NS_24const_host_device_scalarIT1_EES1_PKS1_PKT2_SA_S7_PKT4_PKT5_S5_PT6_21rocsparse_index_base_b, .Lfunc_end162-_ZN9rocsparseL18bsrxmvn_4x4_kernelILj128ELj16EdllfddEEvT3_20rocsparse_direction_NS_24const_host_device_scalarIT1_EES1_PKS1_PKT2_SA_S7_PKT4_PKT5_S5_PT6_21rocsparse_index_base_b
                                        ; -- End function
	.section	.AMDGPU.csdata,"",@progbits
; Kernel info:
; codeLenInByte = 5632
; NumSgprs: 18
; NumVgprs: 113
; ScratchSize: 0
; MemoryBound: 0
; FloatMode: 240
; IeeeMode: 1
; LDSByteSize: 0 bytes/workgroup (compile time only)
; SGPRBlocks: 2
; VGPRBlocks: 14
; NumSGPRsForWavesPerEU: 18
; NumVGPRsForWavesPerEU: 113
; Occupancy: 12
; WaveLimiterHint : 1
; COMPUTE_PGM_RSRC2:SCRATCH_EN: 0
; COMPUTE_PGM_RSRC2:USER_SGPR: 15
; COMPUTE_PGM_RSRC2:TRAP_HANDLER: 0
; COMPUTE_PGM_RSRC2:TGID_X_EN: 1
; COMPUTE_PGM_RSRC2:TGID_Y_EN: 0
; COMPUTE_PGM_RSRC2:TGID_Z_EN: 0
; COMPUTE_PGM_RSRC2:TIDIG_COMP_CNT: 0
	.section	.text._ZN9rocsparseL18bsrxmvn_4x4_kernelILj128ELj32EdllfddEEvT3_20rocsparse_direction_NS_24const_host_device_scalarIT1_EES1_PKS1_PKT2_SA_S7_PKT4_PKT5_S5_PT6_21rocsparse_index_base_b,"axG",@progbits,_ZN9rocsparseL18bsrxmvn_4x4_kernelILj128ELj32EdllfddEEvT3_20rocsparse_direction_NS_24const_host_device_scalarIT1_EES1_PKS1_PKT2_SA_S7_PKT4_PKT5_S5_PT6_21rocsparse_index_base_b,comdat
	.globl	_ZN9rocsparseL18bsrxmvn_4x4_kernelILj128ELj32EdllfddEEvT3_20rocsparse_direction_NS_24const_host_device_scalarIT1_EES1_PKS1_PKT2_SA_S7_PKT4_PKT5_S5_PT6_21rocsparse_index_base_b ; -- Begin function _ZN9rocsparseL18bsrxmvn_4x4_kernelILj128ELj32EdllfddEEvT3_20rocsparse_direction_NS_24const_host_device_scalarIT1_EES1_PKS1_PKT2_SA_S7_PKT4_PKT5_S5_PT6_21rocsparse_index_base_b
	.p2align	8
	.type	_ZN9rocsparseL18bsrxmvn_4x4_kernelILj128ELj32EdllfddEEvT3_20rocsparse_direction_NS_24const_host_device_scalarIT1_EES1_PKS1_PKT2_SA_S7_PKT4_PKT5_S5_PT6_21rocsparse_index_base_b,@function
_ZN9rocsparseL18bsrxmvn_4x4_kernelILj128ELj32EdllfddEEvT3_20rocsparse_direction_NS_24const_host_device_scalarIT1_EES1_PKS1_PKT2_SA_S7_PKT4_PKT5_S5_PT6_21rocsparse_index_base_b: ; @_ZN9rocsparseL18bsrxmvn_4x4_kernelILj128ELj32EdllfddEEvT3_20rocsparse_direction_NS_24const_host_device_scalarIT1_EES1_PKS1_PKT2_SA_S7_PKT4_PKT5_S5_PT6_21rocsparse_index_base_b
; %bb.0:
	s_clause 0x2
	s_load_b64 s[12:13], s[0:1], 0x60
	s_load_b128 s[4:7], s[0:1], 0x10
	s_load_b64 s[2:3], s[0:1], 0x50
	s_waitcnt lgkmcnt(0)
	s_bitcmp1_b32 s13, 0
	v_dual_mov_b32 v2, s4 :: v_dual_mov_b32 v3, s5
	s_cselect_b32 s8, -1, 0
	s_delay_alu instid0(SALU_CYCLE_1)
	s_and_b32 vcc_lo, exec_lo, s8
	s_xor_b32 s8, s8, -1
	s_cbranch_vccnz .LBB163_2
; %bb.1:
	v_dual_mov_b32 v1, s4 :: v_dual_mov_b32 v2, s5
	flat_load_b64 v[2:3], v[1:2]
.LBB163_2:
	v_dual_mov_b32 v9, s3 :: v_dual_mov_b32 v8, s2
	s_and_not1_b32 vcc_lo, exec_lo, s8
	s_cbranch_vccnz .LBB163_4
; %bb.3:
	v_dual_mov_b32 v5, s3 :: v_dual_mov_b32 v4, s2
	flat_load_b64 v[8:9], v[4:5]
.LBB163_4:
	s_waitcnt vmcnt(0) lgkmcnt(0)
	v_cmp_neq_f64_e32 vcc_lo, 0, v[2:3]
	v_cmp_neq_f64_e64 s2, 1.0, v[8:9]
	s_delay_alu instid0(VALU_DEP_1) | instskip(NEXT) | instid1(SALU_CYCLE_1)
	s_or_b32 s2, vcc_lo, s2
	s_and_saveexec_b32 s3, s2
	s_cbranch_execz .LBB163_10
; %bb.5:
	s_load_b64 s[2:3], s[0:1], 0x20
	v_lshrrev_b32_e32 v1, 5, v0
	v_mov_b32_e32 v5, 0
	s_mov_b32 s4, 0
	s_delay_alu instid0(VALU_DEP_2)
	v_lshl_or_b32 v4, s15, 2, v1
	s_waitcnt lgkmcnt(0)
	s_cmp_lg_u64 s[2:3], 0
	s_cbranch_scc0 .LBB163_11
; %bb.6:
	s_delay_alu instid0(VALU_DEP_1) | instskip(SKIP_2) | instid1(SALU_CYCLE_1)
	v_cmp_gt_i64_e32 vcc_lo, s[6:7], v[4:5]
	s_mov_b32 s5, 0
                                        ; implicit-def: $vgpr10_vgpr11
	s_and_saveexec_b32 s6, vcc_lo
	s_xor_b32 s6, exec_lo, s6
                                        ; implicit-def: $sgpr14_sgpr15
	s_cbranch_execz .LBB163_8
; %bb.7:
	v_lshlrev_b64 v[6:7], 3, v[4:5]
	s_mov_b32 s4, exec_lo
	s_mov_b32 s15, 0
	s_delay_alu instid0(VALU_DEP_1) | instskip(NEXT) | instid1(VALU_DEP_2)
	v_add_co_u32 v6, vcc_lo, s2, v6
	v_add_co_ci_u32_e32 v7, vcc_lo, s3, v7, vcc_lo
	global_load_b64 v[6:7], v[6:7], off
	s_waitcnt vmcnt(0)
	v_sub_co_u32 v10, vcc_lo, v6, s12
	v_subrev_co_ci_u32_e32 v11, vcc_lo, 0, v7, vcc_lo
.LBB163_8:
	s_or_b32 exec_lo, exec_lo, s6
	s_delay_alu instid0(SALU_CYCLE_1)
	s_and_b32 vcc_lo, exec_lo, s5
	s_cbranch_vccnz .LBB163_12
.LBB163_9:
	s_and_b32 exec_lo, exec_lo, s4
	s_cbranch_execnz .LBB163_15
.LBB163_10:
	s_nop 0
	s_sendmsg sendmsg(MSG_DEALLOC_VGPRS)
	s_endpgm
.LBB163_11:
                                        ; implicit-def: $vgpr10_vgpr11
                                        ; implicit-def: $sgpr14_sgpr15
	s_cbranch_execz .LBB163_9
.LBB163_12:
	s_load_b64 s[2:3], s[0:1], 0x0
                                        ; implicit-def: $vgpr10_vgpr11
	s_waitcnt lgkmcnt(0)
	v_cmp_gt_i64_e32 vcc_lo, s[2:3], v[4:5]
	s_and_saveexec_b32 s2, vcc_lo
                                        ; implicit-def: $sgpr14_sgpr15
; %bb.13:
	v_dual_mov_b32 v11, v5 :: v_dual_mov_b32 v10, v4
	s_mov_b32 s15, 0
	s_or_b32 s4, s4, exec_lo
; %bb.14:
	s_or_b32 exec_lo, exec_lo, s2
	s_delay_alu instid0(SALU_CYCLE_1)
	s_and_b32 exec_lo, exec_lo, s4
	s_cbranch_execz .LBB163_10
.LBB163_15:
	s_load_b256 s[4:11], s[0:1], 0x28
	v_lshlrev_b64 v[4:5], 3, v[10:11]
	v_and_b32_e32 v32, 31, v0
	s_load_b32 s3, s[0:1], 0x8
	s_waitcnt lgkmcnt(0)
	s_delay_alu instid0(VALU_DEP_2) | instskip(NEXT) | instid1(VALU_DEP_3)
	v_add_co_u32 v6, vcc_lo, s4, v4
	v_add_co_ci_u32_e32 v7, vcc_lo, s5, v5, vcc_lo
	v_add_co_u32 v1, vcc_lo, s6, v4
	v_add_co_ci_u32_e32 v4, vcc_lo, s7, v5, vcc_lo
	s_delay_alu instid0(VALU_DEP_4)
	v_add_co_u32 v12, vcc_lo, v6, 8
	global_load_b64 v[20:21], v[6:7], off
	v_add_co_ci_u32_e32 v5, vcc_lo, 0, v7, vcc_lo
	s_cmp_eq_u64 s[6:7], 0
	s_load_b64 s[4:5], s[0:1], 0x48
	s_cselect_b32 vcc_lo, -1, 0
	s_cmp_eq_u32 s3, 1
	v_dual_cndmask_b32 v5, v4, v5 :: v_dual_cndmask_b32 v4, v1, v12
	global_load_b64 v[4:5], v[4:5], off
	s_waitcnt vmcnt(1)
	v_sub_co_u32 v0, vcc_lo, v20, s12
	v_subrev_co_ci_u32_e32 v1, vcc_lo, s15, v21, vcc_lo
	s_delay_alu instid0(VALU_DEP_2) | instskip(NEXT) | instid1(VALU_DEP_2)
	v_add_co_u32 v0, vcc_lo, v0, v32
	v_add_co_ci_u32_e32 v1, vcc_lo, 0, v1, vcc_lo
	s_delay_alu instid0(VALU_DEP_1) | instskip(SKIP_3) | instid1(VALU_DEP_3)
	v_lshlrev_b64 v[6:7], 6, v[0:1]
	s_waitcnt vmcnt(0)
	v_sub_co_u32 v4, vcc_lo, v4, s12
	v_subrev_co_ci_u32_e32 v5, vcc_lo, s15, v5, vcc_lo
	v_add_co_u32 v6, vcc_lo, s10, v6
	s_delay_alu instid0(VALU_DEP_2)
	v_cmp_lt_i64_e64 s2, v[0:1], v[4:5]
	v_add_co_ci_u32_e32 v7, vcc_lo, s11, v7, vcc_lo
	s_cbranch_scc1 .LBB163_27
; %bb.16:
	v_mov_b32_e32 v12, 0
	v_mov_b32_e32 v13, 0
	s_delay_alu instid0(VALU_DEP_1)
	v_dual_mov_b32 v17, v13 :: v_dual_mov_b32 v16, v12
	v_dual_mov_b32 v19, v13 :: v_dual_mov_b32 v18, v12
	;; [unrolled: 1-line block ×3, first 2 shown]
	s_and_saveexec_b32 s6, s2
	s_cbranch_execz .LBB163_26
; %bb.17:
	v_or_b32_e32 v12, 32, v32
	v_not_b32_e32 v15, v20
	v_not_b32_e32 v14, v21
	s_mov_b32 s10, 0
	s_mov_b32 s7, exec_lo
	v_sub_co_u32 v12, s3, v12, s12
	s_delay_alu instid0(VALU_DEP_1) | instskip(SKIP_1) | instid1(VALU_DEP_3)
	v_sub_co_ci_u32_e64 v13, null, 0, s15, s3
	v_sub_co_u32 v16, s3, s12, v32
	v_add_co_u32 v12, vcc_lo, v12, v20
	s_delay_alu instid0(VALU_DEP_3) | instskip(SKIP_2) | instid1(VALU_DEP_3)
	v_add_co_ci_u32_e32 v13, vcc_lo, v13, v21, vcc_lo
	v_sub_co_ci_u32_e64 v17, null, s15, 0, s3
	v_mov_b32_e32 v23, v1
	v_cmp_gt_i64_e32 vcc_lo, v[12:13], v[4:5]
	v_dual_mov_b32 v25, v7 :: v_dual_mov_b32 v24, v6
	v_dual_cndmask_b32 v13, v5, v13 :: v_dual_cndmask_b32 v12, v4, v12
	v_add_co_u32 v15, vcc_lo, v16, v15
	v_add_co_ci_u32_e32 v14, vcc_lo, v17, v14, vcc_lo
	s_delay_alu instid0(VALU_DEP_2) | instskip(NEXT) | instid1(VALU_DEP_2)
	v_add_co_u32 v26, vcc_lo, v15, v12
	v_add_co_ci_u32_e32 v27, vcc_lo, v14, v13, vcc_lo
	v_mov_b32_e32 v14, 0
	s_delay_alu instid0(VALU_DEP_3) | instskip(SKIP_1) | instid1(VALU_DEP_1)
	v_lshrrev_b32_e32 v12, 5, v26
	v_dual_mov_b32 v15, 0 :: v_dual_mov_b32 v22, v0
	v_dual_mov_b32 v17, v15 :: v_dual_add_nc_u32 v12, 1, v12
	s_delay_alu instid0(VALU_DEP_4) | instskip(SKIP_1) | instid1(VALU_DEP_3)
	v_dual_mov_b32 v19, v15 :: v_dual_mov_b32 v16, v14
	v_mov_b32_e32 v18, v14
	v_and_b32_e32 v28, 3, v12
	v_dual_mov_b32 v12, v14 :: v_dual_mov_b32 v13, v15
	s_delay_alu instid0(VALU_DEP_2)
	v_cmpx_ne_u32_e32 0, v28
	s_cbranch_execz .LBB163_21
; %bb.18:
	v_lshlrev_b64 v[14:15], 3, v[0:1]
	v_dual_mov_b32 v29, 0 :: v_dual_mov_b32 v12, 0
	v_dual_mov_b32 v13, 0 :: v_dual_lshlrev_b32 v28, 3, v28
	v_dual_mov_b32 v25, v7 :: v_dual_mov_b32 v24, v6
	s_delay_alu instid0(VALU_DEP_4)
	v_add_co_u32 v30, vcc_lo, s8, v14
	v_add_co_ci_u32_e32 v31, vcc_lo, s9, v15, vcc_lo
	v_dual_mov_b32 v23, v1 :: v_dual_mov_b32 v22, v0
	v_dual_mov_b32 v17, v13 :: v_dual_mov_b32 v16, v12
	;; [unrolled: 1-line block ×4, first 2 shown]
.LBB163_19:                             ; =>This Inner Loop Header: Depth=1
	global_load_b64 v[49:50], v[30:31], off
	s_clause 0x3
	global_load_b128 v[33:36], v[24:25], off
	global_load_b128 v[37:40], v[24:25], off offset:16
	global_load_b128 v[41:44], v[24:25], off offset:32
	;; [unrolled: 1-line block ×3, first 2 shown]
	v_add_co_u32 v30, s3, 0x100, v30
	s_delay_alu instid0(VALU_DEP_1)
	v_add_co_ci_u32_e64 v31, s3, 0, v31, s3
	s_waitcnt vmcnt(4)
	v_sub_co_u32 v49, vcc_lo, v49, s12
	v_subrev_co_ci_u32_e32 v50, vcc_lo, s15, v50, vcc_lo
	s_waitcnt vmcnt(3)
	v_cvt_f64_f32_e32 v[57:58], v33
	s_waitcnt vmcnt(2)
	v_cvt_f64_f32_e32 v[59:60], v37
	;; [unrolled: 2-line block ×3, first 2 shown]
	v_lshlrev_b64 v[49:50], 5, v[49:50]
	s_waitcnt vmcnt(0)
	v_cvt_f64_f32_e32 v[63:64], v45
	v_cvt_f64_f32_e32 v[33:34], v34
	;; [unrolled: 1-line block ×5, first 2 shown]
	s_waitcnt lgkmcnt(0)
	v_add_co_u32 v53, vcc_lo, s4, v49
	v_add_co_ci_u32_e32 v54, vcc_lo, s5, v50, vcc_lo
	v_add_co_u32 v24, vcc_lo, 0x800, v24
	v_add_co_ci_u32_e32 v25, vcc_lo, 0, v25, vcc_lo
	s_clause 0x1
	global_load_b128 v[49:52], v[53:54], off
	global_load_b128 v[53:56], v[53:54], off offset:16
	v_add_co_u32 v28, vcc_lo, v28, -8
	v_add_co_ci_u32_e32 v29, vcc_lo, -1, v29, vcc_lo
	v_add_co_u32 v22, vcc_lo, v22, 32
	v_add_co_ci_u32_e32 v23, vcc_lo, 0, v23, vcc_lo
	s_delay_alu instid0(VALU_DEP_3)
	v_cmp_eq_u64_e32 vcc_lo, 0, v[28:29]
	s_or_b32 s10, vcc_lo, s10
	s_waitcnt vmcnt(1)
	v_fma_f64 v[14:15], v[57:58], v[49:50], v[14:15]
	v_fma_f64 v[18:19], v[59:60], v[49:50], v[18:19]
	;; [unrolled: 1-line block ×4, first 2 shown]
	v_cvt_f64_f32_e32 v[49:50], v35
	v_cvt_f64_f32_e32 v[57:58], v39
	;; [unrolled: 1-line block ×4, first 2 shown]
	v_fma_f64 v[14:15], v[33:34], v[51:52], v[14:15]
	v_fma_f64 v[18:19], v[37:38], v[51:52], v[18:19]
	;; [unrolled: 1-line block ×4, first 2 shown]
	v_cvt_f64_f32_e32 v[33:34], v36
	v_cvt_f64_f32_e32 v[35:36], v40
	;; [unrolled: 1-line block ×4, first 2 shown]
	s_waitcnt vmcnt(0)
	v_fma_f64 v[14:15], v[49:50], v[53:54], v[14:15]
	v_fma_f64 v[18:19], v[57:58], v[53:54], v[18:19]
	;; [unrolled: 1-line block ×4, first 2 shown]
	s_delay_alu instid0(VALU_DEP_4) | instskip(NEXT) | instid1(VALU_DEP_4)
	v_fma_f64 v[14:15], v[33:34], v[55:56], v[14:15]
	v_fma_f64 v[18:19], v[35:36], v[55:56], v[18:19]
	s_delay_alu instid0(VALU_DEP_4) | instskip(NEXT) | instid1(VALU_DEP_4)
	v_fma_f64 v[16:17], v[37:38], v[55:56], v[16:17]
	v_fma_f64 v[12:13], v[39:40], v[55:56], v[12:13]
	s_and_not1_b32 exec_lo, exec_lo, s10
	s_cbranch_execnz .LBB163_19
; %bb.20:
	s_or_b32 exec_lo, exec_lo, s10
.LBB163_21:
	s_delay_alu instid0(SALU_CYCLE_1) | instskip(NEXT) | instid1(SALU_CYCLE_1)
	s_or_b32 exec_lo, exec_lo, s7
	s_mov_b32 s7, exec_lo
	v_cmpx_lt_u64_e32 0x5f, v[26:27]
	s_cbranch_execz .LBB163_25
; %bb.22:
	v_lshlrev_b64 v[26:27], 3, v[22:23]
	s_mov_b32 s10, 0
	s_delay_alu instid0(VALU_DEP_1) | instskip(NEXT) | instid1(VALU_DEP_2)
	v_add_co_u32 v26, vcc_lo, v26, s8
	v_add_co_ci_u32_e32 v27, vcc_lo, s9, v27, vcc_lo
	s_delay_alu instid0(VALU_DEP_2) | instskip(NEXT) | instid1(VALU_DEP_2)
	v_add_co_u32 v26, vcc_lo, 0x200, v26
	v_add_co_ci_u32_e32 v27, vcc_lo, 0, v27, vcc_lo
.LBB163_23:                             ; =>This Inner Loop Header: Depth=1
	s_clause 0x1
	global_load_b64 v[45:46], v[26:27], off offset:-512
	global_load_b64 v[69:70], v[26:27], off offset:-256
	s_clause 0x3
	global_load_b128 v[28:31], v[24:25], off
	global_load_b128 v[33:36], v[24:25], off offset:16
	global_load_b128 v[37:40], v[24:25], off offset:32
	;; [unrolled: 1-line block ×3, first 2 shown]
	s_clause 0x1
	global_load_b64 v[93:94], v[26:27], off
	global_load_b64 v[97:98], v[26:27], off offset:256
	s_waitcnt vmcnt(7)
	v_sub_co_u32 v45, vcc_lo, v45, s12
	v_subrev_co_ci_u32_e32 v46, vcc_lo, s15, v46, vcc_lo
	s_waitcnt vmcnt(5)
	v_cvt_f64_f32_e32 v[101:102], v28
	s_waitcnt vmcnt(4)
	v_cvt_f64_f32_e32 v[103:104], v33
	;; [unrolled: 2-line block ×3, first 2 shown]
	v_lshlrev_b64 v[45:46], 5, v[45:46]
	s_waitcnt vmcnt(2)
	v_cvt_f64_f32_e32 v[107:108], v41
	v_cvt_f64_f32_e32 v[28:29], v29
	;; [unrolled: 1-line block ×5, first 2 shown]
	s_waitcnt lgkmcnt(0)
	v_add_co_u32 v49, vcc_lo, s4, v45
	v_add_co_ci_u32_e32 v50, vcc_lo, s5, v46, vcc_lo
	v_sub_co_u32 v69, vcc_lo, v69, s12
	v_subrev_co_ci_u32_e32 v70, vcc_lo, s15, v70, vcc_lo
	s_clause 0x1
	global_load_b128 v[45:48], v[49:50], off
	global_load_b128 v[49:52], v[49:50], off offset:16
	s_clause 0x3
	global_load_b128 v[53:56], v[24:25], off offset:2048
	global_load_b128 v[57:60], v[24:25], off offset:2064
	;; [unrolled: 1-line block ×4, first 2 shown]
	v_lshlrev_b64 v[69:70], 5, v[69:70]
	s_delay_alu instid0(VALU_DEP_1) | instskip(NEXT) | instid1(VALU_DEP_2)
	v_add_co_u32 v73, vcc_lo, s4, v69
	v_add_co_ci_u32_e32 v74, vcc_lo, s5, v70, vcc_lo
	v_add_co_u32 v99, vcc_lo, 0x1000, v24
	s_clause 0x1
	global_load_b128 v[69:72], v[73:74], off
	global_load_b128 v[73:76], v[73:74], off offset:16
	v_add_co_ci_u32_e32 v100, vcc_lo, 0, v25, vcc_lo
	s_clause 0x3
	global_load_b128 v[77:80], v[99:100], off
	global_load_b128 v[81:84], v[99:100], off offset:16
	global_load_b128 v[85:88], v[99:100], off offset:32
	global_load_b128 v[89:92], v[99:100], off offset:48
	s_waitcnt vmcnt(13)
	v_sub_co_u32 v93, vcc_lo, v93, s12
	v_subrev_co_ci_u32_e32 v94, vcc_lo, s15, v94, vcc_lo
	v_add_co_u32 v24, s3, 0x2000, v24
	s_delay_alu instid0(VALU_DEP_1) | instskip(NEXT) | instid1(VALU_DEP_3)
	v_add_co_ci_u32_e64 v25, s3, 0, v25, s3
	v_lshlrev_b64 v[93:94], 5, v[93:94]
	s_delay_alu instid0(VALU_DEP_1) | instskip(NEXT) | instid1(VALU_DEP_2)
	v_add_co_u32 v109, vcc_lo, s4, v93
	v_add_co_ci_u32_e32 v110, vcc_lo, s5, v94, vcc_lo
	s_waitcnt vmcnt(12)
	v_sub_co_u32 v97, vcc_lo, v97, s12
	v_subrev_co_ci_u32_e32 v98, vcc_lo, s15, v98, vcc_lo
	global_load_b128 v[93:96], v[109:110], off
	s_waitcnt vmcnt(12)
	v_fma_f64 v[14:15], v[101:102], v[45:46], v[14:15]
	v_fma_f64 v[18:19], v[103:104], v[45:46], v[18:19]
	v_fma_f64 v[16:17], v[105:106], v[45:46], v[16:17]
	v_fma_f64 v[12:13], v[107:108], v[45:46], v[12:13]
	v_cvt_f64_f32_e32 v[45:46], v30
	v_cvt_f64_f32_e32 v[101:102], v35
	;; [unrolled: 1-line block ×6, first 2 shown]
	s_waitcnt vmcnt(7)
	v_cvt_f64_f32_e32 v[111:112], v65
	v_cvt_f64_f32_e32 v[65:66], v66
	v_fma_f64 v[28:29], v[28:29], v[47:48], v[14:15]
	v_fma_f64 v[18:19], v[33:34], v[47:48], v[18:19]
	;; [unrolled: 1-line block ×4, first 2 shown]
	global_load_b128 v[12:15], v[109:110], off offset:16
	v_cvt_f64_f32_e32 v[41:42], v31
	v_cvt_f64_f32_e32 v[47:48], v36
	v_cvt_f64_f32_e32 v[109:110], v61
	v_cvt_f64_f32_e32 v[61:62], v62
	v_fma_f64 v[45:46], v[45:46], v[49:50], v[28:29]
	v_fma_f64 v[101:102], v[101:102], v[49:50], v[18:19]
	;; [unrolled: 1-line block ×4, first 2 shown]
	s_clause 0x3
	global_load_b128 v[16:19], v[99:100], off offset:2048
	global_load_b128 v[28:31], v[99:100], off offset:2064
	;; [unrolled: 1-line block ×4, first 2 shown]
	v_cvt_f64_f32_e32 v[99:100], v53
	v_cvt_f64_f32_e32 v[105:106], v57
	;; [unrolled: 1-line block ×4, first 2 shown]
	v_fma_f64 v[45:46], v[41:42], v[51:52], v[45:46]
	v_fma_f64 v[47:48], v[47:48], v[51:52], v[101:102]
	;; [unrolled: 1-line block ×4, first 2 shown]
	v_lshlrev_b64 v[41:42], 5, v[97:98]
	v_cvt_f64_f32_e32 v[103:104], v67
	s_delay_alu instid0(VALU_DEP_2) | instskip(NEXT) | instid1(VALU_DEP_3)
	v_add_co_u32 v51, vcc_lo, s4, v41
	v_add_co_ci_u32_e32 v52, vcc_lo, s5, v42, vcc_lo
	v_add_co_u32 v22, vcc_lo, 0x80, v22
	v_add_co_ci_u32_e32 v23, vcc_lo, 0, v23, vcc_lo
	global_load_b128 v[41:44], v[51:52], off
	v_add_co_u32 v26, vcc_lo, 0x400, v26
	v_add_co_ci_u32_e32 v27, vcc_lo, 0, v27, vcc_lo
	v_cmp_ge_i64_e32 vcc_lo, v[22:23], v[4:5]
	s_or_b32 s10, vcc_lo, s10
	s_waitcnt vmcnt(12)
	v_fma_f64 v[45:46], v[99:100], v[69:70], v[45:46]
	v_fma_f64 v[47:48], v[105:106], v[69:70], v[47:48]
	;; [unrolled: 1-line block ×4, first 2 shown]
	v_cvt_f64_f32_e32 v[69:70], v55
	v_cvt_f64_f32_e32 v[99:100], v59
	;; [unrolled: 1-line block ×3, first 2 shown]
	v_fma_f64 v[53:54], v[53:54], v[71:72], v[45:46]
	v_fma_f64 v[57:58], v[57:58], v[71:72], v[47:48]
	global_load_b128 v[45:48], v[51:52], off offset:16
	v_fma_f64 v[61:62], v[61:62], v[71:72], v[97:98]
	v_fma_f64 v[49:50], v[65:66], v[71:72], v[49:50]
	v_cvt_f64_f32_e32 v[51:52], v56
	v_cvt_f64_f32_e32 v[55:56], v60
	;; [unrolled: 1-line block ×4, first 2 shown]
	s_waitcnt vmcnt(11)
	v_cvt_f64_f32_e32 v[65:66], v77
	s_waitcnt vmcnt(10)
	v_cvt_f64_f32_e32 v[67:68], v81
	;; [unrolled: 2-line block ×3, first 2 shown]
	v_fma_f64 v[53:54], v[69:70], v[73:74], v[53:54]
	v_fma_f64 v[57:58], v[99:100], v[73:74], v[57:58]
	v_cvt_f64_f32_e32 v[69:70], v85
	v_fma_f64 v[61:62], v[101:102], v[73:74], v[61:62]
	v_fma_f64 v[49:50], v[103:104], v[73:74], v[49:50]
	;; [unrolled: 1-line block ×4, first 2 shown]
	v_cvt_f64_f32_e32 v[57:58], v78
	v_fma_f64 v[55:56], v[59:60], v[75:76], v[61:62]
	v_fma_f64 v[49:50], v[63:64], v[75:76], v[49:50]
	v_cvt_f64_f32_e32 v[59:60], v82
	v_cvt_f64_f32_e32 v[61:62], v86
	;; [unrolled: 1-line block ×3, first 2 shown]
	s_waitcnt vmcnt(7)
	v_fma_f64 v[51:52], v[65:66], v[93:94], v[51:52]
	v_fma_f64 v[53:54], v[67:68], v[93:94], v[53:54]
	v_cvt_f64_f32_e32 v[65:66], v79
	v_fma_f64 v[55:56], v[69:70], v[93:94], v[55:56]
	v_fma_f64 v[49:50], v[71:72], v[93:94], v[49:50]
	v_cvt_f64_f32_e32 v[67:68], v83
	v_cvt_f64_f32_e32 v[69:70], v87
	;; [unrolled: 1-line block ×3, first 2 shown]
	v_fma_f64 v[51:52], v[57:58], v[95:96], v[51:52]
	v_fma_f64 v[53:54], v[59:60], v[95:96], v[53:54]
	v_cvt_f64_f32_e32 v[57:58], v80
	v_fma_f64 v[55:56], v[61:62], v[95:96], v[55:56]
	v_fma_f64 v[49:50], v[63:64], v[95:96], v[49:50]
	v_cvt_f64_f32_e32 v[59:60], v84
	v_cvt_f64_f32_e32 v[61:62], v88
	;; [unrolled: 1-line block ×3, first 2 shown]
	s_waitcnt vmcnt(6)
	v_fma_f64 v[51:52], v[65:66], v[12:13], v[51:52]
	v_fma_f64 v[53:54], v[67:68], v[12:13], v[53:54]
	;; [unrolled: 1-line block ×4, first 2 shown]
	s_waitcnt vmcnt(5)
	v_cvt_f64_f32_e32 v[49:50], v16
	s_waitcnt vmcnt(4)
	v_cvt_f64_f32_e32 v[65:66], v28
	;; [unrolled: 2-line block ×4, first 2 shown]
	v_fma_f64 v[51:52], v[57:58], v[14:15], v[51:52]
	v_fma_f64 v[53:54], v[59:60], v[14:15], v[53:54]
	v_cvt_f64_f32_e32 v[57:58], v39
	v_fma_f64 v[55:56], v[61:62], v[14:15], v[55:56]
	v_fma_f64 v[12:13], v[63:64], v[14:15], v[12:13]
	v_cvt_f64_f32_e32 v[14:15], v17
	v_cvt_f64_f32_e32 v[16:17], v29
	;; [unrolled: 1-line block ×4, first 2 shown]
	s_waitcnt vmcnt(1)
	v_fma_f64 v[37:38], v[49:50], v[41:42], v[51:52]
	v_fma_f64 v[49:50], v[65:66], v[41:42], v[53:54]
	v_cvt_f64_f32_e32 v[53:54], v30
	v_fma_f64 v[51:52], v[67:68], v[41:42], v[55:56]
	v_fma_f64 v[12:13], v[69:70], v[41:42], v[12:13]
	v_cvt_f64_f32_e32 v[41:42], v18
	v_cvt_f64_f32_e32 v[55:56], v35
	;; [unrolled: 1-line block ×4, first 2 shown]
	v_fma_f64 v[14:15], v[14:15], v[43:44], v[37:38]
	v_fma_f64 v[16:17], v[16:17], v[43:44], v[49:50]
	;; [unrolled: 1-line block ×4, first 2 shown]
	v_cvt_f64_f32_e32 v[33:34], v36
	v_cvt_f64_f32_e32 v[35:36], v40
	s_waitcnt vmcnt(0)
	v_fma_f64 v[14:15], v[41:42], v[45:46], v[14:15]
	v_fma_f64 v[16:17], v[53:54], v[45:46], v[16:17]
	;; [unrolled: 1-line block ×4, first 2 shown]
	s_delay_alu instid0(VALU_DEP_4) | instskip(NEXT) | instid1(VALU_DEP_4)
	v_fma_f64 v[14:15], v[18:19], v[47:48], v[14:15]
	v_fma_f64 v[18:19], v[30:31], v[47:48], v[16:17]
	s_delay_alu instid0(VALU_DEP_4) | instskip(NEXT) | instid1(VALU_DEP_4)
	v_fma_f64 v[16:17], v[33:34], v[47:48], v[28:29]
	v_fma_f64 v[12:13], v[35:36], v[47:48], v[12:13]
	s_and_not1_b32 exec_lo, exec_lo, s10
	s_cbranch_execnz .LBB163_23
; %bb.24:
	s_or_b32 exec_lo, exec_lo, s10
.LBB163_25:
	s_delay_alu instid0(SALU_CYCLE_1)
	s_or_b32 exec_lo, exec_lo, s7
.LBB163_26:
	s_delay_alu instid0(SALU_CYCLE_1)
	s_or_b32 exec_lo, exec_lo, s6
	s_cbranch_execz .LBB163_28
	s_branch .LBB163_39
.LBB163_27:
                                        ; implicit-def: $vgpr12_vgpr13
                                        ; implicit-def: $vgpr16_vgpr17
                                        ; implicit-def: $vgpr18_vgpr19
                                        ; implicit-def: $vgpr14_vgpr15
.LBB163_28:
	v_mov_b32_e32 v12, 0
	v_mov_b32_e32 v13, 0
	s_delay_alu instid0(VALU_DEP_1)
	v_dual_mov_b32 v17, v13 :: v_dual_mov_b32 v16, v12
	v_dual_mov_b32 v19, v13 :: v_dual_mov_b32 v18, v12
	;; [unrolled: 1-line block ×3, first 2 shown]
	s_and_saveexec_b32 s3, s2
	s_cbranch_execz .LBB163_38
; %bb.29:
	v_or_b32_e32 v12, 32, v32
	v_not_b32_e32 v15, v20
	v_not_b32_e32 v14, v21
	s_mov_b32 s7, 0
	s_mov_b32 s6, exec_lo
	v_sub_co_u32 v12, s2, v12, s12
	s_delay_alu instid0(VALU_DEP_1) | instskip(SKIP_1) | instid1(VALU_DEP_3)
	v_sub_co_ci_u32_e64 v13, null, 0, s15, s2
	v_sub_co_u32 v16, s2, s12, v32
	v_add_co_u32 v12, vcc_lo, v12, v20
	s_delay_alu instid0(VALU_DEP_3) | instskip(SKIP_1) | instid1(VALU_DEP_2)
	v_add_co_ci_u32_e32 v13, vcc_lo, v13, v21, vcc_lo
	v_sub_co_ci_u32_e64 v17, null, s15, 0, s2
	v_cmp_gt_i64_e32 vcc_lo, v[12:13], v[4:5]
	v_dual_cndmask_b32 v13, v5, v13 :: v_dual_cndmask_b32 v12, v4, v12
	v_add_co_u32 v15, vcc_lo, v16, v15
	s_delay_alu instid0(VALU_DEP_4) | instskip(NEXT) | instid1(VALU_DEP_2)
	v_add_co_ci_u32_e32 v14, vcc_lo, v17, v14, vcc_lo
	v_add_co_u32 v20, vcc_lo, v15, v12
	s_delay_alu instid0(VALU_DEP_2) | instskip(SKIP_1) | instid1(VALU_DEP_3)
	v_add_co_ci_u32_e32 v21, vcc_lo, v14, v13, vcc_lo
	v_mov_b32_e32 v14, 0
	v_lshrrev_b32_e32 v12, 5, v20
	s_delay_alu instid0(VALU_DEP_1) | instskip(NEXT) | instid1(VALU_DEP_1)
	v_dual_mov_b32 v15, 0 :: v_dual_add_nc_u32 v12, 1, v12
	v_dual_mov_b32 v19, v15 :: v_dual_mov_b32 v18, v14
	v_dual_mov_b32 v17, v15 :: v_dual_mov_b32 v16, v14
	s_delay_alu instid0(VALU_DEP_3) | instskip(SKIP_1) | instid1(VALU_DEP_2)
	v_and_b32_e32 v22, 3, v12
	v_dual_mov_b32 v12, v14 :: v_dual_mov_b32 v13, v15
	v_cmpx_ne_u32_e32 0, v22
	s_cbranch_execz .LBB163_33
; %bb.30:
	v_lshlrev_b64 v[14:15], 3, v[0:1]
	v_dual_mov_b32 v23, 0 :: v_dual_mov_b32 v12, 0
	v_dual_mov_b32 v13, 0 :: v_dual_lshlrev_b32 v22, 3, v22
	s_delay_alu instid0(VALU_DEP_3) | instskip(NEXT) | instid1(VALU_DEP_4)
	v_add_co_u32 v24, vcc_lo, s8, v14
	v_add_co_ci_u32_e32 v25, vcc_lo, s9, v15, vcc_lo
	s_delay_alu instid0(VALU_DEP_3)
	v_dual_mov_b32 v17, v13 :: v_dual_mov_b32 v16, v12
	v_dual_mov_b32 v19, v13 :: v_dual_mov_b32 v18, v12
	;; [unrolled: 1-line block ×3, first 2 shown]
.LBB163_31:                             ; =>This Inner Loop Header: Depth=1
	global_load_b64 v[30:31], v[24:25], off
	s_clause 0x1
	global_load_b128 v[26:29], v[6:7], off
	global_load_b128 v[33:36], v[6:7], off offset:16
	v_add_co_u32 v24, s2, 0x100, v24
	s_delay_alu instid0(VALU_DEP_1)
	v_add_co_ci_u32_e64 v25, s2, 0, v25, s2
	s_waitcnt vmcnt(2)
	v_sub_co_u32 v30, vcc_lo, v30, s12
	v_subrev_co_ci_u32_e32 v31, vcc_lo, s15, v31, vcc_lo
	s_waitcnt vmcnt(1)
	v_cvt_f64_f32_e32 v[53:54], v28
	v_cvt_f64_f32_e32 v[28:29], v29
	s_waitcnt vmcnt(0)
	v_cvt_f64_f32_e32 v[55:56], v33
	v_lshlrev_b64 v[30:31], 5, v[30:31]
	v_cvt_f64_f32_e32 v[33:34], v34
	v_cvt_f64_f32_e32 v[57:58], v35
	;; [unrolled: 1-line block ×3, first 2 shown]
	s_waitcnt lgkmcnt(0)
	s_delay_alu instid0(VALU_DEP_4)
	v_add_co_u32 v30, vcc_lo, s4, v30
	v_add_co_ci_u32_e32 v31, vcc_lo, s5, v31, vcc_lo
	s_clause 0x1
	global_load_b128 v[37:40], v[30:31], off
	global_load_b128 v[41:44], v[30:31], off offset:16
	s_clause 0x1
	global_load_b128 v[45:48], v[6:7], off offset:32
	global_load_b128 v[49:52], v[6:7], off offset:48
	v_cvt_f64_f32_e32 v[30:31], v26
	v_cvt_f64_f32_e32 v[26:27], v27
	v_add_co_u32 v6, vcc_lo, 0x800, v6
	v_add_co_ci_u32_e32 v7, vcc_lo, 0, v7, vcc_lo
	v_add_co_u32 v22, vcc_lo, v22, -8
	v_add_co_ci_u32_e32 v23, vcc_lo, -1, v23, vcc_lo
	v_add_co_u32 v0, vcc_lo, v0, 32
	v_add_co_ci_u32_e32 v1, vcc_lo, 0, v1, vcc_lo
	s_delay_alu instid0(VALU_DEP_3)
	v_cmp_eq_u64_e32 vcc_lo, 0, v[22:23]
	s_or_b32 s7, vcc_lo, s7
	s_waitcnt vmcnt(3)
	v_fma_f64 v[14:15], v[30:31], v[37:38], v[14:15]
	v_fma_f64 v[18:19], v[26:27], v[37:38], v[18:19]
	;; [unrolled: 1-line block ×4, first 2 shown]
	s_waitcnt vmcnt(1)
	v_cvt_f64_f32_e32 v[26:27], v45
	v_cvt_f64_f32_e32 v[28:29], v46
	;; [unrolled: 1-line block ×4, first 2 shown]
	s_waitcnt vmcnt(0)
	v_cvt_f64_f32_e32 v[45:46], v52
	v_fma_f64 v[14:15], v[55:56], v[39:40], v[14:15]
	v_fma_f64 v[18:19], v[33:34], v[39:40], v[18:19]
	;; [unrolled: 1-line block ×4, first 2 shown]
	v_cvt_f64_f32_e32 v[33:34], v49
	v_cvt_f64_f32_e32 v[35:36], v50
	;; [unrolled: 1-line block ×3, first 2 shown]
	v_fma_f64 v[14:15], v[26:27], v[41:42], v[14:15]
	v_fma_f64 v[18:19], v[28:29], v[41:42], v[18:19]
	v_fma_f64 v[16:17], v[30:31], v[41:42], v[16:17]
	v_fma_f64 v[12:13], v[37:38], v[41:42], v[12:13]
	s_delay_alu instid0(VALU_DEP_4) | instskip(NEXT) | instid1(VALU_DEP_4)
	v_fma_f64 v[14:15], v[33:34], v[43:44], v[14:15]
	v_fma_f64 v[18:19], v[35:36], v[43:44], v[18:19]
	s_delay_alu instid0(VALU_DEP_4) | instskip(NEXT) | instid1(VALU_DEP_4)
	v_fma_f64 v[16:17], v[39:40], v[43:44], v[16:17]
	v_fma_f64 v[12:13], v[45:46], v[43:44], v[12:13]
	s_and_not1_b32 exec_lo, exec_lo, s7
	s_cbranch_execnz .LBB163_31
; %bb.32:
	s_or_b32 exec_lo, exec_lo, s7
.LBB163_33:
	s_delay_alu instid0(SALU_CYCLE_1) | instskip(NEXT) | instid1(SALU_CYCLE_1)
	s_or_b32 exec_lo, exec_lo, s6
	s_mov_b32 s6, exec_lo
	v_cmpx_lt_u64_e32 0x5f, v[20:21]
	s_cbranch_execz .LBB163_37
; %bb.34:
	v_lshlrev_b64 v[20:21], 3, v[0:1]
	s_mov_b32 s7, 0
	s_delay_alu instid0(VALU_DEP_1) | instskip(NEXT) | instid1(VALU_DEP_2)
	v_add_co_u32 v20, vcc_lo, v20, s8
	v_add_co_ci_u32_e32 v21, vcc_lo, s9, v21, vcc_lo
	s_delay_alu instid0(VALU_DEP_2) | instskip(NEXT) | instid1(VALU_DEP_2)
	v_add_co_u32 v20, vcc_lo, 0x200, v20
	v_add_co_ci_u32_e32 v21, vcc_lo, 0, v21, vcc_lo
.LBB163_35:                             ; =>This Inner Loop Header: Depth=1
	s_clause 0x1
	global_load_b64 v[30:31], v[20:21], off offset:-512
	global_load_b64 v[53:54], v[20:21], off offset:-256
	global_load_b128 v[22:25], v[6:7], off
	global_load_b64 v[77:78], v[20:21], off
	global_load_b128 v[26:29], v[6:7], off offset:16
	global_load_b64 v[81:82], v[20:21], off offset:256
	s_waitcnt vmcnt(5)
	v_sub_co_u32 v30, vcc_lo, v30, s12
	v_subrev_co_ci_u32_e32 v31, vcc_lo, s15, v31, vcc_lo
	s_waitcnt vmcnt(3)
	v_cvt_f64_f32_e32 v[83:84], v22
	v_cvt_f64_f32_e32 v[85:86], v23
	;; [unrolled: 1-line block ×3, first 2 shown]
	v_lshlrev_b64 v[30:31], 5, v[30:31]
	v_cvt_f64_f32_e32 v[89:90], v25
	s_waitcnt vmcnt(1)
	v_cvt_f64_f32_e32 v[93:94], v26
	v_cvt_f64_f32_e32 v[26:27], v27
	;; [unrolled: 1-line block ×4, first 2 shown]
	s_waitcnt lgkmcnt(0)
	v_add_co_u32 v30, vcc_lo, s4, v30
	v_add_co_ci_u32_e32 v31, vcc_lo, s5, v31, vcc_lo
	global_load_b128 v[33:36], v[30:31], off
	s_clause 0x1
	global_load_b128 v[37:40], v[6:7], off offset:32
	global_load_b128 v[41:44], v[6:7], off offset:48
	;; [unrolled: 1-line block ×4, first 2 shown]
	v_sub_co_u32 v30, vcc_lo, v53, s12
	v_subrev_co_ci_u32_e32 v31, vcc_lo, s15, v54, vcc_lo
	s_delay_alu instid0(VALU_DEP_1) | instskip(NEXT) | instid1(VALU_DEP_1)
	v_lshlrev_b64 v[30:31], 5, v[30:31]
	v_add_co_u32 v30, vcc_lo, s4, v30
	s_delay_alu instid0(VALU_DEP_2)
	v_add_co_ci_u32_e32 v31, vcc_lo, s5, v31, vcc_lo
	global_load_b128 v[53:56], v[6:7], off offset:2064
	global_load_b128 v[57:60], v[30:31], off
	s_clause 0x1
	global_load_b128 v[61:64], v[6:7], off offset:2080
	global_load_b128 v[65:68], v[6:7], off offset:2096
	;; [unrolled: 1-line block ×3, first 2 shown]
	v_add_co_u32 v30, vcc_lo, 0x1000, v6
	v_add_co_ci_u32_e32 v31, vcc_lo, 0, v7, vcc_lo
	v_sub_co_u32 v22, vcc_lo, v77, s12
	v_subrev_co_ci_u32_e32 v23, vcc_lo, s15, v78, vcc_lo
	global_load_b128 v[73:76], v[30:31], off
	v_add_co_u32 v6, s2, 0x2000, v6
	v_lshlrev_b64 v[22:23], 5, v[22:23]
	v_add_co_ci_u32_e64 v7, s2, 0, v7, s2
	s_delay_alu instid0(VALU_DEP_2) | instskip(NEXT) | instid1(VALU_DEP_3)
	v_add_co_u32 v91, vcc_lo, s4, v22
	v_add_co_ci_u32_e32 v92, vcc_lo, s5, v23, vcc_lo
	global_load_b128 v[22:25], v[30:31], off offset:16
	global_load_b128 v[77:80], v[91:92], off
	s_waitcnt vmcnt(13)
	v_sub_co_u32 v81, vcc_lo, v81, s12
	v_subrev_co_ci_u32_e32 v82, vcc_lo, s15, v82, vcc_lo
	s_waitcnt vmcnt(12)
	v_fma_f64 v[83:84], v[83:84], v[33:34], v[14:15]
	v_fma_f64 v[18:19], v[85:86], v[33:34], v[18:19]
	;; [unrolled: 1-line block ×4, first 2 shown]
	global_load_b128 v[12:15], v[30:31], off offset:32
	s_waitcnt vmcnt(12)
	v_cvt_f64_f32_e32 v[85:86], v37
	v_cvt_f64_f32_e32 v[37:38], v38
	;; [unrolled: 1-line block ×4, first 2 shown]
	v_fma_f64 v[83:84], v[93:94], v[35:36], v[83:84]
	v_fma_f64 v[89:90], v[26:27], v[35:36], v[18:19]
	;; [unrolled: 1-line block ×4, first 2 shown]
	global_load_b128 v[16:19], v[30:31], off offset:48
	global_load_b128 v[26:29], v[91:92], off offset:16
	s_waitcnt vmcnt(13)
	v_cvt_f64_f32_e32 v[91:92], v41
	v_cvt_f64_f32_e32 v[41:42], v42
	;; [unrolled: 1-line block ×4, first 2 shown]
	s_waitcnt vmcnt(12)
	v_fma_f64 v[83:84], v[85:86], v[45:46], v[83:84]
	v_fma_f64 v[37:38], v[37:38], v[45:46], v[89:90]
	;; [unrolled: 1-line block ×4, first 2 shown]
	global_load_b128 v[33:36], v[30:31], off offset:2048
	s_waitcnt vmcnt(12)
	v_cvt_f64_f32_e32 v[45:46], v49
	v_cvt_f64_f32_e32 v[49:50], v50
	;; [unrolled: 1-line block ×4, first 2 shown]
	s_waitcnt vmcnt(11)
	v_cvt_f64_f32_e32 v[93:94], v55
	v_cvt_f64_f32_e32 v[55:56], v56
	v_fma_f64 v[83:84], v[91:92], v[47:48], v[83:84]
	v_fma_f64 v[89:90], v[41:42], v[47:48], v[37:38]
	;; [unrolled: 1-line block ×4, first 2 shown]
	v_lshlrev_b64 v[37:38], 5, v[81:82]
	v_cvt_f64_f32_e32 v[91:92], v53
	v_cvt_f64_f32_e32 v[53:54], v54
	s_delay_alu instid0(VALU_DEP_3) | instskip(NEXT) | instid1(VALU_DEP_4)
	v_add_co_u32 v81, vcc_lo, s4, v37
	v_add_co_ci_u32_e32 v82, vcc_lo, s5, v38, vcc_lo
	global_load_b128 v[37:40], v[30:31], off offset:2064
	global_load_b128 v[41:44], v[81:82], off
	v_add_co_u32 v0, vcc_lo, 0x80, v0
	v_add_co_ci_u32_e32 v1, vcc_lo, 0, v1, vcc_lo
	v_add_co_u32 v20, vcc_lo, 0x400, v20
	v_add_co_ci_u32_e32 v21, vcc_lo, 0, v21, vcc_lo
	s_delay_alu instid0(VALU_DEP_3)
	v_cmp_ge_i64_e32 vcc_lo, v[0:1], v[4:5]
	s_or_b32 s7, vcc_lo, s7
	s_waitcnt vmcnt(12)
	v_fma_f64 v[83:84], v[45:46], v[57:58], v[83:84]
	v_fma_f64 v[49:50], v[49:50], v[57:58], v[89:90]
	;; [unrolled: 1-line block ×4, first 2 shown]
	global_load_b128 v[45:48], v[30:31], off offset:2080
	s_waitcnt vmcnt(12)
	v_cvt_f64_f32_e32 v[57:58], v61
	v_cvt_f64_f32_e32 v[61:62], v62
	;; [unrolled: 1-line block ×4, first 2 shown]
	v_fma_f64 v[83:84], v[91:92], v[59:60], v[83:84]
	v_fma_f64 v[89:90], v[53:54], v[59:60], v[49:50]
	;; [unrolled: 1-line block ×4, first 2 shown]
	global_load_b128 v[49:52], v[30:31], off offset:2096
	global_load_b128 v[53:56], v[81:82], off offset:16
	s_waitcnt vmcnt(13)
	v_cvt_f64_f32_e32 v[30:31], v65
	v_cvt_f64_f32_e32 v[65:66], v66
	v_cvt_f64_f32_e32 v[81:82], v67
	v_cvt_f64_f32_e32 v[67:68], v68
	s_waitcnt vmcnt(12)
	v_fma_f64 v[57:58], v[57:58], v[69:70], v[83:84]
	v_fma_f64 v[61:62], v[61:62], v[69:70], v[89:90]
	v_fma_f64 v[83:84], v[87:88], v[69:70], v[85:86]
	v_fma_f64 v[59:60], v[63:64], v[69:70], v[59:60]
	s_waitcnt vmcnt(11)
	v_cvt_f64_f32_e32 v[63:64], v73
	v_cvt_f64_f32_e32 v[69:70], v74
	v_cvt_f64_f32_e32 v[73:74], v75
	v_cvt_f64_f32_e32 v[75:76], v76
	v_fma_f64 v[30:31], v[30:31], v[71:72], v[57:58]
	v_fma_f64 v[57:58], v[65:66], v[71:72], v[61:62]
	v_fma_f64 v[61:62], v[81:82], v[71:72], v[83:84]
	v_fma_f64 v[59:60], v[67:68], v[71:72], v[59:60]
	s_waitcnt vmcnt(10)
	v_cvt_f64_f32_e32 v[65:66], v22
	v_cvt_f64_f32_e32 v[22:23], v23
	v_cvt_f64_f32_e32 v[67:68], v24
	v_cvt_f64_f32_e32 v[24:25], v25
	s_waitcnt vmcnt(9)
	v_fma_f64 v[30:31], v[63:64], v[77:78], v[30:31]
	v_fma_f64 v[57:58], v[69:70], v[77:78], v[57:58]
	v_fma_f64 v[61:62], v[73:74], v[77:78], v[61:62]
	v_fma_f64 v[59:60], v[75:76], v[77:78], v[59:60]
	s_waitcnt vmcnt(8)
	v_cvt_f64_f32_e32 v[63:64], v12
	v_cvt_f64_f32_e32 v[12:13], v13
	v_cvt_f64_f32_e32 v[69:70], v14
	v_cvt_f64_f32_e32 v[14:15], v15
	v_fma_f64 v[30:31], v[65:66], v[79:80], v[30:31]
	v_fma_f64 v[22:23], v[22:23], v[79:80], v[57:58]
	v_fma_f64 v[57:58], v[67:68], v[79:80], v[61:62]
	v_fma_f64 v[24:25], v[24:25], v[79:80], v[59:60]
	;; [unrolled: 19-line block ×4, first 2 shown]
	s_waitcnt vmcnt(1)
	v_cvt_f64_f32_e32 v[22:23], v49
	v_cvt_f64_f32_e32 v[24:25], v50
	;; [unrolled: 1-line block ×4, first 2 shown]
	s_waitcnt vmcnt(0)
	v_fma_f64 v[18:19], v[26:27], v[53:54], v[18:19]
	v_fma_f64 v[12:13], v[30:31], v[53:54], v[12:13]
	;; [unrolled: 1-line block ×4, first 2 shown]
	s_delay_alu instid0(VALU_DEP_4) | instskip(NEXT) | instid1(VALU_DEP_4)
	v_fma_f64 v[14:15], v[22:23], v[55:56], v[18:19]
	v_fma_f64 v[18:19], v[24:25], v[55:56], v[12:13]
	s_delay_alu instid0(VALU_DEP_4) | instskip(NEXT) | instid1(VALU_DEP_4)
	v_fma_f64 v[16:17], v[28:29], v[55:56], v[16:17]
	v_fma_f64 v[12:13], v[37:38], v[55:56], v[26:27]
	s_and_not1_b32 exec_lo, exec_lo, s7
	s_cbranch_execnz .LBB163_35
; %bb.36:
	s_or_b32 exec_lo, exec_lo, s7
.LBB163_37:
	s_delay_alu instid0(SALU_CYCLE_1)
	s_or_b32 exec_lo, exec_lo, s6
.LBB163_38:
	s_delay_alu instid0(SALU_CYCLE_1)
	s_or_b32 exec_lo, exec_lo, s3
.LBB163_39:
	v_mbcnt_lo_u32_b32 v24, -1, 0
	s_delay_alu instid0(VALU_DEP_1) | instskip(NEXT) | instid1(VALU_DEP_1)
	v_xor_b32_e32 v0, 16, v24
	v_cmp_gt_i32_e32 vcc_lo, 32, v0
	v_cndmask_b32_e32 v0, v24, v0, vcc_lo
	s_delay_alu instid0(VALU_DEP_1)
	v_lshlrev_b32_e32 v21, 2, v0
	ds_bpermute_b32 v0, v21, v14
	ds_bpermute_b32 v1, v21, v15
	s_waitcnt lgkmcnt(0)
	v_add_f64 v[0:1], v[14:15], v[0:1]
	v_xor_b32_e32 v14, 8, v24
	s_delay_alu instid0(VALU_DEP_1)
	v_cmp_gt_i32_e32 vcc_lo, 32, v14
	v_cndmask_b32_e32 v14, v24, v14, vcc_lo
	ds_bpermute_b32 v4, v21, v18
	ds_bpermute_b32 v5, v21, v19
	;; [unrolled: 1-line block ×6, first 2 shown]
	s_waitcnt lgkmcnt(4)
	v_add_f64 v[4:5], v[18:19], v[4:5]
	s_waitcnt lgkmcnt(2)
	v_add_f64 v[6:7], v[16:17], v[6:7]
	;; [unrolled: 2-line block ×3, first 2 shown]
	v_lshlrev_b32_e32 v21, 2, v14
	ds_bpermute_b32 v14, v21, v0
	ds_bpermute_b32 v15, v21, v1
	s_waitcnt lgkmcnt(0)
	v_add_f64 v[0:1], v[0:1], v[14:15]
	v_xor_b32_e32 v14, 4, v24
	s_delay_alu instid0(VALU_DEP_1)
	v_cmp_gt_i32_e32 vcc_lo, 32, v14
	ds_bpermute_b32 v16, v21, v4
	ds_bpermute_b32 v17, v21, v5
	;; [unrolled: 1-line block ×6, first 2 shown]
	v_cndmask_b32_e32 v14, v24, v14, vcc_lo
	s_waitcnt lgkmcnt(4)
	v_add_f64 v[4:5], v[4:5], v[16:17]
	s_waitcnt lgkmcnt(2)
	v_add_f64 v[6:7], v[6:7], v[18:19]
	;; [unrolled: 2-line block ×3, first 2 shown]
	v_lshlrev_b32_e32 v21, 2, v14
	ds_bpermute_b32 v14, v21, v0
	ds_bpermute_b32 v15, v21, v1
	s_waitcnt lgkmcnt(0)
	v_add_f64 v[0:1], v[0:1], v[14:15]
	ds_bpermute_b32 v16, v21, v4
	ds_bpermute_b32 v17, v21, v5
	;; [unrolled: 1-line block ×6, first 2 shown]
	s_waitcnt lgkmcnt(4)
	v_add_f64 v[4:5], v[4:5], v[16:17]
	s_waitcnt lgkmcnt(2)
	v_add_f64 v[14:15], v[6:7], v[18:19]
	v_xor_b32_e32 v6, 2, v24
	s_waitcnt lgkmcnt(0)
	v_add_f64 v[16:17], v[12:13], v[20:21]
	s_delay_alu instid0(VALU_DEP_2) | instskip(SKIP_1) | instid1(VALU_DEP_1)
	v_cmp_gt_i32_e32 vcc_lo, 32, v6
	v_cndmask_b32_e32 v6, v24, v6, vcc_lo
	v_lshlrev_b32_e32 v12, 2, v6
	ds_bpermute_b32 v6, v12, v0
	ds_bpermute_b32 v7, v12, v1
	;; [unrolled: 1-line block ×8, first 2 shown]
	s_waitcnt lgkmcnt(6)
	v_add_f64 v[12:13], v[0:1], v[6:7]
	s_waitcnt lgkmcnt(4)
	v_add_f64 v[6:7], v[4:5], v[18:19]
	;; [unrolled: 2-line block ×3, first 2 shown]
	v_xor_b32_e32 v14, 1, v24
	s_waitcnt lgkmcnt(0)
	v_add_f64 v[4:5], v[16:17], v[22:23]
	s_delay_alu instid0(VALU_DEP_2) | instskip(SKIP_2) | instid1(VALU_DEP_2)
	v_cmp_gt_i32_e32 vcc_lo, 32, v14
	v_cndmask_b32_e32 v14, v24, v14, vcc_lo
	v_cmp_eq_u32_e32 vcc_lo, 31, v32
	v_lshlrev_b32_e32 v15, 2, v14
	ds_bpermute_b32 v20, v15, v12
	ds_bpermute_b32 v21, v15, v13
	;; [unrolled: 1-line block ×8, first 2 shown]
	s_and_b32 exec_lo, exec_lo, vcc_lo
	s_cbranch_execz .LBB163_10
; %bb.40:
	s_waitcnt lgkmcnt(6)
	v_add_f64 v[12:13], v[12:13], v[20:21]
	s_waitcnt lgkmcnt(4)
	v_add_f64 v[6:7], v[6:7], v[18:19]
	;; [unrolled: 2-line block ×4, first 2 shown]
	s_load_b64 s[0:1], s[0:1], 0x58
	v_lshlrev_b64 v[10:11], 5, v[10:11]
	s_mov_b32 s2, exec_lo
	v_mul_f64 v[4:5], v[2:3], v[12:13]
	v_mul_f64 v[6:7], v[2:3], v[6:7]
	;; [unrolled: 1-line block ×4, first 2 shown]
	v_cmpx_eq_f64_e32 0, v[8:9]
	s_xor_b32 s2, exec_lo, s2
	s_cbranch_execz .LBB163_42
; %bb.41:
	s_waitcnt lgkmcnt(0)
	v_add_co_u32 v8, vcc_lo, s0, v10
	v_add_co_ci_u32_e32 v9, vcc_lo, s1, v11, vcc_lo
                                        ; implicit-def: $vgpr10_vgpr11
	s_clause 0x1
	global_store_b128 v[8:9], v[4:7], off
	global_store_b128 v[8:9], v[0:3], off offset:16
                                        ; implicit-def: $vgpr8_vgpr9
                                        ; implicit-def: $vgpr4_vgpr5
                                        ; implicit-def: $vgpr0_vgpr1
.LBB163_42:
	s_and_not1_saveexec_b32 s2, s2
	s_cbranch_execz .LBB163_10
; %bb.43:
	s_waitcnt lgkmcnt(0)
	v_add_co_u32 v18, vcc_lo, s0, v10
	v_add_co_ci_u32_e32 v19, vcc_lo, s1, v11, vcc_lo
	s_clause 0x1
	global_load_b128 v[10:13], v[18:19], off
	global_load_b128 v[14:17], v[18:19], off offset:16
	s_waitcnt vmcnt(1)
	v_fma_f64 v[4:5], v[8:9], v[10:11], v[4:5]
	v_fma_f64 v[6:7], v[8:9], v[12:13], v[6:7]
	s_waitcnt vmcnt(0)
	v_fma_f64 v[0:1], v[8:9], v[14:15], v[0:1]
	v_fma_f64 v[2:3], v[8:9], v[16:17], v[2:3]
	s_clause 0x1
	global_store_b128 v[18:19], v[4:7], off
	global_store_b128 v[18:19], v[0:3], off offset:16
	s_nop 0
	s_sendmsg sendmsg(MSG_DEALLOC_VGPRS)
	s_endpgm
	.section	.rodata,"a",@progbits
	.p2align	6, 0x0
	.amdhsa_kernel _ZN9rocsparseL18bsrxmvn_4x4_kernelILj128ELj32EdllfddEEvT3_20rocsparse_direction_NS_24const_host_device_scalarIT1_EES1_PKS1_PKT2_SA_S7_PKT4_PKT5_S5_PT6_21rocsparse_index_base_b
		.amdhsa_group_segment_fixed_size 0
		.amdhsa_private_segment_fixed_size 0
		.amdhsa_kernarg_size 104
		.amdhsa_user_sgpr_count 15
		.amdhsa_user_sgpr_dispatch_ptr 0
		.amdhsa_user_sgpr_queue_ptr 0
		.amdhsa_user_sgpr_kernarg_segment_ptr 1
		.amdhsa_user_sgpr_dispatch_id 0
		.amdhsa_user_sgpr_private_segment_size 0
		.amdhsa_wavefront_size32 1
		.amdhsa_uses_dynamic_stack 0
		.amdhsa_enable_private_segment 0
		.amdhsa_system_sgpr_workgroup_id_x 1
		.amdhsa_system_sgpr_workgroup_id_y 0
		.amdhsa_system_sgpr_workgroup_id_z 0
		.amdhsa_system_sgpr_workgroup_info 0
		.amdhsa_system_vgpr_workitem_id 0
		.amdhsa_next_free_vgpr 113
		.amdhsa_next_free_sgpr 16
		.amdhsa_reserve_vcc 1
		.amdhsa_float_round_mode_32 0
		.amdhsa_float_round_mode_16_64 0
		.amdhsa_float_denorm_mode_32 3
		.amdhsa_float_denorm_mode_16_64 3
		.amdhsa_dx10_clamp 1
		.amdhsa_ieee_mode 1
		.amdhsa_fp16_overflow 0
		.amdhsa_workgroup_processor_mode 1
		.amdhsa_memory_ordered 1
		.amdhsa_forward_progress 0
		.amdhsa_shared_vgpr_count 0
		.amdhsa_exception_fp_ieee_invalid_op 0
		.amdhsa_exception_fp_denorm_src 0
		.amdhsa_exception_fp_ieee_div_zero 0
		.amdhsa_exception_fp_ieee_overflow 0
		.amdhsa_exception_fp_ieee_underflow 0
		.amdhsa_exception_fp_ieee_inexact 0
		.amdhsa_exception_int_div_zero 0
	.end_amdhsa_kernel
	.section	.text._ZN9rocsparseL18bsrxmvn_4x4_kernelILj128ELj32EdllfddEEvT3_20rocsparse_direction_NS_24const_host_device_scalarIT1_EES1_PKS1_PKT2_SA_S7_PKT4_PKT5_S5_PT6_21rocsparse_index_base_b,"axG",@progbits,_ZN9rocsparseL18bsrxmvn_4x4_kernelILj128ELj32EdllfddEEvT3_20rocsparse_direction_NS_24const_host_device_scalarIT1_EES1_PKS1_PKT2_SA_S7_PKT4_PKT5_S5_PT6_21rocsparse_index_base_b,comdat
.Lfunc_end163:
	.size	_ZN9rocsparseL18bsrxmvn_4x4_kernelILj128ELj32EdllfddEEvT3_20rocsparse_direction_NS_24const_host_device_scalarIT1_EES1_PKS1_PKT2_SA_S7_PKT4_PKT5_S5_PT6_21rocsparse_index_base_b, .Lfunc_end163-_ZN9rocsparseL18bsrxmvn_4x4_kernelILj128ELj32EdllfddEEvT3_20rocsparse_direction_NS_24const_host_device_scalarIT1_EES1_PKS1_PKT2_SA_S7_PKT4_PKT5_S5_PT6_21rocsparse_index_base_b
                                        ; -- End function
	.section	.AMDGPU.csdata,"",@progbits
; Kernel info:
; codeLenInByte = 5800
; NumSgprs: 18
; NumVgprs: 113
; ScratchSize: 0
; MemoryBound: 0
; FloatMode: 240
; IeeeMode: 1
; LDSByteSize: 0 bytes/workgroup (compile time only)
; SGPRBlocks: 2
; VGPRBlocks: 14
; NumSGPRsForWavesPerEU: 18
; NumVGPRsForWavesPerEU: 113
; Occupancy: 12
; WaveLimiterHint : 1
; COMPUTE_PGM_RSRC2:SCRATCH_EN: 0
; COMPUTE_PGM_RSRC2:USER_SGPR: 15
; COMPUTE_PGM_RSRC2:TRAP_HANDLER: 0
; COMPUTE_PGM_RSRC2:TGID_X_EN: 1
; COMPUTE_PGM_RSRC2:TGID_Y_EN: 0
; COMPUTE_PGM_RSRC2:TGID_Z_EN: 0
; COMPUTE_PGM_RSRC2:TIDIG_COMP_CNT: 0
	.section	.text._ZN9rocsparseL18bsrxmvn_4x4_kernelILj128ELj64EdllfddEEvT3_20rocsparse_direction_NS_24const_host_device_scalarIT1_EES1_PKS1_PKT2_SA_S7_PKT4_PKT5_S5_PT6_21rocsparse_index_base_b,"axG",@progbits,_ZN9rocsparseL18bsrxmvn_4x4_kernelILj128ELj64EdllfddEEvT3_20rocsparse_direction_NS_24const_host_device_scalarIT1_EES1_PKS1_PKT2_SA_S7_PKT4_PKT5_S5_PT6_21rocsparse_index_base_b,comdat
	.globl	_ZN9rocsparseL18bsrxmvn_4x4_kernelILj128ELj64EdllfddEEvT3_20rocsparse_direction_NS_24const_host_device_scalarIT1_EES1_PKS1_PKT2_SA_S7_PKT4_PKT5_S5_PT6_21rocsparse_index_base_b ; -- Begin function _ZN9rocsparseL18bsrxmvn_4x4_kernelILj128ELj64EdllfddEEvT3_20rocsparse_direction_NS_24const_host_device_scalarIT1_EES1_PKS1_PKT2_SA_S7_PKT4_PKT5_S5_PT6_21rocsparse_index_base_b
	.p2align	8
	.type	_ZN9rocsparseL18bsrxmvn_4x4_kernelILj128ELj64EdllfddEEvT3_20rocsparse_direction_NS_24const_host_device_scalarIT1_EES1_PKS1_PKT2_SA_S7_PKT4_PKT5_S5_PT6_21rocsparse_index_base_b,@function
_ZN9rocsparseL18bsrxmvn_4x4_kernelILj128ELj64EdllfddEEvT3_20rocsparse_direction_NS_24const_host_device_scalarIT1_EES1_PKS1_PKT2_SA_S7_PKT4_PKT5_S5_PT6_21rocsparse_index_base_b: ; @_ZN9rocsparseL18bsrxmvn_4x4_kernelILj128ELj64EdllfddEEvT3_20rocsparse_direction_NS_24const_host_device_scalarIT1_EES1_PKS1_PKT2_SA_S7_PKT4_PKT5_S5_PT6_21rocsparse_index_base_b
; %bb.0:
	s_clause 0x2
	s_load_b64 s[12:13], s[0:1], 0x60
	s_load_b128 s[4:7], s[0:1], 0x10
	s_load_b64 s[2:3], s[0:1], 0x50
	s_waitcnt lgkmcnt(0)
	s_bitcmp1_b32 s13, 0
	v_dual_mov_b32 v2, s4 :: v_dual_mov_b32 v3, s5
	s_cselect_b32 s8, -1, 0
	s_delay_alu instid0(SALU_CYCLE_1)
	s_and_b32 vcc_lo, exec_lo, s8
	s_xor_b32 s8, s8, -1
	s_cbranch_vccnz .LBB164_2
; %bb.1:
	v_dual_mov_b32 v1, s4 :: v_dual_mov_b32 v2, s5
	flat_load_b64 v[2:3], v[1:2]
.LBB164_2:
	v_dual_mov_b32 v9, s3 :: v_dual_mov_b32 v8, s2
	s_and_not1_b32 vcc_lo, exec_lo, s8
	s_cbranch_vccnz .LBB164_4
; %bb.3:
	v_dual_mov_b32 v5, s3 :: v_dual_mov_b32 v4, s2
	flat_load_b64 v[8:9], v[4:5]
.LBB164_4:
	s_waitcnt vmcnt(0) lgkmcnt(0)
	v_cmp_neq_f64_e32 vcc_lo, 0, v[2:3]
	v_cmp_neq_f64_e64 s2, 1.0, v[8:9]
	s_delay_alu instid0(VALU_DEP_1) | instskip(NEXT) | instid1(SALU_CYCLE_1)
	s_or_b32 s2, vcc_lo, s2
	s_and_saveexec_b32 s3, s2
	s_cbranch_execz .LBB164_10
; %bb.5:
	s_load_b64 s[2:3], s[0:1], 0x20
	v_lshrrev_b32_e32 v1, 6, v0
	v_mov_b32_e32 v5, 0
	s_mov_b32 s4, 0
	s_delay_alu instid0(VALU_DEP_2)
	v_lshl_or_b32 v4, s15, 1, v1
	s_waitcnt lgkmcnt(0)
	s_cmp_lg_u64 s[2:3], 0
	s_cbranch_scc0 .LBB164_11
; %bb.6:
	s_delay_alu instid0(VALU_DEP_1) | instskip(SKIP_2) | instid1(SALU_CYCLE_1)
	v_cmp_gt_i64_e32 vcc_lo, s[6:7], v[4:5]
	s_mov_b32 s5, 0
                                        ; implicit-def: $vgpr10_vgpr11
	s_and_saveexec_b32 s6, vcc_lo
	s_xor_b32 s6, exec_lo, s6
                                        ; implicit-def: $sgpr14_sgpr15
	s_cbranch_execz .LBB164_8
; %bb.7:
	v_lshlrev_b64 v[6:7], 3, v[4:5]
	s_mov_b32 s4, exec_lo
	s_mov_b32 s15, 0
	s_delay_alu instid0(VALU_DEP_1) | instskip(NEXT) | instid1(VALU_DEP_2)
	v_add_co_u32 v6, vcc_lo, s2, v6
	v_add_co_ci_u32_e32 v7, vcc_lo, s3, v7, vcc_lo
	global_load_b64 v[6:7], v[6:7], off
	s_waitcnt vmcnt(0)
	v_sub_co_u32 v10, vcc_lo, v6, s12
	v_subrev_co_ci_u32_e32 v11, vcc_lo, 0, v7, vcc_lo
.LBB164_8:
	s_or_b32 exec_lo, exec_lo, s6
	s_delay_alu instid0(SALU_CYCLE_1)
	s_and_b32 vcc_lo, exec_lo, s5
	s_cbranch_vccnz .LBB164_12
.LBB164_9:
	s_and_b32 exec_lo, exec_lo, s4
	s_cbranch_execnz .LBB164_15
.LBB164_10:
	s_nop 0
	s_sendmsg sendmsg(MSG_DEALLOC_VGPRS)
	s_endpgm
.LBB164_11:
                                        ; implicit-def: $vgpr10_vgpr11
                                        ; implicit-def: $sgpr14_sgpr15
	s_cbranch_execz .LBB164_9
.LBB164_12:
	s_load_b64 s[2:3], s[0:1], 0x0
                                        ; implicit-def: $vgpr10_vgpr11
	s_waitcnt lgkmcnt(0)
	v_cmp_gt_i64_e32 vcc_lo, s[2:3], v[4:5]
	s_and_saveexec_b32 s2, vcc_lo
                                        ; implicit-def: $sgpr14_sgpr15
; %bb.13:
	v_dual_mov_b32 v11, v5 :: v_dual_mov_b32 v10, v4
	s_mov_b32 s15, 0
	s_or_b32 s4, s4, exec_lo
; %bb.14:
	s_or_b32 exec_lo, exec_lo, s2
	s_delay_alu instid0(SALU_CYCLE_1)
	s_and_b32 exec_lo, exec_lo, s4
	s_cbranch_execz .LBB164_10
.LBB164_15:
	s_load_b256 s[4:11], s[0:1], 0x28
	v_lshlrev_b64 v[4:5], 3, v[10:11]
	v_and_b32_e32 v32, 63, v0
	s_load_b32 s3, s[0:1], 0x8
	s_waitcnt lgkmcnt(0)
	s_delay_alu instid0(VALU_DEP_2) | instskip(NEXT) | instid1(VALU_DEP_3)
	v_add_co_u32 v6, vcc_lo, s4, v4
	v_add_co_ci_u32_e32 v7, vcc_lo, s5, v5, vcc_lo
	v_add_co_u32 v1, vcc_lo, s6, v4
	v_add_co_ci_u32_e32 v4, vcc_lo, s7, v5, vcc_lo
	s_delay_alu instid0(VALU_DEP_4)
	v_add_co_u32 v12, vcc_lo, v6, 8
	global_load_b64 v[20:21], v[6:7], off
	v_add_co_ci_u32_e32 v5, vcc_lo, 0, v7, vcc_lo
	s_cmp_eq_u64 s[6:7], 0
	s_load_b64 s[4:5], s[0:1], 0x48
	s_cselect_b32 vcc_lo, -1, 0
	s_cmp_eq_u32 s3, 1
	v_dual_cndmask_b32 v5, v4, v5 :: v_dual_cndmask_b32 v4, v1, v12
	global_load_b64 v[4:5], v[4:5], off
	s_waitcnt vmcnt(1)
	v_sub_co_u32 v0, vcc_lo, v20, s12
	v_subrev_co_ci_u32_e32 v1, vcc_lo, s15, v21, vcc_lo
	s_delay_alu instid0(VALU_DEP_2) | instskip(NEXT) | instid1(VALU_DEP_2)
	v_add_co_u32 v0, vcc_lo, v0, v32
	v_add_co_ci_u32_e32 v1, vcc_lo, 0, v1, vcc_lo
	s_delay_alu instid0(VALU_DEP_1) | instskip(SKIP_3) | instid1(VALU_DEP_3)
	v_lshlrev_b64 v[6:7], 6, v[0:1]
	s_waitcnt vmcnt(0)
	v_sub_co_u32 v4, vcc_lo, v4, s12
	v_subrev_co_ci_u32_e32 v5, vcc_lo, s15, v5, vcc_lo
	v_add_co_u32 v6, vcc_lo, s10, v6
	s_delay_alu instid0(VALU_DEP_2)
	v_cmp_lt_i64_e64 s2, v[0:1], v[4:5]
	v_add_co_ci_u32_e32 v7, vcc_lo, s11, v7, vcc_lo
	s_cbranch_scc1 .LBB164_27
; %bb.16:
	v_mov_b32_e32 v12, 0
	v_mov_b32_e32 v13, 0
	s_delay_alu instid0(VALU_DEP_1)
	v_dual_mov_b32 v17, v13 :: v_dual_mov_b32 v16, v12
	v_dual_mov_b32 v19, v13 :: v_dual_mov_b32 v18, v12
	;; [unrolled: 1-line block ×3, first 2 shown]
	s_and_saveexec_b32 s6, s2
	s_cbranch_execz .LBB164_26
; %bb.17:
	v_or_b32_e32 v12, 64, v32
	v_not_b32_e32 v15, v20
	v_not_b32_e32 v14, v21
	s_mov_b32 s10, 0
	s_mov_b32 s7, exec_lo
	v_sub_co_u32 v12, s3, v12, s12
	s_delay_alu instid0(VALU_DEP_1) | instskip(SKIP_1) | instid1(VALU_DEP_3)
	v_sub_co_ci_u32_e64 v13, null, 0, s15, s3
	v_sub_co_u32 v16, s3, s12, v32
	v_add_co_u32 v12, vcc_lo, v12, v20
	s_delay_alu instid0(VALU_DEP_3) | instskip(SKIP_2) | instid1(VALU_DEP_3)
	v_add_co_ci_u32_e32 v13, vcc_lo, v13, v21, vcc_lo
	v_sub_co_ci_u32_e64 v17, null, s15, 0, s3
	v_mov_b32_e32 v23, v1
	v_cmp_gt_i64_e32 vcc_lo, v[12:13], v[4:5]
	v_dual_mov_b32 v25, v7 :: v_dual_mov_b32 v24, v6
	v_dual_cndmask_b32 v13, v5, v13 :: v_dual_cndmask_b32 v12, v4, v12
	v_add_co_u32 v15, vcc_lo, v16, v15
	v_add_co_ci_u32_e32 v14, vcc_lo, v17, v14, vcc_lo
	s_delay_alu instid0(VALU_DEP_2) | instskip(NEXT) | instid1(VALU_DEP_2)
	v_add_co_u32 v26, vcc_lo, v15, v12
	v_add_co_ci_u32_e32 v27, vcc_lo, v14, v13, vcc_lo
	v_mov_b32_e32 v14, 0
	s_delay_alu instid0(VALU_DEP_3) | instskip(SKIP_1) | instid1(VALU_DEP_1)
	v_lshrrev_b32_e32 v12, 6, v26
	v_dual_mov_b32 v15, 0 :: v_dual_mov_b32 v22, v0
	v_dual_mov_b32 v17, v15 :: v_dual_add_nc_u32 v12, 1, v12
	s_delay_alu instid0(VALU_DEP_4) | instskip(SKIP_1) | instid1(VALU_DEP_3)
	v_dual_mov_b32 v19, v15 :: v_dual_mov_b32 v16, v14
	v_mov_b32_e32 v18, v14
	v_and_b32_e32 v28, 3, v12
	v_dual_mov_b32 v12, v14 :: v_dual_mov_b32 v13, v15
	s_delay_alu instid0(VALU_DEP_2)
	v_cmpx_ne_u32_e32 0, v28
	s_cbranch_execz .LBB164_21
; %bb.18:
	v_lshlrev_b64 v[14:15], 3, v[0:1]
	v_dual_mov_b32 v29, 0 :: v_dual_mov_b32 v12, 0
	v_dual_mov_b32 v13, 0 :: v_dual_lshlrev_b32 v28, 3, v28
	v_dual_mov_b32 v25, v7 :: v_dual_mov_b32 v24, v6
	s_delay_alu instid0(VALU_DEP_4)
	v_add_co_u32 v30, vcc_lo, s8, v14
	v_add_co_ci_u32_e32 v31, vcc_lo, s9, v15, vcc_lo
	v_dual_mov_b32 v23, v1 :: v_dual_mov_b32 v22, v0
	v_dual_mov_b32 v17, v13 :: v_dual_mov_b32 v16, v12
	;; [unrolled: 1-line block ×4, first 2 shown]
.LBB164_19:                             ; =>This Inner Loop Header: Depth=1
	global_load_b64 v[49:50], v[30:31], off
	s_clause 0x3
	global_load_b128 v[33:36], v[24:25], off
	global_load_b128 v[37:40], v[24:25], off offset:16
	global_load_b128 v[41:44], v[24:25], off offset:32
	;; [unrolled: 1-line block ×3, first 2 shown]
	v_add_co_u32 v30, s3, 0x200, v30
	s_delay_alu instid0(VALU_DEP_1)
	v_add_co_ci_u32_e64 v31, s3, 0, v31, s3
	s_waitcnt vmcnt(4)
	v_sub_co_u32 v49, vcc_lo, v49, s12
	v_subrev_co_ci_u32_e32 v50, vcc_lo, s15, v50, vcc_lo
	s_waitcnt vmcnt(3)
	v_cvt_f64_f32_e32 v[57:58], v33
	s_waitcnt vmcnt(2)
	v_cvt_f64_f32_e32 v[59:60], v37
	;; [unrolled: 2-line block ×3, first 2 shown]
	v_lshlrev_b64 v[49:50], 5, v[49:50]
	s_waitcnt vmcnt(0)
	v_cvt_f64_f32_e32 v[63:64], v45
	v_cvt_f64_f32_e32 v[33:34], v34
	;; [unrolled: 1-line block ×5, first 2 shown]
	s_waitcnt lgkmcnt(0)
	v_add_co_u32 v53, vcc_lo, s4, v49
	v_add_co_ci_u32_e32 v54, vcc_lo, s5, v50, vcc_lo
	v_add_co_u32 v24, vcc_lo, 0x1000, v24
	v_add_co_ci_u32_e32 v25, vcc_lo, 0, v25, vcc_lo
	s_clause 0x1
	global_load_b128 v[49:52], v[53:54], off
	global_load_b128 v[53:56], v[53:54], off offset:16
	v_add_co_u32 v28, vcc_lo, v28, -8
	v_add_co_ci_u32_e32 v29, vcc_lo, -1, v29, vcc_lo
	v_add_co_u32 v22, vcc_lo, v22, 64
	v_add_co_ci_u32_e32 v23, vcc_lo, 0, v23, vcc_lo
	s_delay_alu instid0(VALU_DEP_3)
	v_cmp_eq_u64_e32 vcc_lo, 0, v[28:29]
	s_or_b32 s10, vcc_lo, s10
	s_waitcnt vmcnt(1)
	v_fma_f64 v[14:15], v[57:58], v[49:50], v[14:15]
	v_fma_f64 v[18:19], v[59:60], v[49:50], v[18:19]
	;; [unrolled: 1-line block ×4, first 2 shown]
	v_cvt_f64_f32_e32 v[49:50], v35
	v_cvt_f64_f32_e32 v[57:58], v39
	;; [unrolled: 1-line block ×4, first 2 shown]
	v_fma_f64 v[14:15], v[33:34], v[51:52], v[14:15]
	v_fma_f64 v[18:19], v[37:38], v[51:52], v[18:19]
	;; [unrolled: 1-line block ×4, first 2 shown]
	v_cvt_f64_f32_e32 v[33:34], v36
	v_cvt_f64_f32_e32 v[35:36], v40
	;; [unrolled: 1-line block ×4, first 2 shown]
	s_waitcnt vmcnt(0)
	v_fma_f64 v[14:15], v[49:50], v[53:54], v[14:15]
	v_fma_f64 v[18:19], v[57:58], v[53:54], v[18:19]
	;; [unrolled: 1-line block ×4, first 2 shown]
	s_delay_alu instid0(VALU_DEP_4) | instskip(NEXT) | instid1(VALU_DEP_4)
	v_fma_f64 v[14:15], v[33:34], v[55:56], v[14:15]
	v_fma_f64 v[18:19], v[35:36], v[55:56], v[18:19]
	s_delay_alu instid0(VALU_DEP_4) | instskip(NEXT) | instid1(VALU_DEP_4)
	v_fma_f64 v[16:17], v[37:38], v[55:56], v[16:17]
	v_fma_f64 v[12:13], v[39:40], v[55:56], v[12:13]
	s_and_not1_b32 exec_lo, exec_lo, s10
	s_cbranch_execnz .LBB164_19
; %bb.20:
	s_or_b32 exec_lo, exec_lo, s10
.LBB164_21:
	s_delay_alu instid0(SALU_CYCLE_1) | instskip(NEXT) | instid1(SALU_CYCLE_1)
	s_or_b32 exec_lo, exec_lo, s7
	s_mov_b32 s7, exec_lo
	v_cmpx_lt_u64_e32 0xbf, v[26:27]
	s_cbranch_execz .LBB164_25
; %bb.22:
	v_lshlrev_b64 v[26:27], 3, v[22:23]
	s_mov_b32 s10, 0
	s_delay_alu instid0(VALU_DEP_1) | instskip(NEXT) | instid1(VALU_DEP_2)
	v_add_co_u32 v26, vcc_lo, v26, s8
	v_add_co_ci_u32_e32 v27, vcc_lo, s9, v27, vcc_lo
	s_delay_alu instid0(VALU_DEP_2) | instskip(NEXT) | instid1(VALU_DEP_2)
	v_add_co_u32 v26, vcc_lo, 0x400, v26
	v_add_co_ci_u32_e32 v27, vcc_lo, 0, v27, vcc_lo
.LBB164_23:                             ; =>This Inner Loop Header: Depth=1
	s_clause 0x1
	global_load_b64 v[45:46], v[26:27], off offset:-1024
	global_load_b64 v[69:70], v[26:27], off offset:-512
	s_clause 0x3
	global_load_b128 v[28:31], v[24:25], off
	global_load_b128 v[33:36], v[24:25], off offset:16
	global_load_b128 v[37:40], v[24:25], off offset:32
	;; [unrolled: 1-line block ×3, first 2 shown]
	s_clause 0x1
	global_load_b64 v[93:94], v[26:27], off
	global_load_b64 v[97:98], v[26:27], off offset:512
	s_waitcnt vmcnt(7)
	v_sub_co_u32 v45, vcc_lo, v45, s12
	v_subrev_co_ci_u32_e32 v46, vcc_lo, s15, v46, vcc_lo
	s_waitcnt vmcnt(5)
	v_cvt_f64_f32_e32 v[99:100], v28
	s_waitcnt vmcnt(4)
	v_cvt_f64_f32_e32 v[101:102], v33
	;; [unrolled: 2-line block ×3, first 2 shown]
	v_lshlrev_b64 v[45:46], 5, v[45:46]
	s_waitcnt vmcnt(2)
	v_cvt_f64_f32_e32 v[105:106], v41
	v_cvt_f64_f32_e32 v[28:29], v29
	;; [unrolled: 1-line block ×5, first 2 shown]
	s_waitcnt lgkmcnt(0)
	v_add_co_u32 v49, vcc_lo, s4, v45
	v_add_co_ci_u32_e32 v50, vcc_lo, s5, v46, vcc_lo
	v_add_co_u32 v77, vcc_lo, v24, 0x2000
	v_add_co_ci_u32_e32 v78, vcc_lo, 0, v25, vcc_lo
	s_clause 0x1
	global_load_b128 v[45:48], v[49:50], off
	global_load_b128 v[49:52], v[49:50], off offset:16
	v_add_co_u32 v65, vcc_lo, 0x1000, v24
	v_add_co_ci_u32_e32 v66, vcc_lo, 0, v25, vcc_lo
	s_clause 0x3
	global_load_b128 v[53:56], v[77:78], off offset:-4096
	global_load_b128 v[57:60], v[65:66], off offset:16
	global_load_b128 v[61:64], v[65:66], off offset:32
	;; [unrolled: 1-line block ×3, first 2 shown]
	v_sub_co_u32 v69, vcc_lo, v69, s12
	v_subrev_co_ci_u32_e32 v70, vcc_lo, s15, v70, vcc_lo
	s_delay_alu instid0(VALU_DEP_1) | instskip(NEXT) | instid1(VALU_DEP_1)
	v_lshlrev_b64 v[69:70], 5, v[69:70]
	v_add_co_u32 v73, vcc_lo, s4, v69
	s_delay_alu instid0(VALU_DEP_2)
	v_add_co_ci_u32_e32 v74, vcc_lo, s5, v70, vcc_lo
	s_clause 0x1
	global_load_b128 v[69:72], v[73:74], off
	global_load_b128 v[73:76], v[73:74], off offset:16
	v_add_co_u32 v89, vcc_lo, 0x2000, v24
	v_add_co_ci_u32_e32 v90, vcc_lo, 0, v25, vcc_lo
	s_clause 0x3
	global_load_b128 v[77:80], v[77:78], off
	global_load_b128 v[81:84], v[89:90], off offset:16
	global_load_b128 v[85:88], v[89:90], off offset:32
	;; [unrolled: 1-line block ×3, first 2 shown]
	s_waitcnt vmcnt(13)
	v_sub_co_u32 v93, vcc_lo, v93, s12
	v_subrev_co_ci_u32_e32 v94, vcc_lo, s15, v94, vcc_lo
	s_delay_alu instid0(VALU_DEP_1) | instskip(NEXT) | instid1(VALU_DEP_1)
	v_lshlrev_b64 v[93:94], 5, v[93:94]
	v_add_co_u32 v107, vcc_lo, s4, v93
	s_delay_alu instid0(VALU_DEP_2)
	v_add_co_ci_u32_e32 v108, vcc_lo, s5, v94, vcc_lo
	global_load_b128 v[93:96], v[107:108], off
	s_waitcnt vmcnt(12)
	v_fma_f64 v[14:15], v[99:100], v[45:46], v[14:15]
	v_fma_f64 v[18:19], v[101:102], v[45:46], v[18:19]
	;; [unrolled: 1-line block ×4, first 2 shown]
	v_cvt_f64_f32_e32 v[45:46], v30
	v_cvt_f64_f32_e32 v[99:100], v35
	;; [unrolled: 1-line block ×6, first 2 shown]
	s_waitcnt vmcnt(8)
	v_cvt_f64_f32_e32 v[109:110], v61
	s_waitcnt vmcnt(7)
	v_cvt_f64_f32_e32 v[111:112], v65
	v_cvt_f64_f32_e32 v[61:62], v62
	;; [unrolled: 1-line block ×3, first 2 shown]
	v_fma_f64 v[28:29], v[28:29], v[47:48], v[14:15]
	v_fma_f64 v[18:19], v[33:34], v[47:48], v[18:19]
	;; [unrolled: 1-line block ×4, first 2 shown]
	global_load_b128 v[12:15], v[107:108], off offset:16
	v_cvt_f64_f32_e32 v[41:42], v31
	v_cvt_f64_f32_e32 v[47:48], v36
	v_add_co_u32 v37, vcc_lo, 0x3000, v24
	v_add_co_ci_u32_e32 v38, vcc_lo, 0, v25, vcc_lo
	v_cvt_f64_f32_e32 v[107:108], v57
	v_sub_co_u32 v97, vcc_lo, v97, s12
	v_subrev_co_ci_u32_e32 v98, vcc_lo, s15, v98, vcc_lo
	v_cvt_f64_f32_e32 v[57:58], v58
	v_add_co_u32 v24, s3, 0x4000, v24
	s_delay_alu instid0(VALU_DEP_1)
	v_add_co_ci_u32_e64 v25, s3, 0, v25, s3
	v_fma_f64 v[45:46], v[45:46], v[49:50], v[28:29]
	v_fma_f64 v[99:100], v[99:100], v[49:50], v[18:19]
	v_fma_f64 v[101:102], v[101:102], v[49:50], v[16:17]
	v_fma_f64 v[49:50], v[103:104], v[49:50], v[33:34]
	s_clause 0x3
	global_load_b128 v[16:19], v[37:38], off
	global_load_b128 v[28:31], v[37:38], off offset:16
	global_load_b128 v[33:36], v[37:38], off offset:32
	;; [unrolled: 1-line block ×3, first 2 shown]
	v_cvt_f64_f32_e32 v[103:104], v53
	v_cvt_f64_f32_e32 v[53:54], v54
	v_fma_f64 v[45:46], v[41:42], v[51:52], v[45:46]
	v_fma_f64 v[47:48], v[47:48], v[51:52], v[99:100]
	;; [unrolled: 1-line block ×4, first 2 shown]
	v_lshlrev_b64 v[41:42], 5, v[97:98]
	v_cvt_f64_f32_e32 v[101:102], v63
	s_delay_alu instid0(VALU_DEP_2) | instskip(NEXT) | instid1(VALU_DEP_3)
	v_add_co_u32 v51, vcc_lo, s4, v41
	v_add_co_ci_u32_e32 v52, vcc_lo, s5, v42, vcc_lo
	v_add_co_u32 v22, vcc_lo, 0x100, v22
	v_add_co_ci_u32_e32 v23, vcc_lo, 0, v23, vcc_lo
	global_load_b128 v[41:44], v[51:52], off
	v_add_co_u32 v26, vcc_lo, 0x800, v26
	v_add_co_ci_u32_e32 v27, vcc_lo, 0, v27, vcc_lo
	v_cmp_ge_i64_e32 vcc_lo, v[22:23], v[4:5]
	s_or_b32 s10, vcc_lo, s10
	s_waitcnt vmcnt(12)
	v_fma_f64 v[45:46], v[103:104], v[69:70], v[45:46]
	v_fma_f64 v[47:48], v[107:108], v[69:70], v[47:48]
	;; [unrolled: 1-line block ×4, first 2 shown]
	v_cvt_f64_f32_e32 v[69:70], v55
	v_cvt_f64_f32_e32 v[99:100], v59
	;; [unrolled: 1-line block ×3, first 2 shown]
	v_fma_f64 v[53:54], v[53:54], v[71:72], v[45:46]
	v_fma_f64 v[57:58], v[57:58], v[71:72], v[47:48]
	global_load_b128 v[45:48], v[51:52], off offset:16
	v_fma_f64 v[61:62], v[61:62], v[71:72], v[97:98]
	v_fma_f64 v[49:50], v[65:66], v[71:72], v[49:50]
	v_cvt_f64_f32_e32 v[51:52], v56
	v_cvt_f64_f32_e32 v[55:56], v60
	;; [unrolled: 1-line block ×4, first 2 shown]
	s_waitcnt vmcnt(11)
	v_cvt_f64_f32_e32 v[65:66], v77
	s_waitcnt vmcnt(10)
	v_cvt_f64_f32_e32 v[67:68], v81
	;; [unrolled: 2-line block ×3, first 2 shown]
	v_fma_f64 v[53:54], v[69:70], v[73:74], v[53:54]
	v_fma_f64 v[57:58], v[99:100], v[73:74], v[57:58]
	v_cvt_f64_f32_e32 v[69:70], v85
	v_fma_f64 v[61:62], v[101:102], v[73:74], v[61:62]
	v_fma_f64 v[49:50], v[103:104], v[73:74], v[49:50]
	;; [unrolled: 1-line block ×4, first 2 shown]
	v_cvt_f64_f32_e32 v[57:58], v78
	v_fma_f64 v[55:56], v[59:60], v[75:76], v[61:62]
	v_fma_f64 v[49:50], v[63:64], v[75:76], v[49:50]
	v_cvt_f64_f32_e32 v[59:60], v82
	v_cvt_f64_f32_e32 v[61:62], v86
	;; [unrolled: 1-line block ×3, first 2 shown]
	s_waitcnt vmcnt(7)
	v_fma_f64 v[51:52], v[65:66], v[93:94], v[51:52]
	v_fma_f64 v[53:54], v[67:68], v[93:94], v[53:54]
	v_cvt_f64_f32_e32 v[65:66], v79
	v_fma_f64 v[55:56], v[69:70], v[93:94], v[55:56]
	v_fma_f64 v[49:50], v[71:72], v[93:94], v[49:50]
	v_cvt_f64_f32_e32 v[67:68], v83
	v_cvt_f64_f32_e32 v[69:70], v87
	;; [unrolled: 1-line block ×3, first 2 shown]
	v_fma_f64 v[51:52], v[57:58], v[95:96], v[51:52]
	v_fma_f64 v[53:54], v[59:60], v[95:96], v[53:54]
	v_cvt_f64_f32_e32 v[57:58], v80
	v_fma_f64 v[55:56], v[61:62], v[95:96], v[55:56]
	v_fma_f64 v[49:50], v[63:64], v[95:96], v[49:50]
	v_cvt_f64_f32_e32 v[59:60], v84
	v_cvt_f64_f32_e32 v[61:62], v88
	;; [unrolled: 1-line block ×3, first 2 shown]
	s_waitcnt vmcnt(6)
	v_fma_f64 v[51:52], v[65:66], v[12:13], v[51:52]
	v_fma_f64 v[53:54], v[67:68], v[12:13], v[53:54]
	;; [unrolled: 1-line block ×4, first 2 shown]
	s_waitcnt vmcnt(5)
	v_cvt_f64_f32_e32 v[49:50], v16
	s_waitcnt vmcnt(4)
	v_cvt_f64_f32_e32 v[65:66], v28
	;; [unrolled: 2-line block ×4, first 2 shown]
	v_fma_f64 v[51:52], v[57:58], v[14:15], v[51:52]
	v_fma_f64 v[53:54], v[59:60], v[14:15], v[53:54]
	v_cvt_f64_f32_e32 v[57:58], v39
	v_fma_f64 v[55:56], v[61:62], v[14:15], v[55:56]
	v_fma_f64 v[12:13], v[63:64], v[14:15], v[12:13]
	v_cvt_f64_f32_e32 v[14:15], v17
	v_cvt_f64_f32_e32 v[16:17], v29
	;; [unrolled: 1-line block ×4, first 2 shown]
	s_waitcnt vmcnt(1)
	v_fma_f64 v[37:38], v[49:50], v[41:42], v[51:52]
	v_fma_f64 v[49:50], v[65:66], v[41:42], v[53:54]
	v_cvt_f64_f32_e32 v[53:54], v30
	v_fma_f64 v[51:52], v[67:68], v[41:42], v[55:56]
	v_fma_f64 v[12:13], v[69:70], v[41:42], v[12:13]
	v_cvt_f64_f32_e32 v[41:42], v18
	v_cvt_f64_f32_e32 v[55:56], v35
	;; [unrolled: 1-line block ×4, first 2 shown]
	v_fma_f64 v[14:15], v[14:15], v[43:44], v[37:38]
	v_fma_f64 v[16:17], v[16:17], v[43:44], v[49:50]
	;; [unrolled: 1-line block ×4, first 2 shown]
	v_cvt_f64_f32_e32 v[33:34], v36
	v_cvt_f64_f32_e32 v[35:36], v40
	s_waitcnt vmcnt(0)
	v_fma_f64 v[14:15], v[41:42], v[45:46], v[14:15]
	v_fma_f64 v[16:17], v[53:54], v[45:46], v[16:17]
	;; [unrolled: 1-line block ×4, first 2 shown]
	s_delay_alu instid0(VALU_DEP_4) | instskip(NEXT) | instid1(VALU_DEP_4)
	v_fma_f64 v[14:15], v[18:19], v[47:48], v[14:15]
	v_fma_f64 v[18:19], v[30:31], v[47:48], v[16:17]
	s_delay_alu instid0(VALU_DEP_4) | instskip(NEXT) | instid1(VALU_DEP_4)
	v_fma_f64 v[16:17], v[33:34], v[47:48], v[28:29]
	v_fma_f64 v[12:13], v[35:36], v[47:48], v[12:13]
	s_and_not1_b32 exec_lo, exec_lo, s10
	s_cbranch_execnz .LBB164_23
; %bb.24:
	s_or_b32 exec_lo, exec_lo, s10
.LBB164_25:
	s_delay_alu instid0(SALU_CYCLE_1)
	s_or_b32 exec_lo, exec_lo, s7
.LBB164_26:
	s_delay_alu instid0(SALU_CYCLE_1)
	s_or_b32 exec_lo, exec_lo, s6
	s_cbranch_execz .LBB164_28
	s_branch .LBB164_39
.LBB164_27:
                                        ; implicit-def: $vgpr12_vgpr13
                                        ; implicit-def: $vgpr16_vgpr17
                                        ; implicit-def: $vgpr18_vgpr19
                                        ; implicit-def: $vgpr14_vgpr15
.LBB164_28:
	v_mov_b32_e32 v12, 0
	v_mov_b32_e32 v13, 0
	s_delay_alu instid0(VALU_DEP_1)
	v_dual_mov_b32 v17, v13 :: v_dual_mov_b32 v16, v12
	v_dual_mov_b32 v19, v13 :: v_dual_mov_b32 v18, v12
	;; [unrolled: 1-line block ×3, first 2 shown]
	s_and_saveexec_b32 s3, s2
	s_cbranch_execz .LBB164_38
; %bb.29:
	v_or_b32_e32 v12, 64, v32
	v_not_b32_e32 v15, v20
	v_not_b32_e32 v14, v21
	s_mov_b32 s7, 0
	s_mov_b32 s6, exec_lo
	v_sub_co_u32 v12, s2, v12, s12
	s_delay_alu instid0(VALU_DEP_1) | instskip(SKIP_1) | instid1(VALU_DEP_3)
	v_sub_co_ci_u32_e64 v13, null, 0, s15, s2
	v_sub_co_u32 v16, s2, s12, v32
	v_add_co_u32 v12, vcc_lo, v12, v20
	s_delay_alu instid0(VALU_DEP_3) | instskip(SKIP_1) | instid1(VALU_DEP_2)
	v_add_co_ci_u32_e32 v13, vcc_lo, v13, v21, vcc_lo
	v_sub_co_ci_u32_e64 v17, null, s15, 0, s2
	v_cmp_gt_i64_e32 vcc_lo, v[12:13], v[4:5]
	v_dual_cndmask_b32 v13, v5, v13 :: v_dual_cndmask_b32 v12, v4, v12
	v_add_co_u32 v15, vcc_lo, v16, v15
	s_delay_alu instid0(VALU_DEP_4) | instskip(NEXT) | instid1(VALU_DEP_2)
	v_add_co_ci_u32_e32 v14, vcc_lo, v17, v14, vcc_lo
	v_add_co_u32 v20, vcc_lo, v15, v12
	s_delay_alu instid0(VALU_DEP_2) | instskip(SKIP_1) | instid1(VALU_DEP_3)
	v_add_co_ci_u32_e32 v21, vcc_lo, v14, v13, vcc_lo
	v_mov_b32_e32 v14, 0
	v_lshrrev_b32_e32 v12, 6, v20
	s_delay_alu instid0(VALU_DEP_1) | instskip(NEXT) | instid1(VALU_DEP_1)
	v_dual_mov_b32 v15, 0 :: v_dual_add_nc_u32 v12, 1, v12
	v_dual_mov_b32 v19, v15 :: v_dual_mov_b32 v18, v14
	v_dual_mov_b32 v17, v15 :: v_dual_mov_b32 v16, v14
	s_delay_alu instid0(VALU_DEP_3) | instskip(SKIP_1) | instid1(VALU_DEP_2)
	v_and_b32_e32 v22, 3, v12
	v_dual_mov_b32 v12, v14 :: v_dual_mov_b32 v13, v15
	v_cmpx_ne_u32_e32 0, v22
	s_cbranch_execz .LBB164_33
; %bb.30:
	v_lshlrev_b64 v[14:15], 3, v[0:1]
	v_dual_mov_b32 v23, 0 :: v_dual_mov_b32 v12, 0
	v_dual_mov_b32 v13, 0 :: v_dual_lshlrev_b32 v22, 3, v22
	s_delay_alu instid0(VALU_DEP_3) | instskip(NEXT) | instid1(VALU_DEP_4)
	v_add_co_u32 v24, vcc_lo, s8, v14
	v_add_co_ci_u32_e32 v25, vcc_lo, s9, v15, vcc_lo
	s_delay_alu instid0(VALU_DEP_3)
	v_dual_mov_b32 v17, v13 :: v_dual_mov_b32 v16, v12
	v_dual_mov_b32 v19, v13 :: v_dual_mov_b32 v18, v12
	v_dual_mov_b32 v15, v13 :: v_dual_mov_b32 v14, v12
.LBB164_31:                             ; =>This Inner Loop Header: Depth=1
	global_load_b64 v[30:31], v[24:25], off
	s_clause 0x1
	global_load_b128 v[26:29], v[6:7], off
	global_load_b128 v[33:36], v[6:7], off offset:16
	v_add_co_u32 v24, s2, 0x200, v24
	s_delay_alu instid0(VALU_DEP_1)
	v_add_co_ci_u32_e64 v25, s2, 0, v25, s2
	s_waitcnt vmcnt(2)
	v_sub_co_u32 v30, vcc_lo, v30, s12
	v_subrev_co_ci_u32_e32 v31, vcc_lo, s15, v31, vcc_lo
	s_waitcnt vmcnt(1)
	v_cvt_f64_f32_e32 v[53:54], v28
	v_cvt_f64_f32_e32 v[28:29], v29
	s_waitcnt vmcnt(0)
	v_cvt_f64_f32_e32 v[55:56], v33
	v_lshlrev_b64 v[30:31], 5, v[30:31]
	v_cvt_f64_f32_e32 v[33:34], v34
	v_cvt_f64_f32_e32 v[57:58], v35
	v_cvt_f64_f32_e32 v[35:36], v36
	s_waitcnt lgkmcnt(0)
	s_delay_alu instid0(VALU_DEP_4)
	v_add_co_u32 v30, vcc_lo, s4, v30
	v_add_co_ci_u32_e32 v31, vcc_lo, s5, v31, vcc_lo
	s_clause 0x1
	global_load_b128 v[37:40], v[30:31], off
	global_load_b128 v[41:44], v[30:31], off offset:16
	s_clause 0x1
	global_load_b128 v[45:48], v[6:7], off offset:32
	global_load_b128 v[49:52], v[6:7], off offset:48
	v_cvt_f64_f32_e32 v[30:31], v26
	v_cvt_f64_f32_e32 v[26:27], v27
	v_add_co_u32 v6, vcc_lo, 0x1000, v6
	v_add_co_ci_u32_e32 v7, vcc_lo, 0, v7, vcc_lo
	v_add_co_u32 v22, vcc_lo, v22, -8
	v_add_co_ci_u32_e32 v23, vcc_lo, -1, v23, vcc_lo
	v_add_co_u32 v0, vcc_lo, v0, 64
	v_add_co_ci_u32_e32 v1, vcc_lo, 0, v1, vcc_lo
	s_delay_alu instid0(VALU_DEP_3)
	v_cmp_eq_u64_e32 vcc_lo, 0, v[22:23]
	s_or_b32 s7, vcc_lo, s7
	s_waitcnt vmcnt(3)
	v_fma_f64 v[14:15], v[30:31], v[37:38], v[14:15]
	v_fma_f64 v[18:19], v[26:27], v[37:38], v[18:19]
	;; [unrolled: 1-line block ×4, first 2 shown]
	s_waitcnt vmcnt(1)
	v_cvt_f64_f32_e32 v[26:27], v45
	v_cvt_f64_f32_e32 v[28:29], v46
	;; [unrolled: 1-line block ×4, first 2 shown]
	s_waitcnt vmcnt(0)
	v_cvt_f64_f32_e32 v[45:46], v52
	v_fma_f64 v[14:15], v[55:56], v[39:40], v[14:15]
	v_fma_f64 v[18:19], v[33:34], v[39:40], v[18:19]
	;; [unrolled: 1-line block ×4, first 2 shown]
	v_cvt_f64_f32_e32 v[33:34], v49
	v_cvt_f64_f32_e32 v[35:36], v50
	;; [unrolled: 1-line block ×3, first 2 shown]
	v_fma_f64 v[14:15], v[26:27], v[41:42], v[14:15]
	v_fma_f64 v[18:19], v[28:29], v[41:42], v[18:19]
	;; [unrolled: 1-line block ×4, first 2 shown]
	s_delay_alu instid0(VALU_DEP_4) | instskip(NEXT) | instid1(VALU_DEP_4)
	v_fma_f64 v[14:15], v[33:34], v[43:44], v[14:15]
	v_fma_f64 v[18:19], v[35:36], v[43:44], v[18:19]
	s_delay_alu instid0(VALU_DEP_4) | instskip(NEXT) | instid1(VALU_DEP_4)
	v_fma_f64 v[16:17], v[39:40], v[43:44], v[16:17]
	v_fma_f64 v[12:13], v[45:46], v[43:44], v[12:13]
	s_and_not1_b32 exec_lo, exec_lo, s7
	s_cbranch_execnz .LBB164_31
; %bb.32:
	s_or_b32 exec_lo, exec_lo, s7
.LBB164_33:
	s_delay_alu instid0(SALU_CYCLE_1) | instskip(NEXT) | instid1(SALU_CYCLE_1)
	s_or_b32 exec_lo, exec_lo, s6
	s_mov_b32 s6, exec_lo
	v_cmpx_lt_u64_e32 0xbf, v[20:21]
	s_cbranch_execz .LBB164_37
; %bb.34:
	v_lshlrev_b64 v[20:21], 3, v[0:1]
	s_mov_b32 s7, 0
	s_delay_alu instid0(VALU_DEP_1) | instskip(NEXT) | instid1(VALU_DEP_2)
	v_add_co_u32 v20, vcc_lo, v20, s8
	v_add_co_ci_u32_e32 v21, vcc_lo, s9, v21, vcc_lo
	s_delay_alu instid0(VALU_DEP_2) | instskip(NEXT) | instid1(VALU_DEP_2)
	v_add_co_u32 v20, vcc_lo, 0x400, v20
	v_add_co_ci_u32_e32 v21, vcc_lo, 0, v21, vcc_lo
.LBB164_35:                             ; =>This Inner Loop Header: Depth=1
	s_clause 0x1
	global_load_b64 v[30:31], v[20:21], off offset:-1024
	global_load_b64 v[53:54], v[20:21], off offset:-512
	global_load_b128 v[22:25], v[6:7], off
	global_load_b64 v[77:78], v[20:21], off
	global_load_b128 v[26:29], v[6:7], off offset:16
	global_load_b64 v[81:82], v[20:21], off offset:512
	s_waitcnt vmcnt(5)
	v_sub_co_u32 v30, vcc_lo, v30, s12
	v_subrev_co_ci_u32_e32 v31, vcc_lo, s15, v31, vcc_lo
	s_waitcnt vmcnt(3)
	v_cvt_f64_f32_e32 v[83:84], v22
	v_cvt_f64_f32_e32 v[85:86], v23
	;; [unrolled: 1-line block ×3, first 2 shown]
	v_lshlrev_b64 v[30:31], 5, v[30:31]
	v_cvt_f64_f32_e32 v[89:90], v25
	s_waitcnt vmcnt(1)
	v_cvt_f64_f32_e32 v[93:94], v26
	v_cvt_f64_f32_e32 v[26:27], v27
	;; [unrolled: 1-line block ×4, first 2 shown]
	s_waitcnt lgkmcnt(0)
	v_add_co_u32 v30, vcc_lo, s4, v30
	v_add_co_ci_u32_e32 v31, vcc_lo, s5, v31, vcc_lo
	global_load_b128 v[33:36], v[30:31], off
	s_clause 0x1
	global_load_b128 v[37:40], v[6:7], off offset:32
	global_load_b128 v[41:44], v[6:7], off offset:48
	;; [unrolled: 1-line block ×3, first 2 shown]
	v_add_co_u32 v30, vcc_lo, v6, 0x2000
	v_add_co_ci_u32_e32 v31, vcc_lo, 0, v7, vcc_lo
	v_add_co_u32 v65, vcc_lo, 0x1000, v6
	v_add_co_ci_u32_e32 v66, vcc_lo, 0, v7, vcc_lo
	global_load_b128 v[49:52], v[30:31], off offset:-4096
	v_sub_co_u32 v53, vcc_lo, v53, s12
	v_subrev_co_ci_u32_e32 v54, vcc_lo, s15, v54, vcc_lo
	s_delay_alu instid0(VALU_DEP_1) | instskip(NEXT) | instid1(VALU_DEP_1)
	v_lshlrev_b64 v[53:54], 5, v[53:54]
	v_add_co_u32 v69, vcc_lo, s4, v53
	s_delay_alu instid0(VALU_DEP_2)
	v_add_co_ci_u32_e32 v70, vcc_lo, s5, v54, vcc_lo
	global_load_b128 v[53:56], v[65:66], off offset:16
	global_load_b128 v[57:60], v[69:70], off
	s_clause 0x1
	global_load_b128 v[61:64], v[65:66], off offset:32
	global_load_b128 v[65:68], v[65:66], off offset:48
	;; [unrolled: 1-line block ×3, first 2 shown]
	global_load_b128 v[73:76], v[30:31], off
	v_add_co_u32 v30, vcc_lo, 0x2000, v6
	v_add_co_ci_u32_e32 v31, vcc_lo, 0, v7, vcc_lo
	v_sub_co_u32 v22, vcc_lo, v77, s12
	v_subrev_co_ci_u32_e32 v23, vcc_lo, s15, v78, vcc_lo
	s_delay_alu instid0(VALU_DEP_1) | instskip(NEXT) | instid1(VALU_DEP_1)
	v_lshlrev_b64 v[22:23], 5, v[22:23]
	v_add_co_u32 v91, vcc_lo, s4, v22
	s_delay_alu instid0(VALU_DEP_2)
	v_add_co_ci_u32_e32 v92, vcc_lo, s5, v23, vcc_lo
	global_load_b128 v[22:25], v[30:31], off offset:16
	global_load_b128 v[77:80], v[91:92], off
	s_waitcnt vmcnt(12)
	v_fma_f64 v[83:84], v[83:84], v[33:34], v[14:15]
	v_fma_f64 v[18:19], v[85:86], v[33:34], v[18:19]
	v_fma_f64 v[16:17], v[87:88], v[33:34], v[16:17]
	v_fma_f64 v[33:34], v[89:90], v[33:34], v[12:13]
	global_load_b128 v[12:15], v[30:31], off offset:32
	s_waitcnt vmcnt(12)
	v_cvt_f64_f32_e32 v[85:86], v37
	v_cvt_f64_f32_e32 v[37:38], v38
	;; [unrolled: 1-line block ×4, first 2 shown]
	v_fma_f64 v[83:84], v[93:94], v[35:36], v[83:84]
	v_fma_f64 v[89:90], v[26:27], v[35:36], v[18:19]
	;; [unrolled: 1-line block ×4, first 2 shown]
	global_load_b128 v[16:19], v[30:31], off offset:48
	global_load_b128 v[26:29], v[91:92], off offset:16
	s_waitcnt vmcnt(13)
	v_cvt_f64_f32_e32 v[30:31], v41
	v_cvt_f64_f32_e32 v[41:42], v42
	;; [unrolled: 1-line block ×4, first 2 shown]
	s_waitcnt vmcnt(10)
	v_cvt_f64_f32_e32 v[95:96], v55
	v_cvt_f64_f32_e32 v[55:56], v56
	v_fma_f64 v[83:84], v[85:86], v[45:46], v[83:84]
	v_fma_f64 v[37:38], v[37:38], v[45:46], v[89:90]
	;; [unrolled: 1-line block ×4, first 2 shown]
	v_add_co_u32 v87, vcc_lo, 0x3000, v6
	v_add_co_ci_u32_e32 v88, vcc_lo, 0, v7, vcc_lo
	v_cvt_f64_f32_e32 v[89:90], v49
	v_cvt_f64_f32_e32 v[49:50], v50
	;; [unrolled: 1-line block ×3, first 2 shown]
	global_load_b128 v[33:36], v[87:88], off
	v_cvt_f64_f32_e32 v[51:52], v52
	v_sub_co_u32 v45, vcc_lo, v81, s12
	v_subrev_co_ci_u32_e32 v46, vcc_lo, s15, v82, vcc_lo
	v_add_co_u32 v6, s2, 0x4000, v6
	s_delay_alu instid0(VALU_DEP_1)
	v_add_co_ci_u32_e64 v7, s2, 0, v7, s2
	v_fma_f64 v[30:31], v[30:31], v[47:48], v[83:84]
	v_fma_f64 v[83:84], v[41:42], v[47:48], v[37:38]
	;; [unrolled: 1-line block ×4, first 2 shown]
	v_lshlrev_b64 v[37:38], 5, v[45:46]
	v_cvt_f64_f32_e32 v[91:92], v53
	v_cvt_f64_f32_e32 v[53:54], v54
	s_delay_alu instid0(VALU_DEP_3) | instskip(NEXT) | instid1(VALU_DEP_4)
	v_add_co_u32 v81, vcc_lo, s4, v37
	v_add_co_ci_u32_e32 v82, vcc_lo, s5, v38, vcc_lo
	global_load_b128 v[37:40], v[87:88], off offset:16
	global_load_b128 v[41:44], v[81:82], off
	v_add_co_u32 v0, vcc_lo, 0x100, v0
	v_add_co_ci_u32_e32 v1, vcc_lo, 0, v1, vcc_lo
	v_add_co_u32 v20, vcc_lo, 0x800, v20
	v_add_co_ci_u32_e32 v21, vcc_lo, 0, v21, vcc_lo
	s_delay_alu instid0(VALU_DEP_3)
	v_cmp_ge_i64_e32 vcc_lo, v[0:1], v[4:5]
	s_or_b32 s7, vcc_lo, s7
	s_waitcnt vmcnt(12)
	v_fma_f64 v[30:31], v[89:90], v[57:58], v[30:31]
	v_fma_f64 v[49:50], v[49:50], v[57:58], v[83:84]
	;; [unrolled: 1-line block ×4, first 2 shown]
	global_load_b128 v[45:48], v[87:88], off offset:32
	s_waitcnt vmcnt(12)
	v_cvt_f64_f32_e32 v[57:58], v61
	v_cvt_f64_f32_e32 v[61:62], v62
	;; [unrolled: 1-line block ×4, first 2 shown]
	v_fma_f64 v[30:31], v[91:92], v[59:60], v[30:31]
	v_fma_f64 v[89:90], v[53:54], v[59:60], v[49:50]
	;; [unrolled: 1-line block ×4, first 2 shown]
	global_load_b128 v[49:52], v[87:88], off offset:48
	global_load_b128 v[53:56], v[81:82], off offset:16
	s_waitcnt vmcnt(13)
	v_cvt_f64_f32_e32 v[81:82], v65
	v_cvt_f64_f32_e32 v[65:66], v66
	v_cvt_f64_f32_e32 v[87:88], v67
	v_cvt_f64_f32_e32 v[67:68], v68
	s_waitcnt vmcnt(12)
	v_fma_f64 v[30:31], v[57:58], v[69:70], v[30:31]
	v_fma_f64 v[57:58], v[61:62], v[69:70], v[89:90]
	v_fma_f64 v[61:62], v[85:86], v[69:70], v[83:84]
	v_fma_f64 v[59:60], v[63:64], v[69:70], v[59:60]
	s_waitcnt vmcnt(11)
	v_cvt_f64_f32_e32 v[63:64], v73
	v_cvt_f64_f32_e32 v[69:70], v74
	v_cvt_f64_f32_e32 v[73:74], v75
	v_cvt_f64_f32_e32 v[75:76], v76
	v_fma_f64 v[30:31], v[81:82], v[71:72], v[30:31]
	v_fma_f64 v[57:58], v[65:66], v[71:72], v[57:58]
	v_fma_f64 v[61:62], v[87:88], v[71:72], v[61:62]
	v_fma_f64 v[59:60], v[67:68], v[71:72], v[59:60]
	s_waitcnt vmcnt(10)
	v_cvt_f64_f32_e32 v[65:66], v22
	v_cvt_f64_f32_e32 v[22:23], v23
	v_cvt_f64_f32_e32 v[67:68], v24
	v_cvt_f64_f32_e32 v[24:25], v25
	s_waitcnt vmcnt(9)
	v_fma_f64 v[30:31], v[63:64], v[77:78], v[30:31]
	v_fma_f64 v[57:58], v[69:70], v[77:78], v[57:58]
	v_fma_f64 v[61:62], v[73:74], v[77:78], v[61:62]
	v_fma_f64 v[59:60], v[75:76], v[77:78], v[59:60]
	s_waitcnt vmcnt(8)
	v_cvt_f64_f32_e32 v[63:64], v12
	v_cvt_f64_f32_e32 v[12:13], v13
	v_cvt_f64_f32_e32 v[69:70], v14
	v_cvt_f64_f32_e32 v[14:15], v15
	v_fma_f64 v[30:31], v[65:66], v[79:80], v[30:31]
	v_fma_f64 v[22:23], v[22:23], v[79:80], v[57:58]
	v_fma_f64 v[57:58], v[67:68], v[79:80], v[61:62]
	v_fma_f64 v[24:25], v[24:25], v[79:80], v[59:60]
	;; [unrolled: 19-line block ×4, first 2 shown]
	s_waitcnt vmcnt(1)
	v_cvt_f64_f32_e32 v[22:23], v49
	v_cvt_f64_f32_e32 v[24:25], v50
	v_cvt_f64_f32_e32 v[28:29], v51
	v_cvt_f64_f32_e32 v[37:38], v52
	s_waitcnt vmcnt(0)
	v_fma_f64 v[18:19], v[26:27], v[53:54], v[18:19]
	v_fma_f64 v[12:13], v[30:31], v[53:54], v[12:13]
	;; [unrolled: 1-line block ×4, first 2 shown]
	s_delay_alu instid0(VALU_DEP_4) | instskip(NEXT) | instid1(VALU_DEP_4)
	v_fma_f64 v[14:15], v[22:23], v[55:56], v[18:19]
	v_fma_f64 v[18:19], v[24:25], v[55:56], v[12:13]
	s_delay_alu instid0(VALU_DEP_4) | instskip(NEXT) | instid1(VALU_DEP_4)
	v_fma_f64 v[16:17], v[28:29], v[55:56], v[16:17]
	v_fma_f64 v[12:13], v[37:38], v[55:56], v[26:27]
	s_and_not1_b32 exec_lo, exec_lo, s7
	s_cbranch_execnz .LBB164_35
; %bb.36:
	s_or_b32 exec_lo, exec_lo, s7
.LBB164_37:
	s_delay_alu instid0(SALU_CYCLE_1)
	s_or_b32 exec_lo, exec_lo, s6
.LBB164_38:
	s_delay_alu instid0(SALU_CYCLE_1)
	s_or_b32 exec_lo, exec_lo, s3
.LBB164_39:
	v_mbcnt_lo_u32_b32 v24, -1, 0
	s_delay_alu instid0(VALU_DEP_1) | instskip(NEXT) | instid1(VALU_DEP_1)
	v_or_b32_e32 v0, 32, v24
	v_cmp_gt_i32_e32 vcc_lo, 32, v0
	v_cndmask_b32_e32 v0, v24, v0, vcc_lo
	s_delay_alu instid0(VALU_DEP_1)
	v_lshlrev_b32_e32 v21, 2, v0
	ds_bpermute_b32 v0, v21, v14
	ds_bpermute_b32 v1, v21, v15
	s_waitcnt lgkmcnt(0)
	v_add_f64 v[0:1], v[14:15], v[0:1]
	v_xor_b32_e32 v14, 16, v24
	s_delay_alu instid0(VALU_DEP_1)
	v_cmp_gt_i32_e32 vcc_lo, 32, v14
	v_cndmask_b32_e32 v14, v24, v14, vcc_lo
	ds_bpermute_b32 v4, v21, v18
	ds_bpermute_b32 v5, v21, v19
	;; [unrolled: 1-line block ×6, first 2 shown]
	s_waitcnt lgkmcnt(4)
	v_add_f64 v[4:5], v[18:19], v[4:5]
	s_waitcnt lgkmcnt(2)
	v_add_f64 v[6:7], v[16:17], v[6:7]
	s_waitcnt lgkmcnt(0)
	v_add_f64 v[12:13], v[12:13], v[20:21]
	v_lshlrev_b32_e32 v21, 2, v14
	ds_bpermute_b32 v14, v21, v0
	ds_bpermute_b32 v15, v21, v1
	s_waitcnt lgkmcnt(0)
	v_add_f64 v[0:1], v[0:1], v[14:15]
	v_xor_b32_e32 v14, 8, v24
	s_delay_alu instid0(VALU_DEP_1)
	v_cmp_gt_i32_e32 vcc_lo, 32, v14
	ds_bpermute_b32 v16, v21, v4
	ds_bpermute_b32 v17, v21, v5
	;; [unrolled: 1-line block ×6, first 2 shown]
	v_cndmask_b32_e32 v14, v24, v14, vcc_lo
	s_waitcnt lgkmcnt(4)
	v_add_f64 v[4:5], v[4:5], v[16:17]
	s_waitcnt lgkmcnt(2)
	v_add_f64 v[6:7], v[6:7], v[18:19]
	;; [unrolled: 2-line block ×3, first 2 shown]
	v_lshlrev_b32_e32 v21, 2, v14
	ds_bpermute_b32 v14, v21, v0
	ds_bpermute_b32 v15, v21, v1
	s_waitcnt lgkmcnt(0)
	v_add_f64 v[0:1], v[0:1], v[14:15]
	v_xor_b32_e32 v14, 4, v24
	s_delay_alu instid0(VALU_DEP_1)
	v_cmp_gt_i32_e32 vcc_lo, 32, v14
	ds_bpermute_b32 v16, v21, v4
	ds_bpermute_b32 v17, v21, v5
	;; [unrolled: 1-line block ×6, first 2 shown]
	v_cndmask_b32_e32 v14, v24, v14, vcc_lo
	s_waitcnt lgkmcnt(4)
	v_add_f64 v[4:5], v[4:5], v[16:17]
	s_waitcnt lgkmcnt(2)
	v_add_f64 v[6:7], v[6:7], v[18:19]
	;; [unrolled: 2-line block ×3, first 2 shown]
	v_lshlrev_b32_e32 v21, 2, v14
	ds_bpermute_b32 v14, v21, v0
	ds_bpermute_b32 v15, v21, v1
	s_waitcnt lgkmcnt(0)
	v_add_f64 v[0:1], v[0:1], v[14:15]
	ds_bpermute_b32 v16, v21, v4
	ds_bpermute_b32 v17, v21, v5
	;; [unrolled: 1-line block ×6, first 2 shown]
	s_waitcnt lgkmcnt(4)
	v_add_f64 v[4:5], v[4:5], v[16:17]
	s_waitcnt lgkmcnt(2)
	v_add_f64 v[14:15], v[6:7], v[18:19]
	v_xor_b32_e32 v6, 2, v24
	s_waitcnt lgkmcnt(0)
	v_add_f64 v[16:17], v[12:13], v[20:21]
	s_delay_alu instid0(VALU_DEP_2) | instskip(SKIP_1) | instid1(VALU_DEP_1)
	v_cmp_gt_i32_e32 vcc_lo, 32, v6
	v_cndmask_b32_e32 v6, v24, v6, vcc_lo
	v_lshlrev_b32_e32 v12, 2, v6
	ds_bpermute_b32 v6, v12, v0
	ds_bpermute_b32 v7, v12, v1
	;; [unrolled: 1-line block ×8, first 2 shown]
	s_waitcnt lgkmcnt(6)
	v_add_f64 v[12:13], v[0:1], v[6:7]
	s_waitcnt lgkmcnt(4)
	v_add_f64 v[6:7], v[4:5], v[18:19]
	;; [unrolled: 2-line block ×3, first 2 shown]
	v_xor_b32_e32 v14, 1, v24
	s_waitcnt lgkmcnt(0)
	v_add_f64 v[4:5], v[16:17], v[22:23]
	s_delay_alu instid0(VALU_DEP_2) | instskip(SKIP_2) | instid1(VALU_DEP_2)
	v_cmp_gt_i32_e32 vcc_lo, 32, v14
	v_cndmask_b32_e32 v14, v24, v14, vcc_lo
	v_cmp_eq_u32_e32 vcc_lo, 63, v32
	v_lshlrev_b32_e32 v15, 2, v14
	ds_bpermute_b32 v20, v15, v12
	ds_bpermute_b32 v21, v15, v13
	;; [unrolled: 1-line block ×8, first 2 shown]
	s_and_b32 exec_lo, exec_lo, vcc_lo
	s_cbranch_execz .LBB164_10
; %bb.40:
	s_waitcnt lgkmcnt(6)
	v_add_f64 v[12:13], v[12:13], v[20:21]
	s_waitcnt lgkmcnt(4)
	v_add_f64 v[6:7], v[6:7], v[18:19]
	;; [unrolled: 2-line block ×4, first 2 shown]
	s_load_b64 s[0:1], s[0:1], 0x58
	v_lshlrev_b64 v[10:11], 5, v[10:11]
	s_mov_b32 s2, exec_lo
	v_mul_f64 v[4:5], v[2:3], v[12:13]
	v_mul_f64 v[6:7], v[2:3], v[6:7]
	;; [unrolled: 1-line block ×4, first 2 shown]
	v_cmpx_eq_f64_e32 0, v[8:9]
	s_xor_b32 s2, exec_lo, s2
	s_cbranch_execz .LBB164_42
; %bb.41:
	s_waitcnt lgkmcnt(0)
	v_add_co_u32 v8, vcc_lo, s0, v10
	v_add_co_ci_u32_e32 v9, vcc_lo, s1, v11, vcc_lo
                                        ; implicit-def: $vgpr10_vgpr11
	s_clause 0x1
	global_store_b128 v[8:9], v[4:7], off
	global_store_b128 v[8:9], v[0:3], off offset:16
                                        ; implicit-def: $vgpr8_vgpr9
                                        ; implicit-def: $vgpr4_vgpr5
                                        ; implicit-def: $vgpr0_vgpr1
.LBB164_42:
	s_and_not1_saveexec_b32 s2, s2
	s_cbranch_execz .LBB164_10
; %bb.43:
	s_waitcnt lgkmcnt(0)
	v_add_co_u32 v18, vcc_lo, s0, v10
	v_add_co_ci_u32_e32 v19, vcc_lo, s1, v11, vcc_lo
	s_clause 0x1
	global_load_b128 v[10:13], v[18:19], off
	global_load_b128 v[14:17], v[18:19], off offset:16
	s_waitcnt vmcnt(1)
	v_fma_f64 v[4:5], v[8:9], v[10:11], v[4:5]
	v_fma_f64 v[6:7], v[8:9], v[12:13], v[6:7]
	s_waitcnt vmcnt(0)
	v_fma_f64 v[0:1], v[8:9], v[14:15], v[0:1]
	v_fma_f64 v[2:3], v[8:9], v[16:17], v[2:3]
	s_clause 0x1
	global_store_b128 v[18:19], v[4:7], off
	global_store_b128 v[18:19], v[0:3], off offset:16
	s_nop 0
	s_sendmsg sendmsg(MSG_DEALLOC_VGPRS)
	s_endpgm
	.section	.rodata,"a",@progbits
	.p2align	6, 0x0
	.amdhsa_kernel _ZN9rocsparseL18bsrxmvn_4x4_kernelILj128ELj64EdllfddEEvT3_20rocsparse_direction_NS_24const_host_device_scalarIT1_EES1_PKS1_PKT2_SA_S7_PKT4_PKT5_S5_PT6_21rocsparse_index_base_b
		.amdhsa_group_segment_fixed_size 0
		.amdhsa_private_segment_fixed_size 0
		.amdhsa_kernarg_size 104
		.amdhsa_user_sgpr_count 15
		.amdhsa_user_sgpr_dispatch_ptr 0
		.amdhsa_user_sgpr_queue_ptr 0
		.amdhsa_user_sgpr_kernarg_segment_ptr 1
		.amdhsa_user_sgpr_dispatch_id 0
		.amdhsa_user_sgpr_private_segment_size 0
		.amdhsa_wavefront_size32 1
		.amdhsa_uses_dynamic_stack 0
		.amdhsa_enable_private_segment 0
		.amdhsa_system_sgpr_workgroup_id_x 1
		.amdhsa_system_sgpr_workgroup_id_y 0
		.amdhsa_system_sgpr_workgroup_id_z 0
		.amdhsa_system_sgpr_workgroup_info 0
		.amdhsa_system_vgpr_workitem_id 0
		.amdhsa_next_free_vgpr 113
		.amdhsa_next_free_sgpr 16
		.amdhsa_reserve_vcc 1
		.amdhsa_float_round_mode_32 0
		.amdhsa_float_round_mode_16_64 0
		.amdhsa_float_denorm_mode_32 3
		.amdhsa_float_denorm_mode_16_64 3
		.amdhsa_dx10_clamp 1
		.amdhsa_ieee_mode 1
		.amdhsa_fp16_overflow 0
		.amdhsa_workgroup_processor_mode 1
		.amdhsa_memory_ordered 1
		.amdhsa_forward_progress 0
		.amdhsa_shared_vgpr_count 0
		.amdhsa_exception_fp_ieee_invalid_op 0
		.amdhsa_exception_fp_denorm_src 0
		.amdhsa_exception_fp_ieee_div_zero 0
		.amdhsa_exception_fp_ieee_overflow 0
		.amdhsa_exception_fp_ieee_underflow 0
		.amdhsa_exception_fp_ieee_inexact 0
		.amdhsa_exception_int_div_zero 0
	.end_amdhsa_kernel
	.section	.text._ZN9rocsparseL18bsrxmvn_4x4_kernelILj128ELj64EdllfddEEvT3_20rocsparse_direction_NS_24const_host_device_scalarIT1_EES1_PKS1_PKT2_SA_S7_PKT4_PKT5_S5_PT6_21rocsparse_index_base_b,"axG",@progbits,_ZN9rocsparseL18bsrxmvn_4x4_kernelILj128ELj64EdllfddEEvT3_20rocsparse_direction_NS_24const_host_device_scalarIT1_EES1_PKS1_PKT2_SA_S7_PKT4_PKT5_S5_PT6_21rocsparse_index_base_b,comdat
.Lfunc_end164:
	.size	_ZN9rocsparseL18bsrxmvn_4x4_kernelILj128ELj64EdllfddEEvT3_20rocsparse_direction_NS_24const_host_device_scalarIT1_EES1_PKS1_PKT2_SA_S7_PKT4_PKT5_S5_PT6_21rocsparse_index_base_b, .Lfunc_end164-_ZN9rocsparseL18bsrxmvn_4x4_kernelILj128ELj64EdllfddEEvT3_20rocsparse_direction_NS_24const_host_device_scalarIT1_EES1_PKS1_PKT2_SA_S7_PKT4_PKT5_S5_PT6_21rocsparse_index_base_b
                                        ; -- End function
	.section	.AMDGPU.csdata,"",@progbits
; Kernel info:
; codeLenInByte = 6032
; NumSgprs: 18
; NumVgprs: 113
; ScratchSize: 0
; MemoryBound: 0
; FloatMode: 240
; IeeeMode: 1
; LDSByteSize: 0 bytes/workgroup (compile time only)
; SGPRBlocks: 2
; VGPRBlocks: 14
; NumSGPRsForWavesPerEU: 18
; NumVGPRsForWavesPerEU: 113
; Occupancy: 12
; WaveLimiterHint : 1
; COMPUTE_PGM_RSRC2:SCRATCH_EN: 0
; COMPUTE_PGM_RSRC2:USER_SGPR: 15
; COMPUTE_PGM_RSRC2:TRAP_HANDLER: 0
; COMPUTE_PGM_RSRC2:TGID_X_EN: 1
; COMPUTE_PGM_RSRC2:TGID_Y_EN: 0
; COMPUTE_PGM_RSRC2:TGID_Z_EN: 0
; COMPUTE_PGM_RSRC2:TIDIG_COMP_CNT: 0
	.section	.text._ZN9rocsparseL18bsrxmvn_4x4_kernelILj128ELj4E21rocsparse_complex_numIdEiiS1_IfES2_S2_EEvT3_20rocsparse_direction_NS_24const_host_device_scalarIT1_EES4_PKS4_PKT2_SD_SA_PKT4_PKT5_S8_PT6_21rocsparse_index_base_b,"axG",@progbits,_ZN9rocsparseL18bsrxmvn_4x4_kernelILj128ELj4E21rocsparse_complex_numIdEiiS1_IfES2_S2_EEvT3_20rocsparse_direction_NS_24const_host_device_scalarIT1_EES4_PKS4_PKT2_SD_SA_PKT4_PKT5_S8_PT6_21rocsparse_index_base_b,comdat
	.globl	_ZN9rocsparseL18bsrxmvn_4x4_kernelILj128ELj4E21rocsparse_complex_numIdEiiS1_IfES2_S2_EEvT3_20rocsparse_direction_NS_24const_host_device_scalarIT1_EES4_PKS4_PKT2_SD_SA_PKT4_PKT5_S8_PT6_21rocsparse_index_base_b ; -- Begin function _ZN9rocsparseL18bsrxmvn_4x4_kernelILj128ELj4E21rocsparse_complex_numIdEiiS1_IfES2_S2_EEvT3_20rocsparse_direction_NS_24const_host_device_scalarIT1_EES4_PKS4_PKT2_SD_SA_PKT4_PKT5_S8_PT6_21rocsparse_index_base_b
	.p2align	8
	.type	_ZN9rocsparseL18bsrxmvn_4x4_kernelILj128ELj4E21rocsparse_complex_numIdEiiS1_IfES2_S2_EEvT3_20rocsparse_direction_NS_24const_host_device_scalarIT1_EES4_PKS4_PKT2_SD_SA_PKT4_PKT5_S8_PT6_21rocsparse_index_base_b,@function
_ZN9rocsparseL18bsrxmvn_4x4_kernelILj128ELj4E21rocsparse_complex_numIdEiiS1_IfES2_S2_EEvT3_20rocsparse_direction_NS_24const_host_device_scalarIT1_EES4_PKS4_PKT2_SD_SA_PKT4_PKT5_S8_PT6_21rocsparse_index_base_b: ; @_ZN9rocsparseL18bsrxmvn_4x4_kernelILj128ELj4E21rocsparse_complex_numIdEiiS1_IfES2_S2_EEvT3_20rocsparse_direction_NS_24const_host_device_scalarIT1_EES4_PKS4_PKT2_SD_SA_PKT4_PKT5_S8_PT6_21rocsparse_index_base_b
; %bb.0:
	s_load_b64 s[12:13], s[2:3], 0x68
	s_load_b64 s[16:17], s[0:1], 0x4
	s_load_b128 s[8:11], s[2:3], 0x8
	v_bfe_u32 v1, v0, 10, 10
	s_mov_b64 s[0:1], src_shared_base
	s_load_b128 s[4:7], s[2:3], 0x50
	v_and_b32_e32 v4, 0x3ff, v0
	v_bfe_u32 v0, v0, 20, 10
	s_waitcnt lgkmcnt(0)
	s_bitcmp1_b32 s13, 0
	v_mul_u32_u24_e32 v1, s17, v1
	s_cselect_b32 s0, -1, 0
	s_delay_alu instid0(SALU_CYCLE_1)
	s_and_b32 vcc_lo, s0, exec_lo
	s_cselect_b32 s13, s1, s9
	s_lshr_b32 s14, s16, 16
	v_mov_b32_e32 v2, s4
	s_mul_i32 s14, s14, s17
	v_mov_b32_e32 v7, s13
	v_mad_u32_u24 v1, s14, v4, v1
	v_mov_b32_e32 v3, s5
	s_delay_alu instid0(VALU_DEP_2) | instskip(SKIP_1) | instid1(VALU_DEP_2)
	v_add_lshl_u32 v5, v1, v0, 3
	v_dual_mov_b32 v0, s8 :: v_dual_mov_b32 v1, s9
	v_add_nc_u32_e32 v6, 0x400, v5
	ds_store_2addr_stride64_b64 v5, v[2:3], v[0:1] offset1:2
	v_dual_mov_b32 v2, s10 :: v_dual_mov_b32 v3, s11
	v_cndmask_b32_e64 v6, s8, v6, s0
	s_xor_b32 s10, s0, -1
	flat_load_b64 v[0:1], v[6:7]
	s_cbranch_vccnz .LBB165_2
; %bb.1:
	v_dual_mov_b32 v2, s8 :: v_dual_mov_b32 v3, s9
	flat_load_b64 v[2:3], v[2:3] offset:8
.LBB165_2:
	s_and_b32 s8, s0, exec_lo
	s_cselect_b32 s1, s1, s5
	v_cndmask_b32_e64 v5, s4, v5, s0
	v_dual_mov_b32 v6, s1 :: v_dual_mov_b32 v19, s7
	v_mov_b32_e32 v18, s6
	s_and_not1_b32 vcc_lo, exec_lo, s10
	flat_load_b64 v[16:17], v[5:6]
	s_cbranch_vccnz .LBB165_4
; %bb.3:
	v_dual_mov_b32 v6, s5 :: v_dual_mov_b32 v5, s4
	flat_load_b64 v[18:19], v[5:6] offset:8
.LBB165_4:
	s_waitcnt vmcnt(1) lgkmcnt(1)
	v_cmp_eq_f64_e32 vcc_lo, 0, v[0:1]
	v_cmp_eq_f64_e64 s0, 0, v[2:3]
	s_delay_alu instid0(VALU_DEP_1)
	s_and_b32 s4, vcc_lo, s0
	s_mov_b32 s0, -1
	s_and_saveexec_b32 s1, s4
	s_cbranch_execz .LBB165_6
; %bb.5:
	s_waitcnt vmcnt(0) lgkmcnt(0)
	v_cmp_neq_f64_e32 vcc_lo, 1.0, v[16:17]
	v_cmp_neq_f64_e64 s0, 0, v[18:19]
	s_delay_alu instid0(VALU_DEP_1) | instskip(NEXT) | instid1(SALU_CYCLE_1)
	s_or_b32 s0, vcc_lo, s0
	s_or_not1_b32 s0, s0, exec_lo
.LBB165_6:
	s_or_b32 exec_lo, exec_lo, s1
	s_and_saveexec_b32 s1, s0
	s_cbranch_execz .LBB165_12
; %bb.7:
	s_clause 0x1
	s_load_b64 s[4:5], s[2:3], 0x20
	s_load_b64 s[0:1], s[2:3], 0x0
	v_lshrrev_b32_e32 v5, 2, v4
	s_delay_alu instid0(VALU_DEP_1)
	v_lshl_or_b32 v20, s15, 5, v5
	s_waitcnt lgkmcnt(0)
	s_cmp_lg_u64 s[4:5], 0
	s_cbranch_scc0 .LBB165_13
; %bb.8:
	s_load_b32 s6, s[2:3], 0x18
	s_mov_b32 s7, 0
                                        ; implicit-def: $vgpr5
	s_waitcnt lgkmcnt(0)
	v_cmp_gt_i32_e32 vcc_lo, s6, v20
	s_mov_b32 s6, 0
	s_and_saveexec_b32 s8, vcc_lo
	s_delay_alu instid0(SALU_CYCLE_1)
	s_xor_b32 s8, exec_lo, s8
	s_cbranch_execz .LBB165_10
; %bb.9:
	v_ashrrev_i32_e32 v21, 31, v20
	s_mov_b32 s6, exec_lo
	s_delay_alu instid0(VALU_DEP_1) | instskip(NEXT) | instid1(VALU_DEP_1)
	v_lshlrev_b64 v[5:6], 2, v[20:21]
	v_add_co_u32 v5, vcc_lo, s4, v5
	s_delay_alu instid0(VALU_DEP_2)
	v_add_co_ci_u32_e32 v6, vcc_lo, s5, v6, vcc_lo
	global_load_b32 v5, v[5:6], off
	s_waitcnt vmcnt(0)
	v_subrev_nc_u32_e32 v5, s12, v5
.LBB165_10:
	s_or_b32 exec_lo, exec_lo, s8
	s_delay_alu instid0(SALU_CYCLE_1)
	s_and_b32 vcc_lo, exec_lo, s7
	s_cbranch_vccz .LBB165_14
.LBB165_11:
	v_cmp_gt_i32_e32 vcc_lo, s0, v20
	s_and_not1_b32 s0, s6, exec_lo
	s_and_b32 s4, vcc_lo, exec_lo
	s_delay_alu instid0(SALU_CYCLE_1) | instskip(NEXT) | instid1(SALU_CYCLE_1)
	s_or_b32 s6, s0, s4
	s_and_b32 exec_lo, exec_lo, s6
	s_cbranch_execnz .LBB165_15
.LBB165_12:
	s_nop 0
	s_sendmsg sendmsg(MSG_DEALLOC_VGPRS)
	s_endpgm
.LBB165_13:
	s_mov_b32 s6, 0
                                        ; implicit-def: $vgpr5
	s_cbranch_execnz .LBB165_11
.LBB165_14:
	s_delay_alu instid0(VALU_DEP_1)
	v_mov_b32_e32 v20, v5
	s_and_b32 exec_lo, exec_lo, s6
	s_cbranch_execz .LBB165_12
.LBB165_15:
	s_load_b256 s[4:11], s[2:3], 0x28
	s_delay_alu instid0(VALU_DEP_1) | instskip(SKIP_1) | instid1(VALU_DEP_2)
	v_ashrrev_i32_e32 v21, 31, v20
	v_and_b32_e32 v41, 3, v4
	v_lshlrev_b64 v[5:6], 2, v[20:21]
	s_waitcnt lgkmcnt(0)
	s_delay_alu instid0(VALU_DEP_1) | instskip(NEXT) | instid1(VALU_DEP_2)
	v_add_co_u32 v7, vcc_lo, s4, v5
	v_add_co_ci_u32_e32 v8, vcc_lo, s5, v6, vcc_lo
	v_add_co_u32 v5, vcc_lo, s6, v5
	v_add_co_ci_u32_e32 v6, vcc_lo, s7, v6, vcc_lo
	global_load_b32 v34, v[7:8], off
	v_add_co_u32 v7, vcc_lo, v7, 4
	v_add_co_ci_u32_e32 v8, vcc_lo, 0, v8, vcc_lo
	s_cmp_eq_u64 s[6:7], 0
	s_load_b64 s[4:5], s[2:3], 0x48
	s_cselect_b32 vcc_lo, -1, 0
	s_cmp_eq_u32 s1, 1
	v_dual_cndmask_b32 v6, v6, v8 :: v_dual_cndmask_b32 v5, v5, v7
	global_load_b32 v8, v[5:6], off
	s_waitcnt vmcnt(1)
	v_subrev_nc_u32_e32 v4, s12, v34
	s_delay_alu instid0(VALU_DEP_1) | instskip(NEXT) | instid1(VALU_DEP_1)
	v_add_nc_u32_e32 v4, v4, v41
	v_ashrrev_i32_e32 v5, 31, v4
	s_waitcnt vmcnt(0)
	v_subrev_nc_u32_e32 v33, s12, v8
	s_delay_alu instid0(VALU_DEP_2) | instskip(NEXT) | instid1(VALU_DEP_2)
	v_lshlrev_b64 v[6:7], 7, v[4:5]
	v_cmp_lt_i32_e64 s0, v4, v33
	s_delay_alu instid0(VALU_DEP_2) | instskip(NEXT) | instid1(VALU_DEP_3)
	v_add_co_u32 v6, vcc_lo, s10, v6
	v_add_co_ci_u32_e32 v7, vcc_lo, s11, v7, vcc_lo
	s_cbranch_scc1 .LBB165_27
; %bb.16:
	v_mov_b32_e32 v10, 0
	v_mov_b32_e32 v11, 0
	s_delay_alu instid0(VALU_DEP_1)
	v_dual_mov_b32 v8, v10 :: v_dual_mov_b32 v9, v11
	v_dual_mov_b32 v15, v11 :: v_dual_mov_b32 v14, v10
	;; [unrolled: 1-line block ×7, first 2 shown]
	s_and_saveexec_b32 s6, s0
	s_cbranch_execz .LBB165_26
; %bb.17:
	v_add_nc_u32_e32 v5, v34, v41
	v_not_b32_e32 v8, v34
	v_mov_b32_e32 v31, v4
	s_mov_b32 s10, 0
	s_mov_b32 s7, exec_lo
	v_subrev_nc_u32_e32 v5, s12, v5
	s_delay_alu instid0(VALU_DEP_1) | instskip(NEXT) | instid1(VALU_DEP_1)
	v_dual_mov_b32 v30, v7 :: v_dual_add_nc_u32 v5, 4, v5
	v_max_i32_e32 v5, v5, v33
	s_delay_alu instid0(VALU_DEP_1) | instskip(SKIP_1) | instid1(VALU_DEP_2)
	v_add3_u32 v5, v5, s12, v8
	v_mov_b32_e32 v8, 0
	v_sub_nc_u32_e32 v5, v5, v41
	s_delay_alu instid0(VALU_DEP_1) | instskip(NEXT) | instid1(VALU_DEP_1)
	v_lshrrev_b32_e32 v10, 2, v5
	v_dual_mov_b32 v9, 0 :: v_dual_add_nc_u32 v10, 1, v10
	s_delay_alu instid0(VALU_DEP_1) | instskip(SKIP_2) | instid1(VALU_DEP_4)
	v_dual_mov_b32 v29, v6 :: v_dual_mov_b32 v22, v9
	v_dual_mov_b32 v21, v8 :: v_dual_mov_b32 v28, v9
	;; [unrolled: 1-line block ×3, first 2 shown]
	v_dual_mov_b32 v23, v8 :: v_dual_and_b32 v32, 3, v10
	v_dual_mov_b32 v26, v9 :: v_dual_mov_b32 v25, v8
	v_dual_mov_b32 v13, v9 :: v_dual_mov_b32 v12, v8
	v_dual_mov_b32 v15, v9 :: v_dual_mov_b32 v14, v8
	v_dual_mov_b32 v11, v9 :: v_dual_mov_b32 v10, v8
	v_cmpx_ne_u32_e32 0, v32
	s_cbranch_execz .LBB165_21
; %bb.18:
	v_dual_mov_b32 v10, 0 :: v_dual_lshlrev_b32 v35, 7, v32
	v_dual_mov_b32 v11, 0 :: v_dual_mov_b32 v30, v7
	v_mov_b32_e32 v29, v6
	s_delay_alu instid0(VALU_DEP_3) | instskip(NEXT) | instid1(VALU_DEP_3)
	v_dual_mov_b32 v31, v4 :: v_dual_mov_b32 v8, v10
	v_dual_mov_b32 v26, v11 :: v_dual_mov_b32 v25, v10
	;; [unrolled: 1-line block ×3, first 2 shown]
	v_mov_b32_e32 v28, v11
	v_mov_b32_e32 v15, v11
	;; [unrolled: 1-line block ×3, first 2 shown]
	v_dual_mov_b32 v27, v10 :: v_dual_mov_b32 v22, v11
	v_mov_b32_e32 v14, v10
	v_mov_b32_e32 v12, v10
	;; [unrolled: 1-line block ×4, first 2 shown]
.LBB165_19:                             ; =>This Inner Loop Header: Depth=1
	v_ashrrev_i32_e32 v32, 31, v31
	v_add_nc_u32_e32 v35, 0xffffff80, v35
	s_delay_alu instid0(VALU_DEP_2) | instskip(NEXT) | instid1(VALU_DEP_2)
	v_lshlrev_b64 v[36:37], 2, v[31:32]
	v_cmp_eq_u32_e64 s1, 0, v35
	v_add_nc_u32_e32 v31, 4, v31
	s_delay_alu instid0(VALU_DEP_2) | instskip(NEXT) | instid1(VALU_DEP_3)
	s_or_b32 s10, s1, s10
	v_add_co_u32 v36, vcc_lo, s8, v36
	s_delay_alu instid0(VALU_DEP_4)
	v_add_co_ci_u32_e32 v37, vcc_lo, s9, v37, vcc_lo
	global_load_b32 v32, v[36:37], off
	s_clause 0x7
	global_load_b128 v[36:39], v[29:30], off
	global_load_b128 v[42:45], v[29:30], off offset:32
	global_load_b128 v[46:49], v[29:30], off offset:64
	;; [unrolled: 1-line block ×7, first 2 shown]
	s_waitcnt vmcnt(8)
	v_subrev_nc_u32_e32 v32, s12, v32
	s_waitcnt vmcnt(7)
	v_cvt_f64_f32_e32 v[86:87], v36
	v_cvt_f64_f32_e32 v[36:37], v37
	s_waitcnt vmcnt(6)
	v_cvt_f64_f32_e32 v[88:89], v42
	v_cvt_f64_f32_e32 v[42:43], v43
	v_lshlrev_b32_e32 v70, 2, v32
	s_waitcnt vmcnt(5)
	v_cvt_f64_f32_e32 v[90:91], v46
	v_cvt_f64_f32_e32 v[46:47], v47
	s_waitcnt vmcnt(3)
	v_cvt_f64_f32_e32 v[92:93], v54
	v_cvt_f64_f32_e32 v[54:55], v55
	v_ashrrev_i32_e32 v71, 31, v70
	v_cvt_f64_f32_e32 v[94:95], v44
	v_cvt_f64_f32_e32 v[44:45], v45
	v_cvt_f64_f32_e32 v[96:97], v48
	v_cvt_f64_f32_e32 v[48:49], v49
	v_lshlrev_b64 v[70:71], 4, v[70:71]
	v_cvt_f64_f32_e32 v[98:99], v56
	v_cvt_f64_f32_e32 v[56:57], v57
	s_waitcnt lgkmcnt(0)
	s_delay_alu instid0(VALU_DEP_3) | instskip(NEXT) | instid1(VALU_DEP_4)
	v_add_co_u32 v82, vcc_lo, s4, v70
	v_add_co_ci_u32_e32 v83, vcc_lo, s5, v71, vcc_lo
	v_add_co_u32 v29, vcc_lo, 0x200, v29
	s_clause 0x3
	global_load_b128 v[70:73], v[82:83], off
	global_load_b128 v[74:77], v[82:83], off offset:16
	global_load_b128 v[78:81], v[82:83], off offset:32
	global_load_b128 v[82:85], v[82:83], off offset:48
	v_add_co_ci_u32_e32 v30, vcc_lo, 0, v30, vcc_lo
	s_waitcnt vmcnt(3)
	v_fma_f64 v[14:15], v[86:87], v[70:71], v[14:15]
	v_fma_f64 v[10:11], v[36:37], v[70:71], v[10:11]
	;; [unrolled: 1-line block ×8, first 2 shown]
	v_cvt_f64_f32_e32 v[70:71], v38
	v_cvt_f64_f32_e32 v[38:39], v39
	v_fma_f64 v[14:15], -v[36:37], v[72:73], v[14:15]
	v_fma_f64 v[10:11], v[86:87], v[72:73], v[10:11]
	v_fma_f64 v[25:26], -v[42:43], v[72:73], v[25:26]
	v_fma_f64 v[12:13], v[88:89], v[72:73], v[12:13]
	;; [unrolled: 2-line block ×4, first 2 shown]
	v_cvt_f64_f32_e32 v[36:37], v58
	v_cvt_f64_f32_e32 v[42:43], v59
	;; [unrolled: 1-line block ×8, first 2 shown]
	s_waitcnt vmcnt(2)
	v_fma_f64 v[14:15], v[70:71], v[74:75], v[14:15]
	v_fma_f64 v[10:11], v[38:39], v[74:75], v[10:11]
	;; [unrolled: 1-line block ×8, first 2 shown]
	v_fma_f64 v[14:15], -v[38:39], v[76:77], v[14:15]
	v_fma_f64 v[10:11], v[70:71], v[76:77], v[10:11]
	v_fma_f64 v[25:26], -v[44:45], v[76:77], v[25:26]
	v_fma_f64 v[12:13], v[94:95], v[76:77], v[12:13]
	;; [unrolled: 2-line block ×4, first 2 shown]
	v_cvt_f64_f32_e32 v[38:39], v60
	v_cvt_f64_f32_e32 v[44:45], v61
	;; [unrolled: 1-line block ×8, first 2 shown]
	s_waitcnt vmcnt(1)
	v_fma_f64 v[14:15], v[36:37], v[78:79], v[14:15]
	v_fma_f64 v[10:11], v[42:43], v[78:79], v[10:11]
	;; [unrolled: 1-line block ×8, first 2 shown]
	v_fma_f64 v[14:15], -v[42:43], v[80:81], v[14:15]
	v_fma_f64 v[10:11], v[36:37], v[80:81], v[10:11]
	v_fma_f64 v[25:26], -v[50:51], v[80:81], v[25:26]
	v_fma_f64 v[12:13], v[46:47], v[80:81], v[12:13]
	;; [unrolled: 2-line block ×4, first 2 shown]
	s_waitcnt vmcnt(0)
	v_fma_f64 v[14:15], v[38:39], v[82:83], v[14:15]
	v_fma_f64 v[10:11], v[44:45], v[82:83], v[10:11]
	;; [unrolled: 1-line block ×8, first 2 shown]
	v_fma_f64 v[14:15], -v[44:45], v[84:85], v[14:15]
	v_fma_f64 v[10:11], v[38:39], v[84:85], v[10:11]
	v_fma_f64 v[25:26], -v[52:53], v[84:85], v[25:26]
	v_fma_f64 v[12:13], v[48:49], v[84:85], v[12:13]
	;; [unrolled: 2-line block ×4, first 2 shown]
	s_and_not1_b32 exec_lo, exec_lo, s10
	s_cbranch_execnz .LBB165_19
; %bb.20:
	s_or_b32 exec_lo, exec_lo, s10
.LBB165_21:
	s_delay_alu instid0(SALU_CYCLE_1) | instskip(NEXT) | instid1(SALU_CYCLE_1)
	s_or_b32 exec_lo, exec_lo, s7
	s_mov_b32 s7, exec_lo
	v_cmpx_lt_u32_e32 11, v5
	s_cbranch_execz .LBB165_25
; %bb.22:
	s_mov_b32 s10, 0
.LBB165_23:                             ; =>This Inner Loop Header: Depth=1
	v_ashrrev_i32_e32 v32, 31, v31
	s_delay_alu instid0(VALU_DEP_1) | instskip(SKIP_1) | instid1(VALU_DEP_2)
	v_lshlrev_b64 v[35:36], 2, v[31:32]
	v_add_nc_u32_e32 v31, 16, v31
	v_add_co_u32 v39, vcc_lo, s8, v35
	s_delay_alu instid0(VALU_DEP_3)
	v_add_co_ci_u32_e32 v40, vcc_lo, s9, v36, vcc_lo
	global_load_b32 v32, v[39:40], off
	s_clause 0x3
	global_load_b128 v[35:38], v[29:30], off
	global_load_b128 v[42:45], v[29:30], off offset:32
	global_load_b128 v[46:49], v[29:30], off offset:64
	;; [unrolled: 1-line block ×3, first 2 shown]
	s_clause 0x2
	global_load_b32 v102, v[39:40], off offset:16
	global_load_b32 v128, v[39:40], off offset:32
	;; [unrolled: 1-line block ×3, first 2 shown]
	s_waitcnt vmcnt(7)
	v_subrev_nc_u32_e32 v32, s12, v32
	s_waitcnt vmcnt(6)
	v_cvt_f64_f32_e32 v[114:115], v38
	s_waitcnt vmcnt(5)
	v_cvt_f64_f32_e32 v[106:107], v42
	v_cvt_f64_f32_e32 v[42:43], v43
	s_waitcnt vmcnt(4)
	v_cvt_f64_f32_e32 v[108:109], v46
	v_lshlrev_b32_e32 v39, 2, v32
	s_waitcnt vmcnt(2)
	v_subrev_nc_u32_e32 v32, s12, v102
	v_cvt_f64_f32_e32 v[46:47], v47
	v_cvt_f64_f32_e32 v[110:111], v50
	;; [unrolled: 1-line block ×3, first 2 shown]
	v_ashrrev_i32_e32 v40, 31, v39
	v_lshlrev_b32_e32 v102, 2, v32
	v_cvt_f64_f32_e32 v[116:117], v44
	v_cvt_f64_f32_e32 v[44:45], v45
	;; [unrolled: 1-line block ×3, first 2 shown]
	v_lshlrev_b64 v[39:40], 4, v[39:40]
	v_ashrrev_i32_e32 v103, 31, v102
	v_cvt_f64_f32_e32 v[48:49], v49
	v_cvt_f64_f32_e32 v[120:121], v52
	;; [unrolled: 1-line block ×3, first 2 shown]
	s_waitcnt vmcnt(1)
	v_subrev_nc_u32_e32 v32, s12, v128
	s_waitcnt lgkmcnt(0)
	v_add_co_u32 v39, vcc_lo, s4, v39
	v_add_co_ci_u32_e32 v40, vcc_lo, s5, v40, vcc_lo
	v_lshlrev_b64 v[102:103], 4, v[102:103]
	s_waitcnt vmcnt(0)
	v_subrev_nc_u32_e32 v5, s12, v5
	s_clause 0x1
	global_load_b128 v[54:57], v[39:40], off
	global_load_b128 v[58:61], v[39:40], off offset:16
	s_clause 0x3
	global_load_b128 v[62:65], v[29:30], off offset:16
	global_load_b128 v[66:69], v[29:30], off offset:48
	;; [unrolled: 1-line block ×4, first 2 shown]
	s_clause 0x1
	global_load_b128 v[78:81], v[39:40], off offset:32
	global_load_b128 v[82:85], v[39:40], off offset:48
	s_clause 0x3
	global_load_b128 v[86:89], v[29:30], off offset:512
	global_load_b128 v[90:93], v[29:30], off offset:544
	;; [unrolled: 1-line block ×4, first 2 shown]
	v_cvt_f64_f32_e32 v[39:40], v35
	v_cvt_f64_f32_e32 v[35:36], v36
	v_add_co_u32 v112, vcc_lo, s4, v102
	v_add_co_ci_u32_e32 v113, vcc_lo, s5, v103, vcc_lo
	global_load_b128 v[102:105], v[112:113], off
	s_waitcnt vmcnt(12)
	v_fma_f64 v[14:15], v[39:40], v[54:55], v[14:15]
	v_fma_f64 v[10:11], v[35:36], v[54:55], v[10:11]
	;; [unrolled: 1-line block ×8, first 2 shown]
	v_cvt_f64_f32_e32 v[54:55], v37
	s_waitcnt vmcnt(9)
	v_cvt_f64_f32_e32 v[122:123], v66
	v_cvt_f64_f32_e32 v[66:67], v67
	s_waitcnt vmcnt(8)
	v_cvt_f64_f32_e32 v[124:125], v70
	;; [unrolled: 3-line block ×3, first 2 shown]
	v_cvt_f64_f32_e32 v[74:75], v75
	v_fma_f64 v[14:15], -v[35:36], v[56:57], v[14:15]
	v_fma_f64 v[35:36], v[39:40], v[56:57], v[10:11]
	v_fma_f64 v[25:26], -v[42:43], v[56:57], v[25:26]
	v_fma_f64 v[12:13], v[106:107], v[56:57], v[12:13]
	;; [unrolled: 2-line block ×3, first 2 shown]
	v_fma_f64 v[37:38], -v[50:51], v[56:57], v[8:9]
	global_load_b128 v[8:11], v[112:113], off offset:16
	v_fma_f64 v[21:22], v[110:111], v[56:57], v[21:22]
	v_cvt_f64_f32_e32 v[110:111], v62
	v_cvt_f64_f32_e32 v[62:63], v63
	v_fma_f64 v[39:40], v[54:55], v[58:59], v[14:15]
	v_fma_f64 v[42:43], v[114:115], v[58:59], v[35:36]
	;; [unrolled: 1-line block ×8, first 2 shown]
	s_clause 0x3
	global_load_b128 v[12:15], v[29:30], off offset:528
	global_load_b128 v[21:24], v[29:30], off offset:560
	;; [unrolled: 1-line block ×4, first 2 shown]
	v_fma_f64 v[39:40], -v[114:115], v[60:61], v[39:40]
	v_fma_f64 v[54:55], v[54:55], v[60:61], v[42:43]
	v_fma_f64 v[46:47], -v[44:45], v[60:61], v[46:47]
	v_fma_f64 v[50:51], v[116:117], v[60:61], v[50:51]
	;; [unrolled: 2-line block ×3, first 2 shown]
	v_fma_f64 v[52:53], -v[52:53], v[60:61], v[108:109]
	global_load_b128 v[42:45], v[112:113], off offset:32
	v_fma_f64 v[58:59], v[120:121], v[60:61], v[58:59]
	v_cvt_f64_f32_e32 v[106:107], v65
	v_cvt_f64_f32_e32 v[108:109], v68
	;; [unrolled: 1-line block ×7, first 2 shown]
	s_waitcnt vmcnt(10)
	v_cvt_f64_f32_e32 v[118:119], v86
	v_cvt_f64_f32_e32 v[86:87], v87
	s_waitcnt vmcnt(9)
	v_cvt_f64_f32_e32 v[120:121], v90
	v_cvt_f64_f32_e32 v[90:91], v91
	v_fma_f64 v[39:40], v[110:111], v[78:79], v[39:40]
	v_fma_f64 v[54:55], v[62:63], v[78:79], v[54:55]
	;; [unrolled: 1-line block ×8, first 2 shown]
	v_cvt_f64_f32_e32 v[78:79], v64
	v_fma_f64 v[39:40], -v[62:63], v[80:81], v[39:40]
	v_fma_f64 v[60:61], v[110:111], v[80:81], v[54:55]
	v_fma_f64 v[62:63], -v[66:67], v[80:81], v[46:47]
	v_fma_f64 v[64:65], v[122:123], v[80:81], v[50:51]
	;; [unrolled: 2-line block ×3, first 2 shown]
	v_fma_f64 v[74:75], -v[74:75], v[80:81], v[52:53]
	global_load_b128 v[46:49], v[112:113], off offset:48
	s_clause 0x1
	global_load_b128 v[50:53], v[29:30], off offset:1056
	global_load_b128 v[54:57], v[29:30], off offset:1024
	v_fma_f64 v[58:59], v[126:127], v[80:81], v[58:59]
	v_lshlrev_b32_e32 v126, 2, v32
	s_waitcnt vmcnt(11)
	v_cvt_f64_f32_e32 v[122:123], v94
	v_cvt_f64_f32_e32 v[94:95], v95
	s_waitcnt vmcnt(10)
	v_cvt_f64_f32_e32 v[124:125], v98
	v_cvt_f64_f32_e32 v[98:99], v99
	v_ashrrev_i32_e32 v127, 31, v126
	v_fma_f64 v[39:40], v[78:79], v[82:83], v[39:40]
	v_fma_f64 v[80:81], v[106:107], v[82:83], v[60:61]
	v_fma_f64 v[110:111], v[108:109], v[82:83], v[62:63]
	v_fma_f64 v[112:113], v[68:69], v[82:83], v[64:65]
	v_fma_f64 v[66:67], v[114:115], v[82:83], v[66:67]
	v_fma_f64 v[70:71], v[72:73], v[82:83], v[70:71]
	v_fma_f64 v[74:75], v[116:117], v[82:83], v[74:75]
	v_fma_f64 v[82:83], v[76:77], v[82:83], v[58:59]
	s_clause 0x1
	global_load_b128 v[58:61], v[29:30], off offset:1088
	global_load_b128 v[62:65], v[29:30], off offset:1120
	v_fma_f64 v[39:40], -v[106:107], v[84:85], v[39:40]
	v_fma_f64 v[78:79], v[78:79], v[84:85], v[80:81]
	v_fma_f64 v[80:81], -v[68:69], v[84:85], v[110:111]
	v_fma_f64 v[106:107], v[108:109], v[84:85], v[112:113]
	;; [unrolled: 2-line block ×3, first 2 shown]
	v_fma_f64 v[74:75], -v[76:77], v[84:85], v[74:75]
	v_lshlrev_b64 v[66:67], 4, v[126:127]
	v_fma_f64 v[76:77], v[116:117], v[84:85], v[82:83]
	v_cvt_f64_f32_e32 v[110:111], v92
	v_cvt_f64_f32_e32 v[92:93], v93
	;; [unrolled: 1-line block ×4, first 2 shown]
	v_add_co_u32 v108, vcc_lo, s4, v66
	v_add_co_ci_u32_e32 v109, vcc_lo, s5, v67, vcc_lo
	v_cvt_f64_f32_e32 v[114:115], v100
	v_cvt_f64_f32_e32 v[100:101], v101
	global_load_b128 v[66:69], v[108:109], off
	s_waitcnt vmcnt(12)
	v_fma_f64 v[39:40], v[118:119], v[102:103], v[39:40]
	v_fma_f64 v[78:79], v[86:87], v[102:103], v[78:79]
	;; [unrolled: 1-line block ×7, first 2 shown]
	v_cvt_f64_f32_e32 v[106:107], v89
	v_fma_f64 v[76:77], v[98:99], v[102:103], v[76:77]
	v_cvt_f64_f32_e32 v[102:103], v88
	v_fma_f64 v[39:40], -v[86:87], v[104:105], v[39:40]
	v_fma_f64 v[78:79], v[118:119], v[104:105], v[78:79]
	v_fma_f64 v[80:81], -v[90:91], v[104:105], v[80:81]
	v_fma_f64 v[82:83], v[120:121], v[104:105], v[82:83]
	;; [unrolled: 2-line block ×3, first 2 shown]
	global_load_b128 v[70:73], v[108:109], off offset:16
	v_fma_f64 v[74:75], -v[98:99], v[104:105], v[74:75]
	v_fma_f64 v[76:77], v[124:125], v[104:105], v[76:77]
	s_waitcnt vmcnt(12)
	v_fma_f64 v[39:40], v[102:103], v[8:9], v[39:40]
	v_fma_f64 v[90:91], v[106:107], v[8:9], v[78:79]
	;; [unrolled: 1-line block ×8, first 2 shown]
	s_clause 0x3
	global_load_b128 v[74:77], v[29:30], off offset:1040
	global_load_b128 v[78:81], v[29:30], off offset:1072
	;; [unrolled: 1-line block ×4, first 2 shown]
	s_waitcnt vmcnt(15)
	v_cvt_f64_f32_e32 v[120:121], v12
	v_cvt_f64_f32_e32 v[12:13], v13
	s_waitcnt vmcnt(14)
	v_cvt_f64_f32_e32 v[122:123], v21
	v_cvt_f64_f32_e32 v[21:22], v22
	;; [unrolled: 3-line block ×4, first 2 shown]
	v_fma_f64 v[39:40], -v[106:107], v[10:11], v[39:40]
	v_fma_f64 v[90:91], v[102:103], v[10:11], v[90:91]
	v_fma_f64 v[92:93], -v[92:93], v[10:11], v[94:95]
	v_fma_f64 v[94:95], v[110:111], v[10:11], v[98:99]
	;; [unrolled: 2-line block ×3, first 2 shown]
	v_cvt_f64_f32_e32 v[104:105], v15
	v_fma_f64 v[100:101], -v[100:101], v[10:11], v[118:119]
	v_fma_f64 v[102:103], v[114:115], v[10:11], v[8:9]
	global_load_b128 v[8:11], v[108:109], off offset:32
	v_cvt_f64_f32_e32 v[106:107], v23
	v_cvt_f64_f32_e32 v[110:111], v24
	;; [unrolled: 1-line block ×6, first 2 shown]
	s_waitcnt vmcnt(12)
	v_fma_f64 v[39:40], v[120:121], v[42:43], v[39:40]
	v_fma_f64 v[90:91], v[12:13], v[42:43], v[90:91]
	;; [unrolled: 1-line block ×8, first 2 shown]
	v_cvt_f64_f32_e32 v[102:103], v14
	v_fma_f64 v[23:24], -v[12:13], v[44:45], v[39:40]
	global_load_b128 v[12:15], v[108:109], off offset:48
	v_fma_f64 v[27:28], v[120:121], v[44:45], v[90:91]
	v_fma_f64 v[21:22], -v[21:22], v[44:45], v[92:93]
	v_fma_f64 v[37:38], v[122:123], v[44:45], v[94:95]
	v_fma_f64 v[25:26], -v[25:26], v[44:45], v[96:97]
	;; [unrolled: 2-line block ×3, first 2 shown]
	v_fma_f64 v[42:43], v[126:127], v[44:45], v[42:43]
	v_lshlrev_b32_e32 v126, 2, v5
	s_delay_alu instid0(VALU_DEP_1)
	v_ashrrev_i32_e32 v127, 31, v126
	s_waitcnt vmcnt(11)
	v_cvt_f64_f32_e32 v[120:121], v50
	s_waitcnt vmcnt(10)
	v_cvt_f64_f32_e32 v[108:109], v54
	v_cvt_f64_f32_e32 v[54:55], v55
	;; [unrolled: 1-line block ×3, first 2 shown]
	v_fma_f64 v[90:91], v[102:103], v[46:47], v[23:24]
	v_fma_f64 v[92:93], v[104:105], v[46:47], v[27:28]
	;; [unrolled: 1-line block ×8, first 2 shown]
	s_clause 0x3
	global_load_b128 v[21:24], v[29:30], off offset:1536
	global_load_b128 v[25:28], v[29:30], off offset:1568
	;; [unrolled: 1-line block ×4, first 2 shown]
	s_waitcnt vmcnt(13)
	v_cvt_f64_f32_e32 v[122:123], v58
	v_cvt_f64_f32_e32 v[58:59], v59
	s_waitcnt vmcnt(12)
	v_cvt_f64_f32_e32 v[124:125], v62
	v_cvt_f64_f32_e32 v[62:63], v63
	v_fma_f64 v[90:91], -v[104:105], v[48:49], v[90:91]
	v_fma_f64 v[92:93], v[102:103], v[48:49], v[92:93]
	v_fma_f64 v[94:95], -v[110:111], v[48:49], v[94:95]
	v_fma_f64 v[96:97], v[106:107], v[48:49], v[96:97]
	;; [unrolled: 2-line block ×4, first 2 shown]
	v_lshlrev_b64 v[46:47], 4, v[126:127]
	v_cvt_f64_f32_e32 v[106:107], v57
	v_cvt_f64_f32_e32 v[110:111], v52
	;; [unrolled: 1-line block ×5, first 2 shown]
	v_add_co_u32 v104, vcc_lo, s4, v46
	v_add_co_ci_u32_e32 v105, vcc_lo, s5, v47, vcc_lo
	v_cvt_f64_f32_e32 v[118:119], v64
	v_cvt_f64_f32_e32 v[126:127], v65
	v_cmp_ge_i32_e32 vcc_lo, v31, v33
	global_load_b128 v[46:49], v[104:105], off
	s_or_b32 s10, vcc_lo, s10
	s_waitcnt vmcnt(12)
	v_fma_f64 v[90:91], v[108:109], v[66:67], v[90:91]
	v_fma_f64 v[92:93], v[54:55], v[66:67], v[92:93]
	;; [unrolled: 1-line block ×8, first 2 shown]
	v_cvt_f64_f32_e32 v[102:103], v56
	v_fma_f64 v[54:55], -v[54:55], v[68:69], v[90:91]
	v_fma_f64 v[56:57], v[108:109], v[68:69], v[92:93]
	v_fma_f64 v[60:61], -v[50:51], v[68:69], v[94:95]
	global_load_b128 v[50:53], v[104:105], off offset:16
	v_fma_f64 v[64:65], v[120:121], v[68:69], v[96:97]
	v_fma_f64 v[58:59], -v[58:59], v[68:69], v[98:99]
	v_fma_f64 v[39:40], v[122:123], v[68:69], v[39:40]
	v_fma_f64 v[62:63], -v[62:63], v[68:69], v[100:101]
	v_fma_f64 v[66:67], v[124:125], v[68:69], v[66:67]
	s_waitcnt vmcnt(12)
	v_fma_f64 v[90:91], v[102:103], v[70:71], v[54:55]
	v_fma_f64 v[92:93], v[106:107], v[70:71], v[56:57]
	;; [unrolled: 1-line block ×8, first 2 shown]
	s_clause 0x3
	global_load_b128 v[54:57], v[29:30], off offset:1552
	global_load_b128 v[58:61], v[29:30], off offset:1584
	;; [unrolled: 1-line block ×4, first 2 shown]
	v_add_co_u32 v29, s1, 0x800, v29
	s_delay_alu instid0(VALU_DEP_1)
	v_add_co_ci_u32_e64 v30, s1, 0, v30, s1
	s_waitcnt vmcnt(15)
	v_cvt_f64_f32_e32 v[108:109], v74
	v_cvt_f64_f32_e32 v[74:75], v75
	s_waitcnt vmcnt(14)
	v_cvt_f64_f32_e32 v[120:121], v78
	v_cvt_f64_f32_e32 v[78:79], v79
	;; [unrolled: 3-line block ×4, first 2 shown]
	v_fma_f64 v[90:91], -v[106:107], v[72:73], v[90:91]
	v_cvt_f64_f32_e32 v[106:107], v77
	v_fma_f64 v[92:93], v[102:103], v[72:73], v[92:93]
	v_fma_f64 v[94:95], -v[112:113], v[72:73], v[94:95]
	v_cvt_f64_f32_e32 v[112:113], v84
	v_fma_f64 v[96:97], v[110:111], v[72:73], v[96:97]
	v_fma_f64 v[98:99], -v[116:117], v[72:73], v[98:99]
	v_fma_f64 v[39:40], v[114:115], v[72:73], v[39:40]
	v_fma_f64 v[100:101], -v[126:127], v[72:73], v[100:101]
	v_fma_f64 v[102:103], v[118:119], v[72:73], v[70:71]
	global_load_b128 v[70:73], v[104:105], off offset:32
	v_cvt_f64_f32_e32 v[110:111], v80
	v_cvt_f64_f32_e32 v[80:81], v81
	;; [unrolled: 1-line block ×5, first 2 shown]
	s_waitcnt vmcnt(12)
	v_fma_f64 v[90:91], v[108:109], v[8:9], v[90:91]
	v_fma_f64 v[92:93], v[74:75], v[8:9], v[92:93]
	;; [unrolled: 1-line block ×8, first 2 shown]
	v_cvt_f64_f32_e32 v[102:103], v76
	v_fma_f64 v[90:91], -v[74:75], v[10:11], v[90:91]
	global_load_b128 v[74:77], v[104:105], off offset:48
	v_fma_f64 v[92:93], v[108:109], v[10:11], v[92:93]
	v_fma_f64 v[78:79], -v[78:79], v[10:11], v[94:95]
	v_fma_f64 v[94:95], v[120:121], v[10:11], v[96:97]
	v_fma_f64 v[82:83], -v[82:83], v[10:11], v[98:99]
	;; [unrolled: 2-line block ×3, first 2 shown]
	v_fma_f64 v[8:9], v[124:125], v[10:11], v[8:9]
	s_waitcnt vmcnt(12)
	v_fma_f64 v[10:11], v[102:103], v[12:13], v[90:91]
	v_fma_f64 v[90:91], v[106:107], v[12:13], v[92:93]
	;; [unrolled: 1-line block ×8, first 2 shown]
	s_waitcnt vmcnt(11)
	v_cvt_f64_f32_e32 v[12:13], v21
	v_cvt_f64_f32_e32 v[21:22], v22
	s_waitcnt vmcnt(10)
	v_cvt_f64_f32_e32 v[94:95], v25
	v_cvt_f64_f32_e32 v[25:26], v26
	s_waitcnt vmcnt(9)
	v_cvt_f64_f32_e32 v[96:97], v35
	v_cvt_f64_f32_e32 v[35:36], v36
	s_waitcnt vmcnt(8)
	v_cvt_f64_f32_e32 v[98:99], v42
	v_cvt_f64_f32_e32 v[42:43], v43
	v_fma_f64 v[10:11], -v[106:107], v[14:15], v[10:11]
	v_fma_f64 v[90:91], v[102:103], v[14:15], v[90:91]
	v_fma_f64 v[78:79], -v[80:81], v[14:15], v[78:79]
	v_fma_f64 v[80:81], v[110:111], v[14:15], v[92:93]
	;; [unrolled: 2-line block ×4, first 2 shown]
	v_cvt_f64_f32_e32 v[86:87], v27
	v_cvt_f64_f32_e32 v[27:28], v28
	;; [unrolled: 1-line block ×4, first 2 shown]
	s_waitcnt vmcnt(7)
	v_fma_f64 v[10:11], v[12:13], v[46:47], v[10:11]
	v_fma_f64 v[14:15], v[21:22], v[46:47], v[90:91]
	;; [unrolled: 1-line block ×3, first 2 shown]
	v_cvt_f64_f32_e32 v[90:91], v44
	v_fma_f64 v[80:81], v[25:26], v[46:47], v[80:81]
	v_fma_f64 v[82:83], v[96:97], v[46:47], v[82:83]
	;; [unrolled: 1-line block ×5, first 2 shown]
	v_cvt_f64_f32_e32 v[46:47], v23
	v_cvt_f64_f32_e32 v[23:24], v24
	;; [unrolled: 1-line block ×3, first 2 shown]
	v_fma_f64 v[10:11], -v[21:22], v[48:49], v[10:11]
	v_fma_f64 v[12:13], v[12:13], v[48:49], v[14:15]
	v_fma_f64 v[14:15], -v[25:26], v[48:49], v[78:79]
	v_fma_f64 v[21:22], v[94:95], v[48:49], v[80:81]
	;; [unrolled: 2-line block ×4, first 2 shown]
	s_waitcnt vmcnt(6)
	v_fma_f64 v[10:11], v[46:47], v[50:51], v[10:11]
	v_fma_f64 v[12:13], v[23:24], v[50:51], v[12:13]
	;; [unrolled: 1-line block ×8, first 2 shown]
	s_waitcnt vmcnt(5)
	v_cvt_f64_f32_e32 v[42:43], v54
	v_cvt_f64_f32_e32 v[48:49], v55
	s_waitcnt vmcnt(4)
	v_cvt_f64_f32_e32 v[50:51], v58
	v_cvt_f64_f32_e32 v[54:55], v59
	;; [unrolled: 3-line block ×4, first 2 shown]
	v_fma_f64 v[10:11], -v[23:24], v[52:53], v[10:11]
	v_fma_f64 v[12:13], v[46:47], v[52:53], v[12:13]
	v_fma_f64 v[14:15], -v[27:28], v[52:53], v[14:15]
	v_cvt_f64_f32_e32 v[46:47], v64
	v_fma_f64 v[21:22], v[86:87], v[52:53], v[21:22]
	v_fma_f64 v[23:24], -v[37:38], v[52:53], v[25:26]
	v_fma_f64 v[25:26], v[88:89], v[52:53], v[35:36]
	v_fma_f64 v[27:28], -v[44:45], v[52:53], v[39:40]
	v_fma_f64 v[8:9], v[90:91], v[52:53], v[8:9]
	v_cvt_f64_f32_e32 v[35:36], v56
	v_cvt_f64_f32_e32 v[37:38], v57
	;; [unrolled: 1-line block ×7, first 2 shown]
	s_waitcnt vmcnt(1)
	v_fma_f64 v[10:11], v[42:43], v[70:71], v[10:11]
	v_fma_f64 v[12:13], v[48:49], v[70:71], v[12:13]
	;; [unrolled: 1-line block ×8, first 2 shown]
	v_fma_f64 v[10:11], -v[48:49], v[72:73], v[10:11]
	v_fma_f64 v[12:13], v[42:43], v[72:73], v[12:13]
	v_fma_f64 v[14:15], -v[54:55], v[72:73], v[14:15]
	v_fma_f64 v[21:22], v[50:51], v[72:73], v[21:22]
	;; [unrolled: 2-line block ×4, first 2 shown]
	s_waitcnt vmcnt(0)
	v_fma_f64 v[10:11], v[35:36], v[74:75], v[10:11]
	v_fma_f64 v[12:13], v[37:38], v[74:75], v[12:13]
	;; [unrolled: 1-line block ×8, first 2 shown]
	v_fma_f64 v[14:15], -v[37:38], v[76:77], v[10:11]
	v_fma_f64 v[10:11], v[35:36], v[76:77], v[12:13]
	v_fma_f64 v[25:26], -v[44:45], v[76:77], v[42:43]
	v_fma_f64 v[12:13], v[39:40], v[76:77], v[21:22]
	;; [unrolled: 2-line block ×4, first 2 shown]
	s_and_not1_b32 exec_lo, exec_lo, s10
	s_cbranch_execnz .LBB165_23
; %bb.24:
	s_or_b32 exec_lo, exec_lo, s10
.LBB165_25:
	s_delay_alu instid0(SALU_CYCLE_1)
	s_or_b32 exec_lo, exec_lo, s7
.LBB165_26:
	s_delay_alu instid0(SALU_CYCLE_1)
	s_or_b32 exec_lo, exec_lo, s6
	s_cbranch_execz .LBB165_28
	s_branch .LBB165_39
.LBB165_27:
                                        ; implicit-def: $vgpr10_vgpr11
                                        ; implicit-def: $vgpr14_vgpr15
                                        ; implicit-def: $vgpr12_vgpr13
                                        ; implicit-def: $vgpr25_vgpr26
                                        ; implicit-def: $vgpr23_vgpr24
                                        ; implicit-def: $vgpr27_vgpr28
                                        ; implicit-def: $vgpr21_vgpr22
                                        ; implicit-def: $vgpr8_vgpr9
.LBB165_28:
	v_mov_b32_e32 v10, 0
	v_mov_b32_e32 v11, 0
	s_delay_alu instid0(VALU_DEP_1)
	v_dual_mov_b32 v8, v10 :: v_dual_mov_b32 v9, v11
	v_dual_mov_b32 v15, v11 :: v_dual_mov_b32 v14, v10
	;; [unrolled: 1-line block ×7, first 2 shown]
	s_and_saveexec_b32 s1, s0
	s_cbranch_execz .LBB165_38
; %bb.29:
	v_add_nc_u32_e32 v5, v34, v41
	v_not_b32_e32 v8, v34
	s_mov_b32 s7, 0
	s_mov_b32 s6, exec_lo
	s_delay_alu instid0(VALU_DEP_2) | instskip(NEXT) | instid1(VALU_DEP_1)
	v_subrev_nc_u32_e32 v5, s12, v5
	v_add_nc_u32_e32 v5, 4, v5
	s_delay_alu instid0(VALU_DEP_1) | instskip(NEXT) | instid1(VALU_DEP_1)
	v_max_i32_e32 v5, v5, v33
	v_add3_u32 v5, v5, s12, v8
	v_mov_b32_e32 v8, 0
	v_mov_b32_e32 v9, 0
	s_delay_alu instid0(VALU_DEP_3) | instskip(NEXT) | instid1(VALU_DEP_2)
	v_sub_nc_u32_e32 v29, v5, v41
	v_dual_mov_b32 v22, v9 :: v_dual_mov_b32 v21, v8
	v_mov_b32_e32 v24, v9
	s_delay_alu instid0(VALU_DEP_3) | instskip(SKIP_3) | instid1(VALU_DEP_4)
	v_lshrrev_b32_e32 v5, 2, v29
	v_mov_b32_e32 v13, v9
	v_mov_b32_e32 v15, v9
	v_dual_mov_b32 v11, v9 :: v_dual_mov_b32 v10, v8
	v_dual_mov_b32 v28, v9 :: v_dual_add_nc_u32 v5, 1, v5
	v_dual_mov_b32 v27, v8 :: v_dual_mov_b32 v26, v9
	v_mov_b32_e32 v23, v8
	s_delay_alu instid0(VALU_DEP_3) | instskip(SKIP_2) | instid1(VALU_DEP_3)
	v_dual_mov_b32 v12, v8 :: v_dual_and_b32 v5, 3, v5
	v_mov_b32_e32 v25, v8
	v_mov_b32_e32 v14, v8
	v_cmpx_ne_u32_e32 0, v5
	s_cbranch_execz .LBB165_33
; %bb.30:
	v_mov_b32_e32 v10, 0
	v_dual_mov_b32 v11, 0 :: v_dual_lshlrev_b32 v30, 7, v5
	s_delay_alu instid0(VALU_DEP_1)
	v_dual_mov_b32 v8, v10 :: v_dual_mov_b32 v9, v11
	v_dual_mov_b32 v15, v11 :: v_dual_mov_b32 v14, v10
	v_dual_mov_b32 v13, v11 :: v_dual_mov_b32 v12, v10
	v_dual_mov_b32 v26, v11 :: v_dual_mov_b32 v25, v10
	v_dual_mov_b32 v24, v11 :: v_dual_mov_b32 v23, v10
	v_dual_mov_b32 v28, v11 :: v_dual_mov_b32 v27, v10
	v_dual_mov_b32 v22, v11 :: v_dual_mov_b32 v21, v10
.LBB165_31:                             ; =>This Inner Loop Header: Depth=1
	v_ashrrev_i32_e32 v5, 31, v4
	v_add_nc_u32_e32 v30, 0xffffff80, v30
	s_delay_alu instid0(VALU_DEP_2) | instskip(NEXT) | instid1(VALU_DEP_2)
	v_lshlrev_b64 v[31:32], 2, v[4:5]
	v_cmp_eq_u32_e64 s0, 0, v30
	v_add_nc_u32_e32 v4, 4, v4
	s_delay_alu instid0(VALU_DEP_2) | instskip(NEXT) | instid1(VALU_DEP_3)
	s_or_b32 s7, s0, s7
	v_add_co_u32 v31, vcc_lo, s8, v31
	s_delay_alu instid0(VALU_DEP_4)
	v_add_co_ci_u32_e32 v32, vcc_lo, s9, v32, vcc_lo
	global_load_b32 v5, v[31:32], off
	s_clause 0x1
	global_load_b128 v[34:37], v[6:7], off
	global_load_b128 v[42:45], v[6:7], off offset:16
	s_waitcnt vmcnt(2)
	v_subrev_nc_u32_e32 v5, s12, v5
	s_waitcnt vmcnt(1)
	v_cvt_f64_f32_e32 v[38:39], v36
	v_cvt_f64_f32_e32 v[36:37], v37
	s_waitcnt vmcnt(0)
	v_cvt_f64_f32_e32 v[86:87], v42
	v_cvt_f64_f32_e32 v[42:43], v43
	v_lshlrev_b32_e32 v31, 2, v5
	v_cvt_f64_f32_e32 v[88:89], v44
	v_cvt_f64_f32_e32 v[44:45], v45
	s_delay_alu instid0(VALU_DEP_3) | instskip(NEXT) | instid1(VALU_DEP_1)
	v_ashrrev_i32_e32 v32, 31, v31
	v_lshlrev_b64 v[31:32], 4, v[31:32]
	s_waitcnt lgkmcnt(0)
	s_delay_alu instid0(VALU_DEP_1) | instskip(NEXT) | instid1(VALU_DEP_2)
	v_add_co_u32 v31, vcc_lo, s4, v31
	v_add_co_ci_u32_e32 v32, vcc_lo, s5, v32, vcc_lo
	s_clause 0x1
	global_load_b128 v[46:49], v[31:32], off
	global_load_b128 v[50:53], v[31:32], off offset:16
	s_clause 0x3
	global_load_b128 v[54:57], v[6:7], off offset:32
	global_load_b128 v[58:61], v[6:7], off offset:48
	;; [unrolled: 1-line block ×4, first 2 shown]
	s_clause 0x1
	global_load_b128 v[70:73], v[31:32], off offset:32
	global_load_b128 v[74:77], v[31:32], off offset:48
	s_clause 0x1
	global_load_b128 v[78:81], v[6:7], off offset:96
	global_load_b128 v[82:85], v[6:7], off offset:112
	v_cvt_f64_f32_e32 v[31:32], v34
	v_cvt_f64_f32_e32 v[34:35], v35
	v_add_co_u32 v6, vcc_lo, 0x200, v6
	v_add_co_ci_u32_e32 v7, vcc_lo, 0, v7, vcc_lo
	s_waitcnt vmcnt(9)
	s_delay_alu instid0(VALU_DEP_4) | instskip(NEXT) | instid1(VALU_DEP_4)
	v_fma_f64 v[14:15], v[31:32], v[46:47], v[14:15]
	v_fma_f64 v[10:11], v[34:35], v[46:47], v[10:11]
	;; [unrolled: 1-line block ×8, first 2 shown]
	s_waitcnt vmcnt(7)
	v_cvt_f64_f32_e32 v[46:47], v54
	v_cvt_f64_f32_e32 v[54:55], v55
	;; [unrolled: 1-line block ×4, first 2 shown]
	s_waitcnt vmcnt(6)
	v_cvt_f64_f32_e32 v[92:93], v58
	v_cvt_f64_f32_e32 v[58:59], v59
	;; [unrolled: 1-line block ×4, first 2 shown]
	v_fma_f64 v[14:15], -v[34:35], v[48:49], v[14:15]
	v_fma_f64 v[10:11], v[31:32], v[48:49], v[10:11]
	v_fma_f64 v[25:26], -v[36:37], v[48:49], v[25:26]
	v_fma_f64 v[12:13], v[38:39], v[48:49], v[12:13]
	;; [unrolled: 2-line block ×4, first 2 shown]
	s_waitcnt vmcnt(5)
	v_cvt_f64_f32_e32 v[31:32], v62
	v_cvt_f64_f32_e32 v[34:35], v63
	;; [unrolled: 1-line block ×4, first 2 shown]
	s_waitcnt vmcnt(4)
	v_cvt_f64_f32_e32 v[42:43], v66
	v_cvt_f64_f32_e32 v[44:45], v67
	;; [unrolled: 1-line block ×3, first 2 shown]
	s_waitcnt vmcnt(0)
	v_cvt_f64_f32_e32 v[62:63], v84
	v_cvt_f64_f32_e32 v[64:65], v85
	v_fma_f64 v[14:15], v[46:47], v[50:51], v[14:15]
	v_fma_f64 v[10:11], v[54:55], v[50:51], v[10:11]
	;; [unrolled: 1-line block ×8, first 2 shown]
	v_cvt_f64_f32_e32 v[50:51], v69
	v_fma_f64 v[14:15], -v[54:55], v[52:53], v[14:15]
	v_fma_f64 v[10:11], v[46:47], v[52:53], v[10:11]
	v_fma_f64 v[25:26], -v[56:57], v[52:53], v[25:26]
	v_fma_f64 v[12:13], v[90:91], v[52:53], v[12:13]
	;; [unrolled: 2-line block ×4, first 2 shown]
	v_cvt_f64_f32_e32 v[46:47], v78
	v_cvt_f64_f32_e32 v[52:53], v79
	;; [unrolled: 1-line block ×6, first 2 shown]
	v_fma_f64 v[14:15], v[31:32], v[70:71], v[14:15]
	v_fma_f64 v[10:11], v[34:35], v[70:71], v[10:11]
	;; [unrolled: 1-line block ×8, first 2 shown]
	v_fma_f64 v[14:15], -v[34:35], v[72:73], v[14:15]
	v_fma_f64 v[10:11], v[31:32], v[72:73], v[10:11]
	v_fma_f64 v[25:26], -v[38:39], v[72:73], v[25:26]
	v_fma_f64 v[12:13], v[36:37], v[72:73], v[12:13]
	;; [unrolled: 2-line block ×4, first 2 shown]
	v_fma_f64 v[14:15], v[46:47], v[74:75], v[14:15]
	v_fma_f64 v[10:11], v[52:53], v[74:75], v[10:11]
	;; [unrolled: 1-line block ×8, first 2 shown]
	v_fma_f64 v[14:15], -v[52:53], v[76:77], v[14:15]
	v_fma_f64 v[10:11], v[46:47], v[76:77], v[10:11]
	v_fma_f64 v[25:26], -v[56:57], v[76:77], v[25:26]
	v_fma_f64 v[12:13], v[54:55], v[76:77], v[12:13]
	;; [unrolled: 2-line block ×4, first 2 shown]
	s_and_not1_b32 exec_lo, exec_lo, s7
	s_cbranch_execnz .LBB165_31
; %bb.32:
	s_or_b32 exec_lo, exec_lo, s7
.LBB165_33:
	s_delay_alu instid0(SALU_CYCLE_1) | instskip(NEXT) | instid1(SALU_CYCLE_1)
	s_or_b32 exec_lo, exec_lo, s6
	s_mov_b32 s6, exec_lo
	v_cmpx_lt_u32_e32 11, v29
	s_cbranch_execz .LBB165_37
; %bb.34:
	s_mov_b32 s7, 0
.LBB165_35:                             ; =>This Inner Loop Header: Depth=1
	v_ashrrev_i32_e32 v5, 31, v4
	s_delay_alu instid0(VALU_DEP_1) | instskip(SKIP_1) | instid1(VALU_DEP_2)
	v_lshlrev_b64 v[29:30], 2, v[4:5]
	v_add_nc_u32_e32 v4, 16, v4
	v_add_co_u32 v38, vcc_lo, s8, v29
	s_delay_alu instid0(VALU_DEP_3)
	v_add_co_ci_u32_e32 v39, vcc_lo, s9, v30, vcc_lo
	global_load_b32 v5, v[38:39], off
	s_clause 0x1
	global_load_b128 v[29:32], v[6:7], off
	global_load_b128 v[34:37], v[6:7], off offset:16
	s_clause 0x2
	global_load_b32 v40, v[38:39], off offset:16
	global_load_b32 v116, v[38:39], off offset:32
	;; [unrolled: 1-line block ×3, first 2 shown]
	s_waitcnt vmcnt(5)
	v_subrev_nc_u32_e32 v5, s12, v5
	s_waitcnt vmcnt(4)
	v_cvt_f64_f32_e32 v[90:91], v30
	v_cvt_f64_f32_e32 v[92:93], v31
	;; [unrolled: 1-line block ×3, first 2 shown]
	s_waitcnt vmcnt(3)
	v_cvt_f64_f32_e32 v[96:97], v34
	v_lshlrev_b32_e32 v38, 2, v5
	s_waitcnt vmcnt(2)
	v_subrev_nc_u32_e32 v5, s12, v40
	v_cvt_f64_f32_e32 v[34:35], v35
	v_cvt_f64_f32_e32 v[98:99], v36
	;; [unrolled: 1-line block ×3, first 2 shown]
	v_ashrrev_i32_e32 v39, 31, v38
	s_delay_alu instid0(VALU_DEP_1) | instskip(SKIP_1) | instid1(VALU_DEP_1)
	v_lshlrev_b64 v[38:39], 4, v[38:39]
	s_waitcnt lgkmcnt(0)
	v_add_co_u32 v38, vcc_lo, s4, v38
	s_delay_alu instid0(VALU_DEP_2)
	v_add_co_ci_u32_e32 v39, vcc_lo, s5, v39, vcc_lo
	global_load_b128 v[42:45], v[38:39], off
	s_clause 0x1
	global_load_b128 v[46:49], v[6:7], off offset:32
	global_load_b128 v[50:53], v[6:7], off offset:48
	global_load_b128 v[54:57], v[38:39], off offset:16
	s_clause 0x1
	global_load_b128 v[58:61], v[6:7], off offset:64
	global_load_b128 v[62:65], v[6:7], off offset:80
	global_load_b128 v[66:69], v[38:39], off offset:32
	;; [unrolled: 4-line block ×3, first 2 shown]
	s_clause 0x1
	global_load_b128 v[82:85], v[6:7], off offset:512
	global_load_b128 v[86:89], v[6:7], off offset:528
	v_cvt_f64_f32_e32 v[38:39], v29
	v_lshlrev_b32_e32 v29, 2, v5
	s_waitcnt vmcnt(13)
	v_subrev_nc_u32_e32 v5, s12, v116
	s_delay_alu instid0(VALU_DEP_2) | instskip(NEXT) | instid1(VALU_DEP_1)
	v_ashrrev_i32_e32 v30, 31, v29
	v_lshlrev_b64 v[29:30], 4, v[29:30]
	s_delay_alu instid0(VALU_DEP_1) | instskip(NEXT) | instid1(VALU_DEP_2)
	v_add_co_u32 v100, vcc_lo, s4, v29
	v_add_co_ci_u32_e32 v101, vcc_lo, s5, v30, vcc_lo
	global_load_b128 v[29:32], v[100:101], off
	s_waitcnt vmcnt(12)
	v_fma_f64 v[102:103], v[38:39], v[42:43], v[14:15]
	v_fma_f64 v[104:105], v[90:91], v[42:43], v[10:11]
	;; [unrolled: 1-line block ×8, first 2 shown]
	s_clause 0x1
	global_load_b128 v[8:11], v[6:7], off offset:544
	global_load_b128 v[12:15], v[6:7], off offset:560
	s_waitcnt vmcnt(13)
	v_cvt_f64_f32_e32 v[42:43], v46
	v_cvt_f64_f32_e32 v[46:47], v47
	;; [unrolled: 1-line block ×4, first 2 shown]
	s_waitcnt vmcnt(12)
	v_cvt_f64_f32_e32 v[112:113], v50
	v_cvt_f64_f32_e32 v[50:51], v51
	;; [unrolled: 1-line block ×4, first 2 shown]
	v_fma_f64 v[90:91], -v[90:91], v[44:45], v[102:103]
	v_fma_f64 v[38:39], v[38:39], v[44:45], v[104:105]
	v_fma_f64 v[25:26], -v[94:95], v[44:45], v[25:26]
	v_fma_f64 v[92:93], v[92:93], v[44:45], v[106:107]
	;; [unrolled: 2-line block ×4, first 2 shown]
	global_load_b128 v[21:24], v[100:101], off offset:16
	s_waitcnt vmcnt(11)
	v_cvt_f64_f32_e32 v[104:105], v60
	v_cvt_f64_f32_e32 v[60:61], v61
	s_waitcnt vmcnt(10)
	v_cvt_f64_f32_e32 v[106:107], v62
	v_cvt_f64_f32_e32 v[62:63], v63
	;; [unrolled: 1-line block ×4, first 2 shown]
	v_fma_f64 v[90:91], v[42:43], v[54:55], v[90:91]
	v_fma_f64 v[38:39], v[46:47], v[54:55], v[38:39]
	;; [unrolled: 1-line block ×8, first 2 shown]
	s_clause 0x1
	global_load_b128 v[25:28], v[6:7], off offset:576
	global_load_b128 v[34:37], v[6:7], off offset:592
	v_cvt_f64_f32_e32 v[54:55], v58
	v_cvt_f64_f32_e32 v[58:59], v59
	v_fma_f64 v[46:47], -v[46:47], v[56:57], v[90:91]
	v_fma_f64 v[38:39], v[42:43], v[56:57], v[38:39]
	v_fma_f64 v[48:49], -v[48:49], v[56:57], v[94:95]
	v_fma_f64 v[90:91], v[110:111], v[56:57], v[92:93]
	;; [unrolled: 2-line block ×4, first 2 shown]
	global_load_b128 v[42:45], v[100:101], off offset:32
	s_waitcnt vmcnt(11)
	v_cvt_f64_f32_e32 v[110:111], v72
	v_cvt_f64_f32_e32 v[72:73], v73
	s_waitcnt vmcnt(10)
	v_cvt_f64_f32_e32 v[112:113], v74
	v_cvt_f64_f32_e32 v[74:75], v75
	v_cvt_f64_f32_e32 v[114:115], v76
	v_cvt_f64_f32_e32 v[76:77], v77
	v_fma_f64 v[94:95], v[54:55], v[66:67], v[46:47]
	v_fma_f64 v[38:39], v[58:59], v[66:67], v[38:39]
	v_fma_f64 v[96:97], v[104:105], v[66:67], v[48:49]
	v_fma_f64 v[90:91], v[60:61], v[66:67], v[90:91]
	v_fma_f64 v[98:99], v[106:107], v[66:67], v[50:51]
	v_fma_f64 v[92:93], v[62:63], v[66:67], v[92:93]
	v_fma_f64 v[102:103], v[108:109], v[66:67], v[52:53]
	v_fma_f64 v[56:57], v[64:65], v[66:67], v[56:57]
	s_clause 0x1
	global_load_b128 v[46:49], v[6:7], off offset:608
	global_load_b128 v[50:53], v[6:7], off offset:624
	v_cvt_f64_f32_e32 v[66:67], v70
	v_cvt_f64_f32_e32 v[70:71], v71
	v_fma_f64 v[94:95], -v[58:59], v[68:69], v[94:95]
	v_fma_f64 v[38:39], v[54:55], v[68:69], v[38:39]
	v_fma_f64 v[96:97], -v[60:61], v[68:69], v[96:97]
	v_fma_f64 v[90:91], v[104:105], v[68:69], v[90:91]
	;; [unrolled: 2-line block ×4, first 2 shown]
	global_load_b128 v[54:57], v[100:101], off offset:48
	global_load_b128 v[58:61], v[6:7], off offset:1024
	v_lshlrev_b32_e32 v108, 2, v5
	s_waitcnt vmcnt(12)
	v_cvt_f64_f32_e32 v[102:103], v84
	v_cvt_f64_f32_e32 v[84:85], v85
	s_waitcnt vmcnt(11)
	v_cvt_f64_f32_e32 v[104:105], v86
	v_cvt_f64_f32_e32 v[86:87], v87
	;; [unrolled: 1-line block ×4, first 2 shown]
	v_ashrrev_i32_e32 v109, 31, v108
	v_subrev_nc_u32_e32 v5, s12, v124
	v_fma_f64 v[94:95], v[66:67], v[78:79], v[94:95]
	v_fma_f64 v[38:39], v[70:71], v[78:79], v[38:39]
	;; [unrolled: 1-line block ×8, first 2 shown]
	global_load_b128 v[62:65], v[6:7], off offset:1040
	v_cvt_f64_f32_e32 v[78:79], v82
	v_cvt_f64_f32_e32 v[82:83], v83
	v_fma_f64 v[70:71], -v[70:71], v[80:81], v[94:95]
	v_fma_f64 v[38:39], v[66:67], v[80:81], v[38:39]
	v_fma_f64 v[72:73], -v[72:73], v[80:81], v[96:97]
	v_fma_f64 v[90:91], v[110:111], v[80:81], v[90:91]
	;; [unrolled: 2-line block ×4, first 2 shown]
	v_lshlrev_b64 v[66:67], 4, v[108:109]
	s_delay_alu instid0(VALU_DEP_1) | instskip(NEXT) | instid1(VALU_DEP_2)
	v_add_co_u32 v94, vcc_lo, s4, v66
	v_add_co_ci_u32_e32 v95, vcc_lo, s5, v67, vcc_lo
	global_load_b128 v[66:69], v[94:95], off
	s_waitcnt vmcnt(12)
	v_fma_f64 v[96:97], v[78:79], v[29:30], v[70:71]
	v_fma_f64 v[38:39], v[82:83], v[29:30], v[38:39]
	;; [unrolled: 1-line block ×8, first 2 shown]
	s_clause 0x1
	global_load_b128 v[70:73], v[6:7], off offset:1056
	global_load_b128 v[74:77], v[6:7], off offset:1072
	s_waitcnt vmcnt(13)
	v_cvt_f64_f32_e32 v[80:81], v8
	v_cvt_f64_f32_e32 v[110:111], v9
	;; [unrolled: 1-line block ×4, first 2 shown]
	s_waitcnt vmcnt(12)
	v_cvt_f64_f32_e32 v[116:117], v12
	v_cvt_f64_f32_e32 v[118:119], v13
	;; [unrolled: 1-line block ×4, first 2 shown]
	global_load_b128 v[8:11], v[94:95], off offset:16
	v_fma_f64 v[12:13], -v[82:83], v[31:32], v[96:97]
	v_fma_f64 v[14:15], v[78:79], v[31:32], v[38:39]
	v_fma_f64 v[38:39], -v[84:85], v[31:32], v[98:99]
	v_fma_f64 v[78:79], v[102:103], v[31:32], v[90:91]
	;; [unrolled: 2-line block ×4, first 2 shown]
	s_waitcnt vmcnt(12)
	v_fma_f64 v[88:89], v[80:81], v[21:22], v[12:13]
	v_fma_f64 v[90:91], v[110:111], v[21:22], v[14:15]
	;; [unrolled: 1-line block ×8, first 2 shown]
	s_clause 0x1
	global_load_b128 v[12:15], v[6:7], off offset:1088
	global_load_b128 v[29:32], v[6:7], off offset:1104
	s_waitcnt vmcnt(13)
	v_cvt_f64_f32_e32 v[92:93], v25
	v_cvt_f64_f32_e32 v[96:97], v26
	;; [unrolled: 1-line block ×4, first 2 shown]
	s_waitcnt vmcnt(12)
	v_cvt_f64_f32_e32 v[102:103], v34
	v_cvt_f64_f32_e32 v[104:105], v35
	;; [unrolled: 1-line block ×4, first 2 shown]
	v_fma_f64 v[25:26], -v[110:111], v[23:24], v[88:89]
	v_fma_f64 v[27:28], v[80:81], v[23:24], v[90:91]
	v_fma_f64 v[34:35], -v[114:115], v[23:24], v[38:39]
	v_fma_f64 v[36:37], v[112:113], v[23:24], v[78:79]
	;; [unrolled: 2-line block ×4, first 2 shown]
	global_load_b128 v[21:24], v[94:95], off offset:32
	s_waitcnt vmcnt(12)
	v_fma_f64 v[84:85], v[92:93], v[42:43], v[25:26]
	v_fma_f64 v[86:87], v[96:97], v[42:43], v[27:28]
	;; [unrolled: 1-line block ×8, first 2 shown]
	s_clause 0x1
	global_load_b128 v[25:28], v[6:7], off offset:1120
	global_load_b128 v[34:37], v[6:7], off offset:1136
	s_waitcnt vmcnt(13)
	v_cvt_f64_f32_e32 v[82:83], v46
	v_cvt_f64_f32_e32 v[110:111], v47
	v_cvt_f64_f32_e32 v[112:113], v48
	v_cvt_f64_f32_e32 v[114:115], v49
	s_waitcnt vmcnt(12)
	v_cvt_f64_f32_e32 v[116:117], v50
	v_cvt_f64_f32_e32 v[118:119], v51
	;; [unrolled: 1-line block ×4, first 2 shown]
	v_fma_f64 v[46:47], -v[96:97], v[44:45], v[84:85]
	v_fma_f64 v[48:49], v[92:93], v[44:45], v[86:87]
	v_fma_f64 v[50:51], -v[100:101], v[44:45], v[88:89]
	v_fma_f64 v[52:53], v[98:99], v[44:45], v[90:91]
	;; [unrolled: 2-line block ×4, first 2 shown]
	global_load_b128 v[42:45], v[94:95], off offset:48
	s_waitcnt vmcnt(11)
	v_cvt_f64_f32_e32 v[94:95], v59
	v_cvt_f64_f32_e32 v[96:97], v60
	;; [unrolled: 1-line block ×3, first 2 shown]
	v_fma_f64 v[86:87], v[82:83], v[54:55], v[46:47]
	v_fma_f64 v[88:89], v[110:111], v[54:55], v[48:49]
	;; [unrolled: 1-line block ×8, first 2 shown]
	s_clause 0x1
	global_load_b128 v[46:49], v[6:7], off offset:1536
	global_load_b128 v[50:53], v[6:7], off offset:1552
	v_cvt_f64_f32_e32 v[84:85], v58
	v_lshlrev_b32_e32 v58, 2, v5
	s_delay_alu instid0(VALU_DEP_1)
	v_ashrrev_i32_e32 v59, 31, v58
	s_waitcnt vmcnt(12)
	v_cvt_f64_f32_e32 v[100:101], v62
	v_cvt_f64_f32_e32 v[102:103], v63
	;; [unrolled: 1-line block ×4, first 2 shown]
	v_fma_f64 v[60:61], -v[110:111], v[56:57], v[86:87]
	v_fma_f64 v[62:63], v[82:83], v[56:57], v[88:89]
	v_fma_f64 v[64:65], -v[114:115], v[56:57], v[90:91]
	v_fma_f64 v[82:83], v[112:113], v[56:57], v[92:93]
	;; [unrolled: 2-line block ×4, first 2 shown]
	v_lshlrev_b64 v[54:55], 4, v[58:59]
	s_delay_alu instid0(VALU_DEP_1) | instskip(NEXT) | instid1(VALU_DEP_2)
	v_add_co_u32 v88, vcc_lo, s4, v54
	v_add_co_ci_u32_e32 v89, vcc_lo, s5, v55, vcc_lo
	v_cmp_ge_i32_e32 vcc_lo, v4, v33
	global_load_b128 v[54:57], v[88:89], off
	s_or_b32 s7, vcc_lo, s7
	s_waitcnt vmcnt(12)
	v_fma_f64 v[90:91], v[84:85], v[66:67], v[60:61]
	v_fma_f64 v[92:93], v[94:95], v[66:67], v[62:63]
	;; [unrolled: 1-line block ×8, first 2 shown]
	s_clause 0x1
	global_load_b128 v[58:61], v[6:7], off offset:1568
	global_load_b128 v[62:65], v[6:7], off offset:1584
	s_waitcnt vmcnt(13)
	v_cvt_f64_f32_e32 v[86:87], v70
	v_cvt_f64_f32_e32 v[110:111], v71
	;; [unrolled: 1-line block ×4, first 2 shown]
	s_waitcnt vmcnt(12)
	v_cvt_f64_f32_e32 v[116:117], v74
	v_cvt_f64_f32_e32 v[118:119], v75
	;; [unrolled: 1-line block ×4, first 2 shown]
	v_fma_f64 v[70:71], -v[94:95], v[68:69], v[90:91]
	v_fma_f64 v[72:73], v[84:85], v[68:69], v[92:93]
	v_fma_f64 v[74:75], -v[98:99], v[68:69], v[108:109]
	v_fma_f64 v[76:77], v[96:97], v[68:69], v[82:83]
	;; [unrolled: 2-line block ×4, first 2 shown]
	global_load_b128 v[66:69], v[88:89], off offset:16
	s_waitcnt vmcnt(12)
	v_fma_f64 v[84:85], v[86:87], v[8:9], v[70:71]
	v_fma_f64 v[90:91], v[110:111], v[8:9], v[72:73]
	;; [unrolled: 1-line block ×8, first 2 shown]
	s_clause 0x1
	global_load_b128 v[70:73], v[6:7], off offset:1600
	global_load_b128 v[74:77], v[6:7], off offset:1616
	s_waitcnt vmcnt(13)
	v_cvt_f64_f32_e32 v[82:83], v12
	v_cvt_f64_f32_e32 v[96:97], v13
	;; [unrolled: 1-line block ×4, first 2 shown]
	s_waitcnt vmcnt(12)
	v_cvt_f64_f32_e32 v[102:103], v29
	v_cvt_f64_f32_e32 v[104:105], v30
	;; [unrolled: 1-line block ×4, first 2 shown]
	v_fma_f64 v[12:13], -v[110:111], v[10:11], v[84:85]
	v_fma_f64 v[14:15], v[86:87], v[10:11], v[90:91]
	v_fma_f64 v[29:30], -v[114:115], v[10:11], v[92:93]
	v_fma_f64 v[31:32], v[112:113], v[10:11], v[94:95]
	;; [unrolled: 2-line block ×4, first 2 shown]
	global_load_b128 v[8:11], v[88:89], off offset:32
	s_waitcnt vmcnt(12)
	v_fma_f64 v[86:87], v[82:83], v[21:22], v[12:13]
	v_fma_f64 v[90:91], v[96:97], v[21:22], v[14:15]
	;; [unrolled: 1-line block ×8, first 2 shown]
	s_clause 0x1
	global_load_b128 v[12:15], v[6:7], off offset:1632
	global_load_b128 v[29:32], v[6:7], off offset:1648
	v_add_co_u32 v6, s0, 0x800, v6
	s_delay_alu instid0(VALU_DEP_1)
	v_add_co_ci_u32_e64 v7, s0, 0, v7, s0
	s_waitcnt vmcnt(13)
	v_cvt_f64_f32_e32 v[84:85], v25
	v_cvt_f64_f32_e32 v[25:26], v26
	;; [unrolled: 1-line block ×4, first 2 shown]
	s_waitcnt vmcnt(12)
	v_cvt_f64_f32_e32 v[112:113], v34
	v_cvt_f64_f32_e32 v[114:115], v35
	;; [unrolled: 1-line block ×4, first 2 shown]
	global_load_b128 v[34:37], v[88:89], off offset:48
	v_fma_f64 v[86:87], -v[96:97], v[23:24], v[86:87]
	v_fma_f64 v[82:83], v[82:83], v[23:24], v[90:91]
	v_fma_f64 v[90:91], -v[100:101], v[23:24], v[92:93]
	v_fma_f64 v[92:93], v[98:99], v[23:24], v[94:95]
	v_fma_f64 v[38:39], -v[104:105], v[23:24], v[38:39]
	v_fma_f64 v[78:79], v[102:103], v[23:24], v[78:79]
	v_fma_f64 v[80:81], -v[108:109], v[23:24], v[80:81]
	v_fma_f64 v[21:22], v[106:107], v[23:24], v[21:22]
	s_waitcnt vmcnt(12)
	v_fma_f64 v[23:24], v[84:85], v[42:43], v[86:87]
	v_fma_f64 v[82:83], v[25:26], v[42:43], v[82:83]
	v_fma_f64 v[86:87], v[110:111], v[42:43], v[90:91]
	v_fma_f64 v[88:89], v[27:28], v[42:43], v[92:93]
	v_fma_f64 v[38:39], v[112:113], v[42:43], v[38:39]
	v_fma_f64 v[78:79], v[114:115], v[42:43], v[78:79]
	v_fma_f64 v[80:81], v[116:117], v[42:43], v[80:81]
	v_fma_f64 v[21:22], v[118:119], v[42:43], v[21:22]
	s_waitcnt vmcnt(11)
	v_cvt_f64_f32_e32 v[42:43], v46
	v_cvt_f64_f32_e32 v[46:47], v47
	v_cvt_f64_f32_e32 v[90:91], v48
	v_cvt_f64_f32_e32 v[48:49], v49
	s_waitcnt vmcnt(10)
	v_cvt_f64_f32_e32 v[92:93], v50
	v_cvt_f64_f32_e32 v[50:51], v51
	v_cvt_f64_f32_e32 v[94:95], v52
	v_cvt_f64_f32_e32 v[52:53], v53
	v_fma_f64 v[23:24], -v[25:26], v[44:45], v[23:24]
	v_fma_f64 v[25:26], v[84:85], v[44:45], v[82:83]
	v_fma_f64 v[27:28], -v[27:28], v[44:45], v[86:87]
	v_fma_f64 v[82:83], v[110:111], v[44:45], v[88:89]
	v_fma_f64 v[38:39], -v[114:115], v[44:45], v[38:39]
	v_fma_f64 v[78:79], v[112:113], v[44:45], v[78:79]
	v_fma_f64 v[80:81], -v[118:119], v[44:45], v[80:81]
	v_fma_f64 v[21:22], v[116:117], v[44:45], v[21:22]
	s_waitcnt vmcnt(9)
	v_fma_f64 v[23:24], v[42:43], v[54:55], v[23:24]
	v_fma_f64 v[25:26], v[46:47], v[54:55], v[25:26]
	v_fma_f64 v[27:28], v[90:91], v[54:55], v[27:28]
	v_fma_f64 v[44:45], v[48:49], v[54:55], v[82:83]
	v_fma_f64 v[38:39], v[92:93], v[54:55], v[38:39]
	v_fma_f64 v[78:79], v[50:51], v[54:55], v[78:79]
	v_fma_f64 v[80:81], v[94:95], v[54:55], v[80:81]
	v_fma_f64 v[21:22], v[52:53], v[54:55], v[21:22]
	s_waitcnt vmcnt(8)
	v_cvt_f64_f32_e32 v[54:55], v58
	v_cvt_f64_f32_e32 v[58:59], v59
	v_cvt_f64_f32_e32 v[82:83], v60
	v_cvt_f64_f32_e32 v[60:61], v61
	s_waitcnt vmcnt(7)
	v_cvt_f64_f32_e32 v[84:85], v62
	v_cvt_f64_f32_e32 v[62:63], v63
	v_cvt_f64_f32_e32 v[86:87], v64
	v_cvt_f64_f32_e32 v[64:65], v65
	;; [unrolled: 27-line block ×4, first 2 shown]
	v_fma_f64 v[14:15], -v[50:51], v[10:11], v[23:24]
	v_fma_f64 v[23:24], v[48:49], v[10:11], v[25:26]
	v_fma_f64 v[25:26], -v[56:57], v[10:11], v[27:28]
	v_fma_f64 v[27:28], v[52:53], v[10:11], v[42:43]
	;; [unrolled: 2-line block ×4, first 2 shown]
	s_waitcnt vmcnt(0)
	v_fma_f64 v[10:11], v[21:22], v[34:35], v[14:15]
	v_fma_f64 v[23:24], v[12:13], v[34:35], v[23:24]
	;; [unrolled: 1-line block ×8, first 2 shown]
	v_fma_f64 v[14:15], -v[12:13], v[36:37], v[10:11]
	v_fma_f64 v[10:11], v[21:22], v[36:37], v[23:24]
	v_fma_f64 v[25:26], -v[58:59], v[36:37], v[25:26]
	v_fma_f64 v[12:13], v[54:55], v[36:37], v[27:28]
	;; [unrolled: 2-line block ×4, first 2 shown]
	s_and_not1_b32 exec_lo, exec_lo, s7
	s_cbranch_execnz .LBB165_35
; %bb.36:
	s_or_b32 exec_lo, exec_lo, s7
.LBB165_37:
	s_delay_alu instid0(SALU_CYCLE_1)
	s_or_b32 exec_lo, exec_lo, s6
.LBB165_38:
	s_delay_alu instid0(SALU_CYCLE_1)
	s_or_b32 exec_lo, exec_lo, s1
.LBB165_39:
	v_mbcnt_lo_u32_b32 v44, -1, 0
	s_delay_alu instid0(VALU_DEP_1) | instskip(NEXT) | instid1(VALU_DEP_1)
	v_xor_b32_e32 v4, 2, v44
	v_cmp_gt_i32_e32 vcc_lo, 32, v4
	v_cndmask_b32_e32 v4, v44, v4, vcc_lo
	s_delay_alu instid0(VALU_DEP_1)
	v_lshlrev_b32_e32 v29, 2, v4
	ds_bpermute_b32 v4, v29, v14
	ds_bpermute_b32 v5, v29, v15
	;; [unrolled: 1-line block ×16, first 2 shown]
	s_waitcnt lgkmcnt(0)
	v_add_f64 v[4:5], v[14:15], v[4:5]
	v_add_f64 v[29:30], v[10:11], v[6:7]
	;; [unrolled: 1-line block ×8, first 2 shown]
	v_xor_b32_e32 v21, 1, v44
	s_delay_alu instid0(VALU_DEP_1) | instskip(SKIP_2) | instid1(VALU_DEP_2)
	v_cmp_gt_i32_e32 vcc_lo, 32, v21
	v_cndmask_b32_e32 v21, v44, v21, vcc_lo
	v_cmp_eq_u32_e32 vcc_lo, 3, v41
	v_lshlrev_b32_e32 v34, 2, v21
	ds_bpermute_b32 v21, v34, v4
	ds_bpermute_b32 v22, v34, v5
	;; [unrolled: 1-line block ×16, first 2 shown]
	s_and_b32 exec_lo, exec_lo, vcc_lo
	s_cbranch_execz .LBB165_12
; %bb.40:
	s_waitcnt lgkmcnt(12)
	v_add_f64 v[29:30], v[29:30], v[39:40]
	s_waitcnt lgkmcnt(8)
	v_add_f64 v[25:26], v[25:26], v[37:38]
	;; [unrolled: 2-line block ×4, first 2 shown]
	v_add_f64 v[4:5], v[4:5], v[21:22]
	v_add_f64 v[6:7], v[6:7], v[23:24]
	;; [unrolled: 1-line block ×4, first 2 shown]
	v_cmp_eq_f64_e32 vcc_lo, 0, v[16:17]
	v_cmp_eq_f64_e64 s0, 0, v[18:19]
	s_load_b64 s[2:3], s[2:3], 0x60
	v_lshlrev_b32_e32 v20, 2, v20
	v_mul_f64 v[8:9], v[29:30], -v[2:3]
	v_mul_f64 v[10:11], v[0:1], v[29:30]
	v_mul_f64 v[27:28], v[25:26], -v[2:3]
	v_mul_f64 v[25:26], v[0:1], v[25:26]
	;; [unrolled: 2-line block ×4, first 2 shown]
	s_and_b32 s0, vcc_lo, s0
	v_fma_f64 v[12:13], v[0:1], v[4:5], v[8:9]
	v_fma_f64 v[14:15], v[2:3], v[4:5], v[10:11]
	;; [unrolled: 1-line block ×8, first 2 shown]
	s_and_saveexec_b32 s1, s0
	s_delay_alu instid0(SALU_CYCLE_1)
	s_xor_b32 s0, exec_lo, s1
	s_cbranch_execz .LBB165_42
; %bb.41:
	v_ashrrev_i32_e32 v21, 31, v20
                                        ; implicit-def: $vgpr18_vgpr19
	s_delay_alu instid0(VALU_DEP_1) | instskip(SKIP_1) | instid1(VALU_DEP_1)
	v_lshlrev_b64 v[16:17], 4, v[20:21]
                                        ; implicit-def: $vgpr20
	s_waitcnt lgkmcnt(0)
	v_add_co_u32 v16, vcc_lo, s2, v16
	s_delay_alu instid0(VALU_DEP_2)
	v_add_co_ci_u32_e32 v17, vcc_lo, s3, v17, vcc_lo
	s_clause 0x3
	global_store_b128 v[16:17], v[12:15], off
	global_store_b128 v[16:17], v[8:11], off offset:16
	global_store_b128 v[16:17], v[4:7], off offset:32
	;; [unrolled: 1-line block ×3, first 2 shown]
                                        ; implicit-def: $vgpr16_vgpr17
                                        ; implicit-def: $vgpr12_vgpr13
                                        ; implicit-def: $vgpr8_vgpr9
                                        ; implicit-def: $vgpr4_vgpr5
                                        ; implicit-def: $vgpr0_vgpr1
.LBB165_42:
	s_and_not1_saveexec_b32 s0, s0
	s_cbranch_execz .LBB165_12
; %bb.43:
	v_ashrrev_i32_e32 v21, 31, v20
	s_delay_alu instid0(VALU_DEP_1) | instskip(SKIP_1) | instid1(VALU_DEP_1)
	v_lshlrev_b64 v[20:21], 4, v[20:21]
	s_waitcnt lgkmcnt(0)
	v_add_co_u32 v36, vcc_lo, s2, v20
	s_delay_alu instid0(VALU_DEP_2)
	v_add_co_ci_u32_e32 v37, vcc_lo, s3, v21, vcc_lo
	s_clause 0x3
	global_load_b128 v[20:23], v[36:37], off
	global_load_b128 v[24:27], v[36:37], off offset:16
	global_load_b128 v[28:31], v[36:37], off offset:32
	;; [unrolled: 1-line block ×3, first 2 shown]
	s_waitcnt vmcnt(3)
	v_fma_f64 v[12:13], v[16:17], v[20:21], v[12:13]
	v_fma_f64 v[14:15], v[18:19], v[20:21], v[14:15]
	s_waitcnt vmcnt(2)
	v_fma_f64 v[8:9], v[16:17], v[24:25], v[8:9]
	v_fma_f64 v[10:11], v[18:19], v[24:25], v[10:11]
	;; [unrolled: 3-line block ×4, first 2 shown]
	v_fma_f64 v[0:1], -v[18:19], v[22:23], v[12:13]
	v_fma_f64 v[2:3], v[16:17], v[22:23], v[14:15]
	v_fma_f64 v[4:5], -v[18:19], v[26:27], v[8:9]
	v_fma_f64 v[6:7], v[16:17], v[26:27], v[10:11]
	;; [unrolled: 2-line block ×4, first 2 shown]
	s_clause 0x3
	global_store_b128 v[36:37], v[0:3], off
	global_store_b128 v[36:37], v[4:7], off offset:16
	global_store_b128 v[36:37], v[8:11], off offset:32
	;; [unrolled: 1-line block ×3, first 2 shown]
	s_nop 0
	s_sendmsg sendmsg(MSG_DEALLOC_VGPRS)
	s_endpgm
	.section	.rodata,"a",@progbits
	.p2align	6, 0x0
	.amdhsa_kernel _ZN9rocsparseL18bsrxmvn_4x4_kernelILj128ELj4E21rocsparse_complex_numIdEiiS1_IfES2_S2_EEvT3_20rocsparse_direction_NS_24const_host_device_scalarIT1_EES4_PKS4_PKT2_SD_SA_PKT4_PKT5_S8_PT6_21rocsparse_index_base_b
		.amdhsa_group_segment_fixed_size 2048
		.amdhsa_private_segment_fixed_size 0
		.amdhsa_kernarg_size 112
		.amdhsa_user_sgpr_count 15
		.amdhsa_user_sgpr_dispatch_ptr 1
		.amdhsa_user_sgpr_queue_ptr 0
		.amdhsa_user_sgpr_kernarg_segment_ptr 1
		.amdhsa_user_sgpr_dispatch_id 0
		.amdhsa_user_sgpr_private_segment_size 0
		.amdhsa_wavefront_size32 1
		.amdhsa_uses_dynamic_stack 0
		.amdhsa_enable_private_segment 0
		.amdhsa_system_sgpr_workgroup_id_x 1
		.amdhsa_system_sgpr_workgroup_id_y 0
		.amdhsa_system_sgpr_workgroup_id_z 0
		.amdhsa_system_sgpr_workgroup_info 0
		.amdhsa_system_vgpr_workitem_id 2
		.amdhsa_next_free_vgpr 129
		.amdhsa_next_free_sgpr 18
		.amdhsa_reserve_vcc 1
		.amdhsa_float_round_mode_32 0
		.amdhsa_float_round_mode_16_64 0
		.amdhsa_float_denorm_mode_32 3
		.amdhsa_float_denorm_mode_16_64 3
		.amdhsa_dx10_clamp 1
		.amdhsa_ieee_mode 1
		.amdhsa_fp16_overflow 0
		.amdhsa_workgroup_processor_mode 1
		.amdhsa_memory_ordered 1
		.amdhsa_forward_progress 0
		.amdhsa_shared_vgpr_count 0
		.amdhsa_exception_fp_ieee_invalid_op 0
		.amdhsa_exception_fp_denorm_src 0
		.amdhsa_exception_fp_ieee_div_zero 0
		.amdhsa_exception_fp_ieee_overflow 0
		.amdhsa_exception_fp_ieee_underflow 0
		.amdhsa_exception_fp_ieee_inexact 0
		.amdhsa_exception_int_div_zero 0
	.end_amdhsa_kernel
	.section	.text._ZN9rocsparseL18bsrxmvn_4x4_kernelILj128ELj4E21rocsparse_complex_numIdEiiS1_IfES2_S2_EEvT3_20rocsparse_direction_NS_24const_host_device_scalarIT1_EES4_PKS4_PKT2_SD_SA_PKT4_PKT5_S8_PT6_21rocsparse_index_base_b,"axG",@progbits,_ZN9rocsparseL18bsrxmvn_4x4_kernelILj128ELj4E21rocsparse_complex_numIdEiiS1_IfES2_S2_EEvT3_20rocsparse_direction_NS_24const_host_device_scalarIT1_EES4_PKS4_PKT2_SD_SA_PKT4_PKT5_S8_PT6_21rocsparse_index_base_b,comdat
.Lfunc_end165:
	.size	_ZN9rocsparseL18bsrxmvn_4x4_kernelILj128ELj4E21rocsparse_complex_numIdEiiS1_IfES2_S2_EEvT3_20rocsparse_direction_NS_24const_host_device_scalarIT1_EES4_PKS4_PKT2_SD_SA_PKT4_PKT5_S8_PT6_21rocsparse_index_base_b, .Lfunc_end165-_ZN9rocsparseL18bsrxmvn_4x4_kernelILj128ELj4E21rocsparse_complex_numIdEiiS1_IfES2_S2_EEvT3_20rocsparse_direction_NS_24const_host_device_scalarIT1_EES4_PKS4_PKT2_SD_SA_PKT4_PKT5_S8_PT6_21rocsparse_index_base_b
                                        ; -- End function
	.section	.AMDGPU.csdata,"",@progbits
; Kernel info:
; codeLenInByte = 11160
; NumSgprs: 20
; NumVgprs: 129
; ScratchSize: 0
; MemoryBound: 0
; FloatMode: 240
; IeeeMode: 1
; LDSByteSize: 2048 bytes/workgroup (compile time only)
; SGPRBlocks: 2
; VGPRBlocks: 16
; NumSGPRsForWavesPerEU: 20
; NumVGPRsForWavesPerEU: 129
; Occupancy: 10
; WaveLimiterHint : 1
; COMPUTE_PGM_RSRC2:SCRATCH_EN: 0
; COMPUTE_PGM_RSRC2:USER_SGPR: 15
; COMPUTE_PGM_RSRC2:TRAP_HANDLER: 0
; COMPUTE_PGM_RSRC2:TGID_X_EN: 1
; COMPUTE_PGM_RSRC2:TGID_Y_EN: 0
; COMPUTE_PGM_RSRC2:TGID_Z_EN: 0
; COMPUTE_PGM_RSRC2:TIDIG_COMP_CNT: 2
	.section	.text._ZN9rocsparseL18bsrxmvn_4x4_kernelILj128ELj8E21rocsparse_complex_numIdEiiS1_IfES2_S2_EEvT3_20rocsparse_direction_NS_24const_host_device_scalarIT1_EES4_PKS4_PKT2_SD_SA_PKT4_PKT5_S8_PT6_21rocsparse_index_base_b,"axG",@progbits,_ZN9rocsparseL18bsrxmvn_4x4_kernelILj128ELj8E21rocsparse_complex_numIdEiiS1_IfES2_S2_EEvT3_20rocsparse_direction_NS_24const_host_device_scalarIT1_EES4_PKS4_PKT2_SD_SA_PKT4_PKT5_S8_PT6_21rocsparse_index_base_b,comdat
	.globl	_ZN9rocsparseL18bsrxmvn_4x4_kernelILj128ELj8E21rocsparse_complex_numIdEiiS1_IfES2_S2_EEvT3_20rocsparse_direction_NS_24const_host_device_scalarIT1_EES4_PKS4_PKT2_SD_SA_PKT4_PKT5_S8_PT6_21rocsparse_index_base_b ; -- Begin function _ZN9rocsparseL18bsrxmvn_4x4_kernelILj128ELj8E21rocsparse_complex_numIdEiiS1_IfES2_S2_EEvT3_20rocsparse_direction_NS_24const_host_device_scalarIT1_EES4_PKS4_PKT2_SD_SA_PKT4_PKT5_S8_PT6_21rocsparse_index_base_b
	.p2align	8
	.type	_ZN9rocsparseL18bsrxmvn_4x4_kernelILj128ELj8E21rocsparse_complex_numIdEiiS1_IfES2_S2_EEvT3_20rocsparse_direction_NS_24const_host_device_scalarIT1_EES4_PKS4_PKT2_SD_SA_PKT4_PKT5_S8_PT6_21rocsparse_index_base_b,@function
_ZN9rocsparseL18bsrxmvn_4x4_kernelILj128ELj8E21rocsparse_complex_numIdEiiS1_IfES2_S2_EEvT3_20rocsparse_direction_NS_24const_host_device_scalarIT1_EES4_PKS4_PKT2_SD_SA_PKT4_PKT5_S8_PT6_21rocsparse_index_base_b: ; @_ZN9rocsparseL18bsrxmvn_4x4_kernelILj128ELj8E21rocsparse_complex_numIdEiiS1_IfES2_S2_EEvT3_20rocsparse_direction_NS_24const_host_device_scalarIT1_EES4_PKS4_PKT2_SD_SA_PKT4_PKT5_S8_PT6_21rocsparse_index_base_b
; %bb.0:
	s_load_b64 s[12:13], s[2:3], 0x68
	s_load_b64 s[16:17], s[0:1], 0x4
	s_load_b128 s[8:11], s[2:3], 0x8
	v_bfe_u32 v1, v0, 10, 10
	s_mov_b64 s[0:1], src_shared_base
	s_load_b128 s[4:7], s[2:3], 0x50
	v_and_b32_e32 v4, 0x3ff, v0
	v_bfe_u32 v0, v0, 20, 10
	s_waitcnt lgkmcnt(0)
	s_bitcmp1_b32 s13, 0
	v_mul_u32_u24_e32 v1, s17, v1
	s_cselect_b32 s0, -1, 0
	s_delay_alu instid0(SALU_CYCLE_1)
	s_and_b32 vcc_lo, s0, exec_lo
	s_cselect_b32 s13, s1, s9
	s_lshr_b32 s14, s16, 16
	v_mov_b32_e32 v2, s4
	s_mul_i32 s14, s14, s17
	v_mov_b32_e32 v7, s13
	v_mad_u32_u24 v1, s14, v4, v1
	v_mov_b32_e32 v3, s5
	s_delay_alu instid0(VALU_DEP_2) | instskip(SKIP_1) | instid1(VALU_DEP_2)
	v_add_lshl_u32 v5, v1, v0, 3
	v_dual_mov_b32 v0, s8 :: v_dual_mov_b32 v1, s9
	v_add_nc_u32_e32 v6, 0x400, v5
	ds_store_2addr_stride64_b64 v5, v[2:3], v[0:1] offset1:2
	v_dual_mov_b32 v2, s10 :: v_dual_mov_b32 v3, s11
	v_cndmask_b32_e64 v6, s8, v6, s0
	s_xor_b32 s10, s0, -1
	flat_load_b64 v[0:1], v[6:7]
	s_cbranch_vccnz .LBB166_2
; %bb.1:
	v_dual_mov_b32 v2, s8 :: v_dual_mov_b32 v3, s9
	flat_load_b64 v[2:3], v[2:3] offset:8
.LBB166_2:
	s_and_b32 s8, s0, exec_lo
	s_cselect_b32 s1, s1, s5
	v_cndmask_b32_e64 v5, s4, v5, s0
	v_dual_mov_b32 v6, s1 :: v_dual_mov_b32 v19, s7
	v_mov_b32_e32 v18, s6
	s_and_not1_b32 vcc_lo, exec_lo, s10
	flat_load_b64 v[16:17], v[5:6]
	s_cbranch_vccnz .LBB166_4
; %bb.3:
	v_dual_mov_b32 v6, s5 :: v_dual_mov_b32 v5, s4
	flat_load_b64 v[18:19], v[5:6] offset:8
.LBB166_4:
	s_waitcnt vmcnt(1) lgkmcnt(1)
	v_cmp_eq_f64_e32 vcc_lo, 0, v[0:1]
	v_cmp_eq_f64_e64 s0, 0, v[2:3]
	s_delay_alu instid0(VALU_DEP_1)
	s_and_b32 s4, vcc_lo, s0
	s_mov_b32 s0, -1
	s_and_saveexec_b32 s1, s4
	s_cbranch_execz .LBB166_6
; %bb.5:
	s_waitcnt vmcnt(0) lgkmcnt(0)
	v_cmp_neq_f64_e32 vcc_lo, 1.0, v[16:17]
	v_cmp_neq_f64_e64 s0, 0, v[18:19]
	s_delay_alu instid0(VALU_DEP_1) | instskip(NEXT) | instid1(SALU_CYCLE_1)
	s_or_b32 s0, vcc_lo, s0
	s_or_not1_b32 s0, s0, exec_lo
.LBB166_6:
	s_or_b32 exec_lo, exec_lo, s1
	s_and_saveexec_b32 s1, s0
	s_cbranch_execz .LBB166_12
; %bb.7:
	s_clause 0x1
	s_load_b64 s[4:5], s[2:3], 0x20
	s_load_b64 s[0:1], s[2:3], 0x0
	v_lshrrev_b32_e32 v5, 3, v4
	s_delay_alu instid0(VALU_DEP_1)
	v_lshl_or_b32 v20, s15, 4, v5
	s_waitcnt lgkmcnt(0)
	s_cmp_lg_u64 s[4:5], 0
	s_cbranch_scc0 .LBB166_13
; %bb.8:
	s_load_b32 s6, s[2:3], 0x18
	s_mov_b32 s7, 0
                                        ; implicit-def: $vgpr5
	s_waitcnt lgkmcnt(0)
	v_cmp_gt_i32_e32 vcc_lo, s6, v20
	s_mov_b32 s6, 0
	s_and_saveexec_b32 s8, vcc_lo
	s_delay_alu instid0(SALU_CYCLE_1)
	s_xor_b32 s8, exec_lo, s8
	s_cbranch_execz .LBB166_10
; %bb.9:
	v_ashrrev_i32_e32 v21, 31, v20
	s_mov_b32 s6, exec_lo
	s_delay_alu instid0(VALU_DEP_1) | instskip(NEXT) | instid1(VALU_DEP_1)
	v_lshlrev_b64 v[5:6], 2, v[20:21]
	v_add_co_u32 v5, vcc_lo, s4, v5
	s_delay_alu instid0(VALU_DEP_2)
	v_add_co_ci_u32_e32 v6, vcc_lo, s5, v6, vcc_lo
	global_load_b32 v5, v[5:6], off
	s_waitcnt vmcnt(0)
	v_subrev_nc_u32_e32 v5, s12, v5
.LBB166_10:
	s_or_b32 exec_lo, exec_lo, s8
	s_delay_alu instid0(SALU_CYCLE_1)
	s_and_b32 vcc_lo, exec_lo, s7
	s_cbranch_vccz .LBB166_14
.LBB166_11:
	v_cmp_gt_i32_e32 vcc_lo, s0, v20
	s_and_not1_b32 s0, s6, exec_lo
	s_and_b32 s4, vcc_lo, exec_lo
	s_delay_alu instid0(SALU_CYCLE_1) | instskip(NEXT) | instid1(SALU_CYCLE_1)
	s_or_b32 s6, s0, s4
	s_and_b32 exec_lo, exec_lo, s6
	s_cbranch_execnz .LBB166_15
.LBB166_12:
	s_nop 0
	s_sendmsg sendmsg(MSG_DEALLOC_VGPRS)
	s_endpgm
.LBB166_13:
	s_mov_b32 s6, 0
                                        ; implicit-def: $vgpr5
	s_cbranch_execnz .LBB166_11
.LBB166_14:
	s_delay_alu instid0(VALU_DEP_1)
	v_mov_b32_e32 v20, v5
	s_and_b32 exec_lo, exec_lo, s6
	s_cbranch_execz .LBB166_12
.LBB166_15:
	s_load_b256 s[4:11], s[2:3], 0x28
	s_delay_alu instid0(VALU_DEP_1) | instskip(SKIP_1) | instid1(VALU_DEP_2)
	v_ashrrev_i32_e32 v21, 31, v20
	v_and_b32_e32 v41, 7, v4
	v_lshlrev_b64 v[5:6], 2, v[20:21]
	s_waitcnt lgkmcnt(0)
	s_delay_alu instid0(VALU_DEP_1) | instskip(NEXT) | instid1(VALU_DEP_2)
	v_add_co_u32 v7, vcc_lo, s4, v5
	v_add_co_ci_u32_e32 v8, vcc_lo, s5, v6, vcc_lo
	v_add_co_u32 v5, vcc_lo, s6, v5
	v_add_co_ci_u32_e32 v6, vcc_lo, s7, v6, vcc_lo
	global_load_b32 v34, v[7:8], off
	v_add_co_u32 v7, vcc_lo, v7, 4
	v_add_co_ci_u32_e32 v8, vcc_lo, 0, v8, vcc_lo
	s_cmp_eq_u64 s[6:7], 0
	s_load_b64 s[4:5], s[2:3], 0x48
	s_cselect_b32 vcc_lo, -1, 0
	s_cmp_eq_u32 s1, 1
	v_dual_cndmask_b32 v6, v6, v8 :: v_dual_cndmask_b32 v5, v5, v7
	global_load_b32 v8, v[5:6], off
	s_waitcnt vmcnt(1)
	v_subrev_nc_u32_e32 v4, s12, v34
	s_delay_alu instid0(VALU_DEP_1) | instskip(NEXT) | instid1(VALU_DEP_1)
	v_add_nc_u32_e32 v4, v4, v41
	v_ashrrev_i32_e32 v5, 31, v4
	s_waitcnt vmcnt(0)
	v_subrev_nc_u32_e32 v33, s12, v8
	s_delay_alu instid0(VALU_DEP_2) | instskip(NEXT) | instid1(VALU_DEP_2)
	v_lshlrev_b64 v[6:7], 7, v[4:5]
	v_cmp_lt_i32_e64 s0, v4, v33
	s_delay_alu instid0(VALU_DEP_2) | instskip(NEXT) | instid1(VALU_DEP_3)
	v_add_co_u32 v6, vcc_lo, s10, v6
	v_add_co_ci_u32_e32 v7, vcc_lo, s11, v7, vcc_lo
	s_cbranch_scc1 .LBB166_27
; %bb.16:
	v_mov_b32_e32 v10, 0
	v_mov_b32_e32 v11, 0
	s_delay_alu instid0(VALU_DEP_1)
	v_dual_mov_b32 v8, v10 :: v_dual_mov_b32 v9, v11
	v_dual_mov_b32 v15, v11 :: v_dual_mov_b32 v14, v10
	;; [unrolled: 1-line block ×7, first 2 shown]
	s_and_saveexec_b32 s6, s0
	s_cbranch_execz .LBB166_26
; %bb.17:
	v_add_nc_u32_e32 v5, v34, v41
	v_not_b32_e32 v8, v34
	v_mov_b32_e32 v31, v4
	s_mov_b32 s10, 0
	s_mov_b32 s7, exec_lo
	v_subrev_nc_u32_e32 v5, s12, v5
	s_delay_alu instid0(VALU_DEP_1) | instskip(NEXT) | instid1(VALU_DEP_1)
	v_dual_mov_b32 v30, v7 :: v_dual_add_nc_u32 v5, 8, v5
	v_max_i32_e32 v5, v5, v33
	s_delay_alu instid0(VALU_DEP_1) | instskip(SKIP_1) | instid1(VALU_DEP_2)
	v_add3_u32 v5, v5, s12, v8
	v_mov_b32_e32 v8, 0
	v_sub_nc_u32_e32 v5, v5, v41
	s_delay_alu instid0(VALU_DEP_1) | instskip(NEXT) | instid1(VALU_DEP_1)
	v_lshrrev_b32_e32 v10, 3, v5
	v_dual_mov_b32 v9, 0 :: v_dual_add_nc_u32 v10, 1, v10
	s_delay_alu instid0(VALU_DEP_1) | instskip(SKIP_2) | instid1(VALU_DEP_4)
	v_dual_mov_b32 v29, v6 :: v_dual_mov_b32 v22, v9
	v_dual_mov_b32 v21, v8 :: v_dual_mov_b32 v28, v9
	;; [unrolled: 1-line block ×3, first 2 shown]
	v_dual_mov_b32 v23, v8 :: v_dual_and_b32 v32, 3, v10
	v_dual_mov_b32 v26, v9 :: v_dual_mov_b32 v25, v8
	v_dual_mov_b32 v13, v9 :: v_dual_mov_b32 v12, v8
	;; [unrolled: 1-line block ×4, first 2 shown]
	v_cmpx_ne_u32_e32 0, v32
	s_cbranch_execz .LBB166_21
; %bb.18:
	v_dual_mov_b32 v10, 0 :: v_dual_lshlrev_b32 v35, 7, v32
	v_dual_mov_b32 v11, 0 :: v_dual_mov_b32 v30, v7
	v_mov_b32_e32 v29, v6
	s_delay_alu instid0(VALU_DEP_3) | instskip(NEXT) | instid1(VALU_DEP_3)
	v_dual_mov_b32 v31, v4 :: v_dual_mov_b32 v8, v10
	v_dual_mov_b32 v26, v11 :: v_dual_mov_b32 v25, v10
	;; [unrolled: 1-line block ×3, first 2 shown]
	v_mov_b32_e32 v28, v11
	v_mov_b32_e32 v15, v11
	;; [unrolled: 1-line block ×3, first 2 shown]
	v_dual_mov_b32 v27, v10 :: v_dual_mov_b32 v22, v11
	v_mov_b32_e32 v14, v10
	v_mov_b32_e32 v12, v10
	;; [unrolled: 1-line block ×4, first 2 shown]
.LBB166_19:                             ; =>This Inner Loop Header: Depth=1
	v_ashrrev_i32_e32 v32, 31, v31
	v_add_nc_u32_e32 v35, 0xffffff80, v35
	s_delay_alu instid0(VALU_DEP_2) | instskip(NEXT) | instid1(VALU_DEP_2)
	v_lshlrev_b64 v[36:37], 2, v[31:32]
	v_cmp_eq_u32_e64 s1, 0, v35
	v_add_nc_u32_e32 v31, 8, v31
	s_delay_alu instid0(VALU_DEP_2) | instskip(NEXT) | instid1(VALU_DEP_3)
	s_or_b32 s10, s1, s10
	v_add_co_u32 v36, vcc_lo, s8, v36
	s_delay_alu instid0(VALU_DEP_4)
	v_add_co_ci_u32_e32 v37, vcc_lo, s9, v37, vcc_lo
	global_load_b32 v32, v[36:37], off
	s_clause 0x7
	global_load_b128 v[36:39], v[29:30], off
	global_load_b128 v[42:45], v[29:30], off offset:32
	global_load_b128 v[46:49], v[29:30], off offset:64
	global_load_b128 v[50:53], v[29:30], off offset:48
	global_load_b128 v[54:57], v[29:30], off offset:96
	global_load_b128 v[58:61], v[29:30], off offset:16
	global_load_b128 v[62:65], v[29:30], off offset:112
	global_load_b128 v[66:69], v[29:30], off offset:80
	s_waitcnt vmcnt(8)
	v_subrev_nc_u32_e32 v32, s12, v32
	s_waitcnt vmcnt(7)
	v_cvt_f64_f32_e32 v[86:87], v36
	v_cvt_f64_f32_e32 v[36:37], v37
	s_waitcnt vmcnt(6)
	v_cvt_f64_f32_e32 v[88:89], v42
	v_cvt_f64_f32_e32 v[42:43], v43
	v_lshlrev_b32_e32 v70, 2, v32
	s_waitcnt vmcnt(5)
	v_cvt_f64_f32_e32 v[90:91], v46
	v_cvt_f64_f32_e32 v[46:47], v47
	s_waitcnt vmcnt(3)
	v_cvt_f64_f32_e32 v[92:93], v54
	v_cvt_f64_f32_e32 v[54:55], v55
	v_ashrrev_i32_e32 v71, 31, v70
	v_cvt_f64_f32_e32 v[94:95], v44
	v_cvt_f64_f32_e32 v[44:45], v45
	;; [unrolled: 1-line block ×4, first 2 shown]
	v_lshlrev_b64 v[70:71], 4, v[70:71]
	v_cvt_f64_f32_e32 v[98:99], v56
	v_cvt_f64_f32_e32 v[56:57], v57
	s_waitcnt lgkmcnt(0)
	s_delay_alu instid0(VALU_DEP_3) | instskip(NEXT) | instid1(VALU_DEP_4)
	v_add_co_u32 v82, vcc_lo, s4, v70
	v_add_co_ci_u32_e32 v83, vcc_lo, s5, v71, vcc_lo
	v_add_co_u32 v29, vcc_lo, 0x400, v29
	s_clause 0x3
	global_load_b128 v[70:73], v[82:83], off
	global_load_b128 v[74:77], v[82:83], off offset:16
	global_load_b128 v[78:81], v[82:83], off offset:32
	;; [unrolled: 1-line block ×3, first 2 shown]
	v_add_co_ci_u32_e32 v30, vcc_lo, 0, v30, vcc_lo
	s_waitcnt vmcnt(3)
	v_fma_f64 v[14:15], v[86:87], v[70:71], v[14:15]
	v_fma_f64 v[10:11], v[36:37], v[70:71], v[10:11]
	;; [unrolled: 1-line block ×8, first 2 shown]
	v_cvt_f64_f32_e32 v[70:71], v38
	v_cvt_f64_f32_e32 v[38:39], v39
	v_fma_f64 v[14:15], -v[36:37], v[72:73], v[14:15]
	v_fma_f64 v[10:11], v[86:87], v[72:73], v[10:11]
	v_fma_f64 v[25:26], -v[42:43], v[72:73], v[25:26]
	v_fma_f64 v[12:13], v[88:89], v[72:73], v[12:13]
	;; [unrolled: 2-line block ×4, first 2 shown]
	v_cvt_f64_f32_e32 v[36:37], v58
	v_cvt_f64_f32_e32 v[42:43], v59
	;; [unrolled: 1-line block ×8, first 2 shown]
	s_waitcnt vmcnt(2)
	v_fma_f64 v[14:15], v[70:71], v[74:75], v[14:15]
	v_fma_f64 v[10:11], v[38:39], v[74:75], v[10:11]
	;; [unrolled: 1-line block ×8, first 2 shown]
	v_fma_f64 v[14:15], -v[38:39], v[76:77], v[14:15]
	v_fma_f64 v[10:11], v[70:71], v[76:77], v[10:11]
	v_fma_f64 v[25:26], -v[44:45], v[76:77], v[25:26]
	v_fma_f64 v[12:13], v[94:95], v[76:77], v[12:13]
	;; [unrolled: 2-line block ×4, first 2 shown]
	v_cvt_f64_f32_e32 v[38:39], v60
	v_cvt_f64_f32_e32 v[44:45], v61
	v_cvt_f64_f32_e32 v[48:49], v52
	v_cvt_f64_f32_e32 v[52:53], v53
	v_cvt_f64_f32_e32 v[56:57], v68
	v_cvt_f64_f32_e32 v[60:61], v69
	v_cvt_f64_f32_e32 v[68:69], v64
	v_cvt_f64_f32_e32 v[64:65], v65
	s_waitcnt vmcnt(1)
	v_fma_f64 v[14:15], v[36:37], v[78:79], v[14:15]
	v_fma_f64 v[10:11], v[42:43], v[78:79], v[10:11]
	;; [unrolled: 1-line block ×8, first 2 shown]
	v_fma_f64 v[14:15], -v[42:43], v[80:81], v[14:15]
	v_fma_f64 v[10:11], v[36:37], v[80:81], v[10:11]
	v_fma_f64 v[25:26], -v[50:51], v[80:81], v[25:26]
	v_fma_f64 v[12:13], v[46:47], v[80:81], v[12:13]
	;; [unrolled: 2-line block ×4, first 2 shown]
	s_waitcnt vmcnt(0)
	v_fma_f64 v[14:15], v[38:39], v[82:83], v[14:15]
	v_fma_f64 v[10:11], v[44:45], v[82:83], v[10:11]
	;; [unrolled: 1-line block ×8, first 2 shown]
	v_fma_f64 v[14:15], -v[44:45], v[84:85], v[14:15]
	v_fma_f64 v[10:11], v[38:39], v[84:85], v[10:11]
	v_fma_f64 v[25:26], -v[52:53], v[84:85], v[25:26]
	v_fma_f64 v[12:13], v[48:49], v[84:85], v[12:13]
	v_fma_f64 v[27:28], -v[60:61], v[84:85], v[27:28]
	v_fma_f64 v[23:24], v[56:57], v[84:85], v[23:24]
	v_fma_f64 v[8:9], -v[64:65], v[84:85], v[8:9]
	v_fma_f64 v[21:22], v[68:69], v[84:85], v[21:22]
	s_and_not1_b32 exec_lo, exec_lo, s10
	s_cbranch_execnz .LBB166_19
; %bb.20:
	s_or_b32 exec_lo, exec_lo, s10
.LBB166_21:
	s_delay_alu instid0(SALU_CYCLE_1) | instskip(NEXT) | instid1(SALU_CYCLE_1)
	s_or_b32 exec_lo, exec_lo, s7
	s_mov_b32 s7, exec_lo
	v_cmpx_lt_u32_e32 23, v5
	s_cbranch_execz .LBB166_25
; %bb.22:
	s_mov_b32 s10, 0
.LBB166_23:                             ; =>This Inner Loop Header: Depth=1
	v_ashrrev_i32_e32 v32, 31, v31
	s_delay_alu instid0(VALU_DEP_1) | instskip(SKIP_1) | instid1(VALU_DEP_2)
	v_lshlrev_b64 v[35:36], 2, v[31:32]
	v_add_nc_u32_e32 v31, 32, v31
	v_add_co_u32 v39, vcc_lo, s8, v35
	s_delay_alu instid0(VALU_DEP_3)
	v_add_co_ci_u32_e32 v40, vcc_lo, s9, v36, vcc_lo
	global_load_b32 v32, v[39:40], off
	s_clause 0x3
	global_load_b128 v[35:38], v[29:30], off
	global_load_b128 v[42:45], v[29:30], off offset:32
	global_load_b128 v[46:49], v[29:30], off offset:64
	;; [unrolled: 1-line block ×3, first 2 shown]
	s_clause 0x2
	global_load_b32 v102, v[39:40], off offset:32
	global_load_b32 v128, v[39:40], off offset:64
	;; [unrolled: 1-line block ×3, first 2 shown]
	s_waitcnt vmcnt(7)
	v_subrev_nc_u32_e32 v32, s12, v32
	s_waitcnt vmcnt(6)
	v_cvt_f64_f32_e32 v[114:115], v38
	s_waitcnt vmcnt(5)
	v_cvt_f64_f32_e32 v[106:107], v42
	v_cvt_f64_f32_e32 v[42:43], v43
	s_waitcnt vmcnt(4)
	v_cvt_f64_f32_e32 v[108:109], v46
	v_lshlrev_b32_e32 v39, 2, v32
	s_waitcnt vmcnt(2)
	v_subrev_nc_u32_e32 v32, s12, v102
	v_cvt_f64_f32_e32 v[46:47], v47
	v_cvt_f64_f32_e32 v[110:111], v50
	;; [unrolled: 1-line block ×3, first 2 shown]
	v_ashrrev_i32_e32 v40, 31, v39
	v_lshlrev_b32_e32 v102, 2, v32
	v_cvt_f64_f32_e32 v[116:117], v44
	v_cvt_f64_f32_e32 v[44:45], v45
	;; [unrolled: 1-line block ×3, first 2 shown]
	v_lshlrev_b64 v[39:40], 4, v[39:40]
	v_ashrrev_i32_e32 v103, 31, v102
	v_cvt_f64_f32_e32 v[48:49], v49
	v_cvt_f64_f32_e32 v[120:121], v52
	;; [unrolled: 1-line block ×3, first 2 shown]
	s_waitcnt vmcnt(1)
	v_subrev_nc_u32_e32 v32, s12, v128
	s_waitcnt lgkmcnt(0)
	v_add_co_u32 v39, vcc_lo, s4, v39
	v_add_co_ci_u32_e32 v40, vcc_lo, s5, v40, vcc_lo
	v_lshlrev_b64 v[102:103], 4, v[102:103]
	s_waitcnt vmcnt(0)
	v_subrev_nc_u32_e32 v5, s12, v5
	s_clause 0x1
	global_load_b128 v[54:57], v[39:40], off
	global_load_b128 v[58:61], v[39:40], off offset:16
	s_clause 0x3
	global_load_b128 v[62:65], v[29:30], off offset:16
	global_load_b128 v[66:69], v[29:30], off offset:48
	;; [unrolled: 1-line block ×4, first 2 shown]
	s_clause 0x1
	global_load_b128 v[78:81], v[39:40], off offset:32
	global_load_b128 v[82:85], v[39:40], off offset:48
	s_clause 0x3
	global_load_b128 v[86:89], v[29:30], off offset:1024
	global_load_b128 v[90:93], v[29:30], off offset:1056
	;; [unrolled: 1-line block ×4, first 2 shown]
	v_cvt_f64_f32_e32 v[39:40], v35
	v_cvt_f64_f32_e32 v[35:36], v36
	v_add_co_u32 v112, vcc_lo, s4, v102
	v_add_co_ci_u32_e32 v113, vcc_lo, s5, v103, vcc_lo
	global_load_b128 v[102:105], v[112:113], off
	s_waitcnt vmcnt(12)
	v_fma_f64 v[14:15], v[39:40], v[54:55], v[14:15]
	v_fma_f64 v[10:11], v[35:36], v[54:55], v[10:11]
	;; [unrolled: 1-line block ×8, first 2 shown]
	v_cvt_f64_f32_e32 v[54:55], v37
	s_waitcnt vmcnt(9)
	v_cvt_f64_f32_e32 v[122:123], v66
	v_cvt_f64_f32_e32 v[66:67], v67
	s_waitcnt vmcnt(8)
	v_cvt_f64_f32_e32 v[124:125], v70
	;; [unrolled: 3-line block ×3, first 2 shown]
	v_cvt_f64_f32_e32 v[74:75], v75
	v_fma_f64 v[14:15], -v[35:36], v[56:57], v[14:15]
	v_fma_f64 v[35:36], v[39:40], v[56:57], v[10:11]
	v_fma_f64 v[25:26], -v[42:43], v[56:57], v[25:26]
	v_fma_f64 v[12:13], v[106:107], v[56:57], v[12:13]
	;; [unrolled: 2-line block ×3, first 2 shown]
	v_fma_f64 v[37:38], -v[50:51], v[56:57], v[8:9]
	global_load_b128 v[8:11], v[112:113], off offset:16
	v_fma_f64 v[21:22], v[110:111], v[56:57], v[21:22]
	v_cvt_f64_f32_e32 v[110:111], v62
	v_cvt_f64_f32_e32 v[62:63], v63
	v_fma_f64 v[39:40], v[54:55], v[58:59], v[14:15]
	v_fma_f64 v[42:43], v[114:115], v[58:59], v[35:36]
	;; [unrolled: 1-line block ×8, first 2 shown]
	s_clause 0x3
	global_load_b128 v[12:15], v[29:30], off offset:1040
	global_load_b128 v[21:24], v[29:30], off offset:1072
	;; [unrolled: 1-line block ×4, first 2 shown]
	v_fma_f64 v[39:40], -v[114:115], v[60:61], v[39:40]
	v_fma_f64 v[54:55], v[54:55], v[60:61], v[42:43]
	v_fma_f64 v[46:47], -v[44:45], v[60:61], v[46:47]
	v_fma_f64 v[50:51], v[116:117], v[60:61], v[50:51]
	;; [unrolled: 2-line block ×3, first 2 shown]
	v_fma_f64 v[52:53], -v[52:53], v[60:61], v[108:109]
	global_load_b128 v[42:45], v[112:113], off offset:32
	v_fma_f64 v[58:59], v[120:121], v[60:61], v[58:59]
	v_cvt_f64_f32_e32 v[106:107], v65
	v_cvt_f64_f32_e32 v[108:109], v68
	;; [unrolled: 1-line block ×7, first 2 shown]
	s_waitcnt vmcnt(10)
	v_cvt_f64_f32_e32 v[118:119], v86
	v_cvt_f64_f32_e32 v[86:87], v87
	s_waitcnt vmcnt(9)
	v_cvt_f64_f32_e32 v[120:121], v90
	v_cvt_f64_f32_e32 v[90:91], v91
	v_fma_f64 v[39:40], v[110:111], v[78:79], v[39:40]
	v_fma_f64 v[54:55], v[62:63], v[78:79], v[54:55]
	;; [unrolled: 1-line block ×8, first 2 shown]
	v_cvt_f64_f32_e32 v[78:79], v64
	v_fma_f64 v[39:40], -v[62:63], v[80:81], v[39:40]
	v_fma_f64 v[60:61], v[110:111], v[80:81], v[54:55]
	v_fma_f64 v[62:63], -v[66:67], v[80:81], v[46:47]
	v_fma_f64 v[64:65], v[122:123], v[80:81], v[50:51]
	;; [unrolled: 2-line block ×3, first 2 shown]
	v_fma_f64 v[74:75], -v[74:75], v[80:81], v[52:53]
	global_load_b128 v[46:49], v[112:113], off offset:48
	s_clause 0x1
	global_load_b128 v[50:53], v[29:30], off offset:2080
	global_load_b128 v[54:57], v[29:30], off offset:2048
	v_fma_f64 v[58:59], v[126:127], v[80:81], v[58:59]
	v_lshlrev_b32_e32 v126, 2, v32
	s_waitcnt vmcnt(11)
	v_cvt_f64_f32_e32 v[122:123], v94
	v_cvt_f64_f32_e32 v[94:95], v95
	s_waitcnt vmcnt(10)
	v_cvt_f64_f32_e32 v[124:125], v98
	v_cvt_f64_f32_e32 v[98:99], v99
	v_ashrrev_i32_e32 v127, 31, v126
	v_fma_f64 v[39:40], v[78:79], v[82:83], v[39:40]
	v_fma_f64 v[80:81], v[106:107], v[82:83], v[60:61]
	v_fma_f64 v[110:111], v[108:109], v[82:83], v[62:63]
	v_fma_f64 v[112:113], v[68:69], v[82:83], v[64:65]
	v_fma_f64 v[66:67], v[114:115], v[82:83], v[66:67]
	v_fma_f64 v[70:71], v[72:73], v[82:83], v[70:71]
	v_fma_f64 v[74:75], v[116:117], v[82:83], v[74:75]
	v_fma_f64 v[82:83], v[76:77], v[82:83], v[58:59]
	s_clause 0x1
	global_load_b128 v[58:61], v[29:30], off offset:2112
	global_load_b128 v[62:65], v[29:30], off offset:2144
	v_fma_f64 v[39:40], -v[106:107], v[84:85], v[39:40]
	v_fma_f64 v[78:79], v[78:79], v[84:85], v[80:81]
	v_fma_f64 v[80:81], -v[68:69], v[84:85], v[110:111]
	v_fma_f64 v[106:107], v[108:109], v[84:85], v[112:113]
	;; [unrolled: 2-line block ×3, first 2 shown]
	v_fma_f64 v[74:75], -v[76:77], v[84:85], v[74:75]
	v_lshlrev_b64 v[66:67], 4, v[126:127]
	v_fma_f64 v[76:77], v[116:117], v[84:85], v[82:83]
	v_cvt_f64_f32_e32 v[110:111], v92
	v_cvt_f64_f32_e32 v[92:93], v93
	;; [unrolled: 1-line block ×4, first 2 shown]
	v_add_co_u32 v108, vcc_lo, s4, v66
	v_add_co_ci_u32_e32 v109, vcc_lo, s5, v67, vcc_lo
	v_cvt_f64_f32_e32 v[114:115], v100
	v_cvt_f64_f32_e32 v[100:101], v101
	global_load_b128 v[66:69], v[108:109], off
	s_waitcnt vmcnt(12)
	v_fma_f64 v[39:40], v[118:119], v[102:103], v[39:40]
	v_fma_f64 v[78:79], v[86:87], v[102:103], v[78:79]
	;; [unrolled: 1-line block ×7, first 2 shown]
	v_cvt_f64_f32_e32 v[106:107], v89
	v_fma_f64 v[76:77], v[98:99], v[102:103], v[76:77]
	v_cvt_f64_f32_e32 v[102:103], v88
	v_fma_f64 v[39:40], -v[86:87], v[104:105], v[39:40]
	v_fma_f64 v[78:79], v[118:119], v[104:105], v[78:79]
	v_fma_f64 v[80:81], -v[90:91], v[104:105], v[80:81]
	v_fma_f64 v[82:83], v[120:121], v[104:105], v[82:83]
	;; [unrolled: 2-line block ×3, first 2 shown]
	global_load_b128 v[70:73], v[108:109], off offset:16
	v_fma_f64 v[74:75], -v[98:99], v[104:105], v[74:75]
	v_fma_f64 v[76:77], v[124:125], v[104:105], v[76:77]
	s_waitcnt vmcnt(12)
	v_fma_f64 v[39:40], v[102:103], v[8:9], v[39:40]
	v_fma_f64 v[90:91], v[106:107], v[8:9], v[78:79]
	;; [unrolled: 1-line block ×8, first 2 shown]
	s_clause 0x3
	global_load_b128 v[74:77], v[29:30], off offset:2064
	global_load_b128 v[78:81], v[29:30], off offset:2096
	;; [unrolled: 1-line block ×4, first 2 shown]
	s_waitcnt vmcnt(15)
	v_cvt_f64_f32_e32 v[120:121], v12
	v_cvt_f64_f32_e32 v[12:13], v13
	s_waitcnt vmcnt(14)
	v_cvt_f64_f32_e32 v[122:123], v21
	v_cvt_f64_f32_e32 v[21:22], v22
	;; [unrolled: 3-line block ×4, first 2 shown]
	v_fma_f64 v[39:40], -v[106:107], v[10:11], v[39:40]
	v_fma_f64 v[90:91], v[102:103], v[10:11], v[90:91]
	v_fma_f64 v[92:93], -v[92:93], v[10:11], v[94:95]
	v_fma_f64 v[94:95], v[110:111], v[10:11], v[98:99]
	;; [unrolled: 2-line block ×3, first 2 shown]
	v_cvt_f64_f32_e32 v[104:105], v15
	v_fma_f64 v[100:101], -v[100:101], v[10:11], v[118:119]
	v_fma_f64 v[102:103], v[114:115], v[10:11], v[8:9]
	global_load_b128 v[8:11], v[108:109], off offset:32
	v_cvt_f64_f32_e32 v[106:107], v23
	v_cvt_f64_f32_e32 v[110:111], v24
	;; [unrolled: 1-line block ×6, first 2 shown]
	s_waitcnt vmcnt(12)
	v_fma_f64 v[39:40], v[120:121], v[42:43], v[39:40]
	v_fma_f64 v[90:91], v[12:13], v[42:43], v[90:91]
	;; [unrolled: 1-line block ×8, first 2 shown]
	v_cvt_f64_f32_e32 v[102:103], v14
	v_fma_f64 v[23:24], -v[12:13], v[44:45], v[39:40]
	global_load_b128 v[12:15], v[108:109], off offset:48
	v_fma_f64 v[27:28], v[120:121], v[44:45], v[90:91]
	v_fma_f64 v[21:22], -v[21:22], v[44:45], v[92:93]
	v_fma_f64 v[37:38], v[122:123], v[44:45], v[94:95]
	v_fma_f64 v[25:26], -v[25:26], v[44:45], v[96:97]
	v_fma_f64 v[39:40], v[124:125], v[44:45], v[98:99]
	v_fma_f64 v[35:36], -v[35:36], v[44:45], v[100:101]
	v_fma_f64 v[42:43], v[126:127], v[44:45], v[42:43]
	v_lshlrev_b32_e32 v126, 2, v5
	s_delay_alu instid0(VALU_DEP_1)
	v_ashrrev_i32_e32 v127, 31, v126
	s_waitcnt vmcnt(11)
	v_cvt_f64_f32_e32 v[120:121], v50
	s_waitcnt vmcnt(10)
	v_cvt_f64_f32_e32 v[108:109], v54
	v_cvt_f64_f32_e32 v[54:55], v55
	;; [unrolled: 1-line block ×3, first 2 shown]
	v_fma_f64 v[90:91], v[102:103], v[46:47], v[23:24]
	v_fma_f64 v[92:93], v[104:105], v[46:47], v[27:28]
	;; [unrolled: 1-line block ×8, first 2 shown]
	s_clause 0x3
	global_load_b128 v[21:24], v[29:30], off offset:3072
	global_load_b128 v[25:28], v[29:30], off offset:3104
	;; [unrolled: 1-line block ×4, first 2 shown]
	s_waitcnt vmcnt(13)
	v_cvt_f64_f32_e32 v[122:123], v58
	v_cvt_f64_f32_e32 v[58:59], v59
	s_waitcnt vmcnt(12)
	v_cvt_f64_f32_e32 v[124:125], v62
	v_cvt_f64_f32_e32 v[62:63], v63
	v_fma_f64 v[90:91], -v[104:105], v[48:49], v[90:91]
	v_fma_f64 v[92:93], v[102:103], v[48:49], v[92:93]
	v_fma_f64 v[94:95], -v[110:111], v[48:49], v[94:95]
	v_fma_f64 v[96:97], v[106:107], v[48:49], v[96:97]
	;; [unrolled: 2-line block ×4, first 2 shown]
	v_lshlrev_b64 v[46:47], 4, v[126:127]
	v_cvt_f64_f32_e32 v[106:107], v57
	v_cvt_f64_f32_e32 v[110:111], v52
	;; [unrolled: 1-line block ×5, first 2 shown]
	v_add_co_u32 v104, vcc_lo, s4, v46
	v_add_co_ci_u32_e32 v105, vcc_lo, s5, v47, vcc_lo
	v_cvt_f64_f32_e32 v[118:119], v64
	v_cvt_f64_f32_e32 v[126:127], v65
	v_cmp_ge_i32_e32 vcc_lo, v31, v33
	global_load_b128 v[46:49], v[104:105], off
	s_or_b32 s10, vcc_lo, s10
	s_waitcnt vmcnt(12)
	v_fma_f64 v[90:91], v[108:109], v[66:67], v[90:91]
	v_fma_f64 v[92:93], v[54:55], v[66:67], v[92:93]
	;; [unrolled: 1-line block ×8, first 2 shown]
	v_cvt_f64_f32_e32 v[102:103], v56
	v_fma_f64 v[54:55], -v[54:55], v[68:69], v[90:91]
	v_fma_f64 v[56:57], v[108:109], v[68:69], v[92:93]
	v_fma_f64 v[60:61], -v[50:51], v[68:69], v[94:95]
	global_load_b128 v[50:53], v[104:105], off offset:16
	v_fma_f64 v[64:65], v[120:121], v[68:69], v[96:97]
	v_fma_f64 v[58:59], -v[58:59], v[68:69], v[98:99]
	v_fma_f64 v[39:40], v[122:123], v[68:69], v[39:40]
	v_fma_f64 v[62:63], -v[62:63], v[68:69], v[100:101]
	v_fma_f64 v[66:67], v[124:125], v[68:69], v[66:67]
	s_waitcnt vmcnt(12)
	v_fma_f64 v[90:91], v[102:103], v[70:71], v[54:55]
	v_fma_f64 v[92:93], v[106:107], v[70:71], v[56:57]
	;; [unrolled: 1-line block ×8, first 2 shown]
	s_clause 0x3
	global_load_b128 v[54:57], v[29:30], off offset:3088
	global_load_b128 v[58:61], v[29:30], off offset:3120
	;; [unrolled: 1-line block ×4, first 2 shown]
	v_add_co_u32 v29, s1, 0x1000, v29
	s_delay_alu instid0(VALU_DEP_1)
	v_add_co_ci_u32_e64 v30, s1, 0, v30, s1
	s_waitcnt vmcnt(15)
	v_cvt_f64_f32_e32 v[108:109], v74
	v_cvt_f64_f32_e32 v[74:75], v75
	s_waitcnt vmcnt(14)
	v_cvt_f64_f32_e32 v[120:121], v78
	v_cvt_f64_f32_e32 v[78:79], v79
	;; [unrolled: 3-line block ×4, first 2 shown]
	v_fma_f64 v[90:91], -v[106:107], v[72:73], v[90:91]
	v_cvt_f64_f32_e32 v[106:107], v77
	v_fma_f64 v[92:93], v[102:103], v[72:73], v[92:93]
	v_fma_f64 v[94:95], -v[112:113], v[72:73], v[94:95]
	v_cvt_f64_f32_e32 v[112:113], v84
	v_fma_f64 v[96:97], v[110:111], v[72:73], v[96:97]
	v_fma_f64 v[98:99], -v[116:117], v[72:73], v[98:99]
	v_fma_f64 v[39:40], v[114:115], v[72:73], v[39:40]
	v_fma_f64 v[100:101], -v[126:127], v[72:73], v[100:101]
	v_fma_f64 v[102:103], v[118:119], v[72:73], v[70:71]
	global_load_b128 v[70:73], v[104:105], off offset:32
	v_cvt_f64_f32_e32 v[110:111], v80
	v_cvt_f64_f32_e32 v[80:81], v81
	;; [unrolled: 1-line block ×5, first 2 shown]
	s_waitcnt vmcnt(12)
	v_fma_f64 v[90:91], v[108:109], v[8:9], v[90:91]
	v_fma_f64 v[92:93], v[74:75], v[8:9], v[92:93]
	;; [unrolled: 1-line block ×8, first 2 shown]
	v_cvt_f64_f32_e32 v[102:103], v76
	v_fma_f64 v[90:91], -v[74:75], v[10:11], v[90:91]
	global_load_b128 v[74:77], v[104:105], off offset:48
	v_fma_f64 v[92:93], v[108:109], v[10:11], v[92:93]
	v_fma_f64 v[78:79], -v[78:79], v[10:11], v[94:95]
	v_fma_f64 v[94:95], v[120:121], v[10:11], v[96:97]
	v_fma_f64 v[82:83], -v[82:83], v[10:11], v[98:99]
	;; [unrolled: 2-line block ×3, first 2 shown]
	v_fma_f64 v[8:9], v[124:125], v[10:11], v[8:9]
	s_waitcnt vmcnt(12)
	v_fma_f64 v[10:11], v[102:103], v[12:13], v[90:91]
	v_fma_f64 v[90:91], v[106:107], v[12:13], v[92:93]
	;; [unrolled: 1-line block ×8, first 2 shown]
	s_waitcnt vmcnt(11)
	v_cvt_f64_f32_e32 v[12:13], v21
	v_cvt_f64_f32_e32 v[21:22], v22
	s_waitcnt vmcnt(10)
	v_cvt_f64_f32_e32 v[94:95], v25
	v_cvt_f64_f32_e32 v[25:26], v26
	;; [unrolled: 3-line block ×4, first 2 shown]
	v_fma_f64 v[10:11], -v[106:107], v[14:15], v[10:11]
	v_fma_f64 v[90:91], v[102:103], v[14:15], v[90:91]
	v_fma_f64 v[78:79], -v[80:81], v[14:15], v[78:79]
	v_fma_f64 v[80:81], v[110:111], v[14:15], v[92:93]
	;; [unrolled: 2-line block ×4, first 2 shown]
	v_cvt_f64_f32_e32 v[86:87], v27
	v_cvt_f64_f32_e32 v[27:28], v28
	;; [unrolled: 1-line block ×4, first 2 shown]
	s_waitcnt vmcnt(7)
	v_fma_f64 v[10:11], v[12:13], v[46:47], v[10:11]
	v_fma_f64 v[14:15], v[21:22], v[46:47], v[90:91]
	;; [unrolled: 1-line block ×3, first 2 shown]
	v_cvt_f64_f32_e32 v[90:91], v44
	v_fma_f64 v[80:81], v[25:26], v[46:47], v[80:81]
	v_fma_f64 v[82:83], v[96:97], v[46:47], v[82:83]
	;; [unrolled: 1-line block ×5, first 2 shown]
	v_cvt_f64_f32_e32 v[46:47], v23
	v_cvt_f64_f32_e32 v[23:24], v24
	;; [unrolled: 1-line block ×3, first 2 shown]
	v_fma_f64 v[10:11], -v[21:22], v[48:49], v[10:11]
	v_fma_f64 v[12:13], v[12:13], v[48:49], v[14:15]
	v_fma_f64 v[14:15], -v[25:26], v[48:49], v[78:79]
	v_fma_f64 v[21:22], v[94:95], v[48:49], v[80:81]
	;; [unrolled: 2-line block ×4, first 2 shown]
	s_waitcnt vmcnt(6)
	v_fma_f64 v[10:11], v[46:47], v[50:51], v[10:11]
	v_fma_f64 v[12:13], v[23:24], v[50:51], v[12:13]
	;; [unrolled: 1-line block ×8, first 2 shown]
	s_waitcnt vmcnt(5)
	v_cvt_f64_f32_e32 v[42:43], v54
	v_cvt_f64_f32_e32 v[48:49], v55
	s_waitcnt vmcnt(4)
	v_cvt_f64_f32_e32 v[50:51], v58
	v_cvt_f64_f32_e32 v[54:55], v59
	;; [unrolled: 3-line block ×4, first 2 shown]
	v_fma_f64 v[10:11], -v[23:24], v[52:53], v[10:11]
	v_fma_f64 v[12:13], v[46:47], v[52:53], v[12:13]
	v_fma_f64 v[14:15], -v[27:28], v[52:53], v[14:15]
	v_cvt_f64_f32_e32 v[46:47], v64
	v_fma_f64 v[21:22], v[86:87], v[52:53], v[21:22]
	v_fma_f64 v[23:24], -v[37:38], v[52:53], v[25:26]
	v_fma_f64 v[25:26], v[88:89], v[52:53], v[35:36]
	v_fma_f64 v[27:28], -v[44:45], v[52:53], v[39:40]
	v_fma_f64 v[8:9], v[90:91], v[52:53], v[8:9]
	v_cvt_f64_f32_e32 v[35:36], v56
	v_cvt_f64_f32_e32 v[37:38], v57
	v_cvt_f64_f32_e32 v[39:40], v60
	v_cvt_f64_f32_e32 v[44:45], v61
	v_cvt_f64_f32_e32 v[52:53], v65
	v_cvt_f64_f32_e32 v[56:57], v68
	v_cvt_f64_f32_e32 v[60:61], v69
	s_waitcnt vmcnt(1)
	v_fma_f64 v[10:11], v[42:43], v[70:71], v[10:11]
	v_fma_f64 v[12:13], v[48:49], v[70:71], v[12:13]
	;; [unrolled: 1-line block ×8, first 2 shown]
	v_fma_f64 v[10:11], -v[48:49], v[72:73], v[10:11]
	v_fma_f64 v[12:13], v[42:43], v[72:73], v[12:13]
	v_fma_f64 v[14:15], -v[54:55], v[72:73], v[14:15]
	v_fma_f64 v[21:22], v[50:51], v[72:73], v[21:22]
	;; [unrolled: 2-line block ×4, first 2 shown]
	s_waitcnt vmcnt(0)
	v_fma_f64 v[10:11], v[35:36], v[74:75], v[10:11]
	v_fma_f64 v[12:13], v[37:38], v[74:75], v[12:13]
	;; [unrolled: 1-line block ×8, first 2 shown]
	v_fma_f64 v[14:15], -v[37:38], v[76:77], v[10:11]
	v_fma_f64 v[10:11], v[35:36], v[76:77], v[12:13]
	v_fma_f64 v[25:26], -v[44:45], v[76:77], v[42:43]
	v_fma_f64 v[12:13], v[39:40], v[76:77], v[21:22]
	;; [unrolled: 2-line block ×4, first 2 shown]
	s_and_not1_b32 exec_lo, exec_lo, s10
	s_cbranch_execnz .LBB166_23
; %bb.24:
	s_or_b32 exec_lo, exec_lo, s10
.LBB166_25:
	s_delay_alu instid0(SALU_CYCLE_1)
	s_or_b32 exec_lo, exec_lo, s7
.LBB166_26:
	s_delay_alu instid0(SALU_CYCLE_1)
	s_or_b32 exec_lo, exec_lo, s6
	s_cbranch_execz .LBB166_28
	s_branch .LBB166_39
.LBB166_27:
                                        ; implicit-def: $vgpr10_vgpr11
                                        ; implicit-def: $vgpr14_vgpr15
                                        ; implicit-def: $vgpr12_vgpr13
                                        ; implicit-def: $vgpr25_vgpr26
                                        ; implicit-def: $vgpr23_vgpr24
                                        ; implicit-def: $vgpr27_vgpr28
                                        ; implicit-def: $vgpr21_vgpr22
                                        ; implicit-def: $vgpr8_vgpr9
.LBB166_28:
	v_mov_b32_e32 v10, 0
	v_mov_b32_e32 v11, 0
	s_delay_alu instid0(VALU_DEP_1)
	v_dual_mov_b32 v8, v10 :: v_dual_mov_b32 v9, v11
	v_dual_mov_b32 v15, v11 :: v_dual_mov_b32 v14, v10
	;; [unrolled: 1-line block ×7, first 2 shown]
	s_and_saveexec_b32 s1, s0
	s_cbranch_execz .LBB166_38
; %bb.29:
	v_add_nc_u32_e32 v5, v34, v41
	v_not_b32_e32 v8, v34
	s_mov_b32 s7, 0
	s_mov_b32 s6, exec_lo
	s_delay_alu instid0(VALU_DEP_2) | instskip(NEXT) | instid1(VALU_DEP_1)
	v_subrev_nc_u32_e32 v5, s12, v5
	v_add_nc_u32_e32 v5, 8, v5
	s_delay_alu instid0(VALU_DEP_1) | instskip(NEXT) | instid1(VALU_DEP_1)
	v_max_i32_e32 v5, v5, v33
	v_add3_u32 v5, v5, s12, v8
	v_mov_b32_e32 v8, 0
	v_mov_b32_e32 v9, 0
	s_delay_alu instid0(VALU_DEP_3) | instskip(NEXT) | instid1(VALU_DEP_2)
	v_sub_nc_u32_e32 v29, v5, v41
	v_dual_mov_b32 v22, v9 :: v_dual_mov_b32 v21, v8
	v_mov_b32_e32 v24, v9
	s_delay_alu instid0(VALU_DEP_3) | instskip(SKIP_3) | instid1(VALU_DEP_4)
	v_lshrrev_b32_e32 v5, 3, v29
	v_mov_b32_e32 v13, v9
	v_mov_b32_e32 v15, v9
	v_dual_mov_b32 v11, v9 :: v_dual_mov_b32 v10, v8
	v_dual_mov_b32 v28, v9 :: v_dual_add_nc_u32 v5, 1, v5
	v_dual_mov_b32 v27, v8 :: v_dual_mov_b32 v26, v9
	v_mov_b32_e32 v23, v8
	s_delay_alu instid0(VALU_DEP_3) | instskip(SKIP_2) | instid1(VALU_DEP_3)
	v_dual_mov_b32 v12, v8 :: v_dual_and_b32 v5, 3, v5
	v_mov_b32_e32 v25, v8
	v_mov_b32_e32 v14, v8
	v_cmpx_ne_u32_e32 0, v5
	s_cbranch_execz .LBB166_33
; %bb.30:
	v_mov_b32_e32 v10, 0
	v_dual_mov_b32 v11, 0 :: v_dual_lshlrev_b32 v30, 7, v5
	s_delay_alu instid0(VALU_DEP_1)
	v_dual_mov_b32 v8, v10 :: v_dual_mov_b32 v9, v11
	v_dual_mov_b32 v15, v11 :: v_dual_mov_b32 v14, v10
	;; [unrolled: 1-line block ×7, first 2 shown]
.LBB166_31:                             ; =>This Inner Loop Header: Depth=1
	v_ashrrev_i32_e32 v5, 31, v4
	v_add_nc_u32_e32 v30, 0xffffff80, v30
	s_delay_alu instid0(VALU_DEP_2) | instskip(NEXT) | instid1(VALU_DEP_2)
	v_lshlrev_b64 v[31:32], 2, v[4:5]
	v_cmp_eq_u32_e64 s0, 0, v30
	v_add_nc_u32_e32 v4, 8, v4
	s_delay_alu instid0(VALU_DEP_2) | instskip(NEXT) | instid1(VALU_DEP_3)
	s_or_b32 s7, s0, s7
	v_add_co_u32 v31, vcc_lo, s8, v31
	s_delay_alu instid0(VALU_DEP_4)
	v_add_co_ci_u32_e32 v32, vcc_lo, s9, v32, vcc_lo
	global_load_b32 v5, v[31:32], off
	s_clause 0x1
	global_load_b128 v[34:37], v[6:7], off
	global_load_b128 v[42:45], v[6:7], off offset:16
	s_waitcnt vmcnt(2)
	v_subrev_nc_u32_e32 v5, s12, v5
	s_waitcnt vmcnt(1)
	v_cvt_f64_f32_e32 v[38:39], v36
	v_cvt_f64_f32_e32 v[36:37], v37
	s_waitcnt vmcnt(0)
	v_cvt_f64_f32_e32 v[86:87], v42
	v_cvt_f64_f32_e32 v[42:43], v43
	v_lshlrev_b32_e32 v31, 2, v5
	v_cvt_f64_f32_e32 v[88:89], v44
	v_cvt_f64_f32_e32 v[44:45], v45
	s_delay_alu instid0(VALU_DEP_3) | instskip(NEXT) | instid1(VALU_DEP_1)
	v_ashrrev_i32_e32 v32, 31, v31
	v_lshlrev_b64 v[31:32], 4, v[31:32]
	s_waitcnt lgkmcnt(0)
	s_delay_alu instid0(VALU_DEP_1) | instskip(NEXT) | instid1(VALU_DEP_2)
	v_add_co_u32 v31, vcc_lo, s4, v31
	v_add_co_ci_u32_e32 v32, vcc_lo, s5, v32, vcc_lo
	s_clause 0x1
	global_load_b128 v[46:49], v[31:32], off
	global_load_b128 v[50:53], v[31:32], off offset:16
	s_clause 0x3
	global_load_b128 v[54:57], v[6:7], off offset:32
	global_load_b128 v[58:61], v[6:7], off offset:48
	global_load_b128 v[62:65], v[6:7], off offset:64
	global_load_b128 v[66:69], v[6:7], off offset:80
	s_clause 0x1
	global_load_b128 v[70:73], v[31:32], off offset:32
	global_load_b128 v[74:77], v[31:32], off offset:48
	s_clause 0x1
	global_load_b128 v[78:81], v[6:7], off offset:96
	global_load_b128 v[82:85], v[6:7], off offset:112
	v_cvt_f64_f32_e32 v[31:32], v34
	v_cvt_f64_f32_e32 v[34:35], v35
	v_add_co_u32 v6, vcc_lo, 0x400, v6
	v_add_co_ci_u32_e32 v7, vcc_lo, 0, v7, vcc_lo
	s_waitcnt vmcnt(9)
	s_delay_alu instid0(VALU_DEP_4) | instskip(NEXT) | instid1(VALU_DEP_4)
	v_fma_f64 v[14:15], v[31:32], v[46:47], v[14:15]
	v_fma_f64 v[10:11], v[34:35], v[46:47], v[10:11]
	v_fma_f64 v[25:26], v[38:39], v[46:47], v[25:26]
	v_fma_f64 v[12:13], v[36:37], v[46:47], v[12:13]
	v_fma_f64 v[27:28], v[86:87], v[46:47], v[27:28]
	v_fma_f64 v[23:24], v[42:43], v[46:47], v[23:24]
	v_fma_f64 v[8:9], v[88:89], v[46:47], v[8:9]
	v_fma_f64 v[21:22], v[44:45], v[46:47], v[21:22]
	s_waitcnt vmcnt(7)
	v_cvt_f64_f32_e32 v[46:47], v54
	v_cvt_f64_f32_e32 v[54:55], v55
	;; [unrolled: 1-line block ×4, first 2 shown]
	s_waitcnt vmcnt(6)
	v_cvt_f64_f32_e32 v[92:93], v58
	v_cvt_f64_f32_e32 v[58:59], v59
	;; [unrolled: 1-line block ×4, first 2 shown]
	v_fma_f64 v[14:15], -v[34:35], v[48:49], v[14:15]
	v_fma_f64 v[10:11], v[31:32], v[48:49], v[10:11]
	v_fma_f64 v[25:26], -v[36:37], v[48:49], v[25:26]
	v_fma_f64 v[12:13], v[38:39], v[48:49], v[12:13]
	;; [unrolled: 2-line block ×4, first 2 shown]
	s_waitcnt vmcnt(5)
	v_cvt_f64_f32_e32 v[31:32], v62
	v_cvt_f64_f32_e32 v[34:35], v63
	;; [unrolled: 1-line block ×4, first 2 shown]
	s_waitcnt vmcnt(4)
	v_cvt_f64_f32_e32 v[42:43], v66
	v_cvt_f64_f32_e32 v[44:45], v67
	;; [unrolled: 1-line block ×3, first 2 shown]
	s_waitcnt vmcnt(0)
	v_cvt_f64_f32_e32 v[62:63], v84
	v_cvt_f64_f32_e32 v[64:65], v85
	v_fma_f64 v[14:15], v[46:47], v[50:51], v[14:15]
	v_fma_f64 v[10:11], v[54:55], v[50:51], v[10:11]
	v_fma_f64 v[25:26], v[90:91], v[50:51], v[25:26]
	v_fma_f64 v[12:13], v[56:57], v[50:51], v[12:13]
	v_fma_f64 v[27:28], v[92:93], v[50:51], v[27:28]
	v_fma_f64 v[23:24], v[58:59], v[50:51], v[23:24]
	v_fma_f64 v[8:9], v[94:95], v[50:51], v[8:9]
	v_fma_f64 v[21:22], v[60:61], v[50:51], v[21:22]
	v_cvt_f64_f32_e32 v[50:51], v69
	v_fma_f64 v[14:15], -v[54:55], v[52:53], v[14:15]
	v_fma_f64 v[10:11], v[46:47], v[52:53], v[10:11]
	v_fma_f64 v[25:26], -v[56:57], v[52:53], v[25:26]
	v_fma_f64 v[12:13], v[90:91], v[52:53], v[12:13]
	v_fma_f64 v[27:28], -v[58:59], v[52:53], v[27:28]
	v_fma_f64 v[23:24], v[92:93], v[52:53], v[23:24]
	v_fma_f64 v[8:9], -v[60:61], v[52:53], v[8:9]
	v_fma_f64 v[21:22], v[94:95], v[52:53], v[21:22]
	v_cvt_f64_f32_e32 v[46:47], v78
	v_cvt_f64_f32_e32 v[52:53], v79
	;; [unrolled: 1-line block ×6, first 2 shown]
	v_fma_f64 v[14:15], v[31:32], v[70:71], v[14:15]
	v_fma_f64 v[10:11], v[34:35], v[70:71], v[10:11]
	;; [unrolled: 1-line block ×8, first 2 shown]
	v_fma_f64 v[14:15], -v[34:35], v[72:73], v[14:15]
	v_fma_f64 v[10:11], v[31:32], v[72:73], v[10:11]
	v_fma_f64 v[25:26], -v[38:39], v[72:73], v[25:26]
	v_fma_f64 v[12:13], v[36:37], v[72:73], v[12:13]
	;; [unrolled: 2-line block ×4, first 2 shown]
	v_fma_f64 v[14:15], v[46:47], v[74:75], v[14:15]
	v_fma_f64 v[10:11], v[52:53], v[74:75], v[10:11]
	;; [unrolled: 1-line block ×8, first 2 shown]
	v_fma_f64 v[14:15], -v[52:53], v[76:77], v[14:15]
	v_fma_f64 v[10:11], v[46:47], v[76:77], v[10:11]
	v_fma_f64 v[25:26], -v[56:57], v[76:77], v[25:26]
	v_fma_f64 v[12:13], v[54:55], v[76:77], v[12:13]
	;; [unrolled: 2-line block ×4, first 2 shown]
	s_and_not1_b32 exec_lo, exec_lo, s7
	s_cbranch_execnz .LBB166_31
; %bb.32:
	s_or_b32 exec_lo, exec_lo, s7
.LBB166_33:
	s_delay_alu instid0(SALU_CYCLE_1) | instskip(NEXT) | instid1(SALU_CYCLE_1)
	s_or_b32 exec_lo, exec_lo, s6
	s_mov_b32 s6, exec_lo
	v_cmpx_lt_u32_e32 23, v29
	s_cbranch_execz .LBB166_37
; %bb.34:
	s_mov_b32 s7, 0
.LBB166_35:                             ; =>This Inner Loop Header: Depth=1
	v_ashrrev_i32_e32 v5, 31, v4
	s_delay_alu instid0(VALU_DEP_1) | instskip(SKIP_1) | instid1(VALU_DEP_2)
	v_lshlrev_b64 v[29:30], 2, v[4:5]
	v_add_nc_u32_e32 v4, 32, v4
	v_add_co_u32 v38, vcc_lo, s8, v29
	s_delay_alu instid0(VALU_DEP_3)
	v_add_co_ci_u32_e32 v39, vcc_lo, s9, v30, vcc_lo
	global_load_b32 v5, v[38:39], off
	s_clause 0x1
	global_load_b128 v[29:32], v[6:7], off
	global_load_b128 v[34:37], v[6:7], off offset:16
	s_clause 0x2
	global_load_b32 v40, v[38:39], off offset:32
	global_load_b32 v116, v[38:39], off offset:64
	;; [unrolled: 1-line block ×3, first 2 shown]
	s_waitcnt vmcnt(5)
	v_subrev_nc_u32_e32 v5, s12, v5
	s_waitcnt vmcnt(4)
	v_cvt_f64_f32_e32 v[90:91], v30
	v_cvt_f64_f32_e32 v[92:93], v31
	v_cvt_f64_f32_e32 v[94:95], v32
	s_waitcnt vmcnt(3)
	v_cvt_f64_f32_e32 v[96:97], v34
	v_lshlrev_b32_e32 v38, 2, v5
	s_waitcnt vmcnt(2)
	v_subrev_nc_u32_e32 v5, s12, v40
	v_cvt_f64_f32_e32 v[34:35], v35
	v_cvt_f64_f32_e32 v[98:99], v36
	;; [unrolled: 1-line block ×3, first 2 shown]
	v_ashrrev_i32_e32 v39, 31, v38
	s_delay_alu instid0(VALU_DEP_1) | instskip(SKIP_1) | instid1(VALU_DEP_1)
	v_lshlrev_b64 v[38:39], 4, v[38:39]
	s_waitcnt lgkmcnt(0)
	v_add_co_u32 v38, vcc_lo, s4, v38
	s_delay_alu instid0(VALU_DEP_2)
	v_add_co_ci_u32_e32 v39, vcc_lo, s5, v39, vcc_lo
	global_load_b128 v[42:45], v[38:39], off
	s_clause 0x1
	global_load_b128 v[46:49], v[6:7], off offset:32
	global_load_b128 v[50:53], v[6:7], off offset:48
	global_load_b128 v[54:57], v[38:39], off offset:16
	s_clause 0x1
	global_load_b128 v[58:61], v[6:7], off offset:64
	global_load_b128 v[62:65], v[6:7], off offset:80
	global_load_b128 v[66:69], v[38:39], off offset:32
	;; [unrolled: 4-line block ×3, first 2 shown]
	s_clause 0x1
	global_load_b128 v[82:85], v[6:7], off offset:1024
	global_load_b128 v[86:89], v[6:7], off offset:1040
	v_cvt_f64_f32_e32 v[38:39], v29
	v_lshlrev_b32_e32 v29, 2, v5
	s_waitcnt vmcnt(13)
	v_subrev_nc_u32_e32 v5, s12, v116
	s_delay_alu instid0(VALU_DEP_2) | instskip(NEXT) | instid1(VALU_DEP_1)
	v_ashrrev_i32_e32 v30, 31, v29
	v_lshlrev_b64 v[29:30], 4, v[29:30]
	s_delay_alu instid0(VALU_DEP_1) | instskip(NEXT) | instid1(VALU_DEP_2)
	v_add_co_u32 v100, vcc_lo, s4, v29
	v_add_co_ci_u32_e32 v101, vcc_lo, s5, v30, vcc_lo
	global_load_b128 v[29:32], v[100:101], off
	s_waitcnt vmcnt(12)
	v_fma_f64 v[102:103], v[38:39], v[42:43], v[14:15]
	v_fma_f64 v[104:105], v[90:91], v[42:43], v[10:11]
	;; [unrolled: 1-line block ×8, first 2 shown]
	s_clause 0x1
	global_load_b128 v[8:11], v[6:7], off offset:1056
	global_load_b128 v[12:15], v[6:7], off offset:1072
	s_waitcnt vmcnt(13)
	v_cvt_f64_f32_e32 v[42:43], v46
	v_cvt_f64_f32_e32 v[46:47], v47
	;; [unrolled: 1-line block ×4, first 2 shown]
	s_waitcnt vmcnt(12)
	v_cvt_f64_f32_e32 v[112:113], v50
	v_cvt_f64_f32_e32 v[50:51], v51
	;; [unrolled: 1-line block ×4, first 2 shown]
	v_fma_f64 v[90:91], -v[90:91], v[44:45], v[102:103]
	v_fma_f64 v[38:39], v[38:39], v[44:45], v[104:105]
	v_fma_f64 v[25:26], -v[94:95], v[44:45], v[25:26]
	v_fma_f64 v[92:93], v[92:93], v[44:45], v[106:107]
	;; [unrolled: 2-line block ×4, first 2 shown]
	global_load_b128 v[21:24], v[100:101], off offset:16
	s_waitcnt vmcnt(11)
	v_cvt_f64_f32_e32 v[104:105], v60
	v_cvt_f64_f32_e32 v[60:61], v61
	s_waitcnt vmcnt(10)
	v_cvt_f64_f32_e32 v[106:107], v62
	v_cvt_f64_f32_e32 v[62:63], v63
	;; [unrolled: 1-line block ×4, first 2 shown]
	v_fma_f64 v[90:91], v[42:43], v[54:55], v[90:91]
	v_fma_f64 v[38:39], v[46:47], v[54:55], v[38:39]
	;; [unrolled: 1-line block ×8, first 2 shown]
	s_clause 0x1
	global_load_b128 v[25:28], v[6:7], off offset:1088
	global_load_b128 v[34:37], v[6:7], off offset:1104
	v_cvt_f64_f32_e32 v[54:55], v58
	v_cvt_f64_f32_e32 v[58:59], v59
	v_fma_f64 v[46:47], -v[46:47], v[56:57], v[90:91]
	v_fma_f64 v[38:39], v[42:43], v[56:57], v[38:39]
	v_fma_f64 v[48:49], -v[48:49], v[56:57], v[94:95]
	v_fma_f64 v[90:91], v[110:111], v[56:57], v[92:93]
	;; [unrolled: 2-line block ×4, first 2 shown]
	global_load_b128 v[42:45], v[100:101], off offset:32
	s_waitcnt vmcnt(11)
	v_cvt_f64_f32_e32 v[110:111], v72
	v_cvt_f64_f32_e32 v[72:73], v73
	s_waitcnt vmcnt(10)
	v_cvt_f64_f32_e32 v[112:113], v74
	v_cvt_f64_f32_e32 v[74:75], v75
	;; [unrolled: 1-line block ×4, first 2 shown]
	v_fma_f64 v[94:95], v[54:55], v[66:67], v[46:47]
	v_fma_f64 v[38:39], v[58:59], v[66:67], v[38:39]
	v_fma_f64 v[96:97], v[104:105], v[66:67], v[48:49]
	v_fma_f64 v[90:91], v[60:61], v[66:67], v[90:91]
	v_fma_f64 v[98:99], v[106:107], v[66:67], v[50:51]
	v_fma_f64 v[92:93], v[62:63], v[66:67], v[92:93]
	v_fma_f64 v[102:103], v[108:109], v[66:67], v[52:53]
	v_fma_f64 v[56:57], v[64:65], v[66:67], v[56:57]
	s_clause 0x1
	global_load_b128 v[46:49], v[6:7], off offset:1120
	global_load_b128 v[50:53], v[6:7], off offset:1136
	v_cvt_f64_f32_e32 v[66:67], v70
	v_cvt_f64_f32_e32 v[70:71], v71
	v_fma_f64 v[94:95], -v[58:59], v[68:69], v[94:95]
	v_fma_f64 v[38:39], v[54:55], v[68:69], v[38:39]
	v_fma_f64 v[96:97], -v[60:61], v[68:69], v[96:97]
	v_fma_f64 v[90:91], v[104:105], v[68:69], v[90:91]
	;; [unrolled: 2-line block ×4, first 2 shown]
	global_load_b128 v[54:57], v[100:101], off offset:48
	global_load_b128 v[58:61], v[6:7], off offset:2048
	v_lshlrev_b32_e32 v108, 2, v5
	s_waitcnt vmcnt(12)
	v_cvt_f64_f32_e32 v[102:103], v84
	v_cvt_f64_f32_e32 v[84:85], v85
	s_waitcnt vmcnt(11)
	v_cvt_f64_f32_e32 v[104:105], v86
	v_cvt_f64_f32_e32 v[86:87], v87
	;; [unrolled: 1-line block ×4, first 2 shown]
	v_ashrrev_i32_e32 v109, 31, v108
	v_subrev_nc_u32_e32 v5, s12, v124
	v_fma_f64 v[94:95], v[66:67], v[78:79], v[94:95]
	v_fma_f64 v[38:39], v[70:71], v[78:79], v[38:39]
	;; [unrolled: 1-line block ×8, first 2 shown]
	global_load_b128 v[62:65], v[6:7], off offset:2064
	v_cvt_f64_f32_e32 v[78:79], v82
	v_cvt_f64_f32_e32 v[82:83], v83
	v_fma_f64 v[70:71], -v[70:71], v[80:81], v[94:95]
	v_fma_f64 v[38:39], v[66:67], v[80:81], v[38:39]
	v_fma_f64 v[72:73], -v[72:73], v[80:81], v[96:97]
	v_fma_f64 v[90:91], v[110:111], v[80:81], v[90:91]
	v_fma_f64 v[74:75], -v[74:75], v[80:81], v[98:99]
	v_fma_f64 v[92:93], v[112:113], v[80:81], v[92:93]
	v_fma_f64 v[76:77], -v[76:77], v[80:81], v[100:101]
	v_fma_f64 v[80:81], v[114:115], v[80:81], v[68:69]
	v_lshlrev_b64 v[66:67], 4, v[108:109]
	s_delay_alu instid0(VALU_DEP_1) | instskip(NEXT) | instid1(VALU_DEP_2)
	v_add_co_u32 v94, vcc_lo, s4, v66
	v_add_co_ci_u32_e32 v95, vcc_lo, s5, v67, vcc_lo
	global_load_b128 v[66:69], v[94:95], off
	s_waitcnt vmcnt(12)
	v_fma_f64 v[96:97], v[78:79], v[29:30], v[70:71]
	v_fma_f64 v[38:39], v[82:83], v[29:30], v[38:39]
	;; [unrolled: 1-line block ×8, first 2 shown]
	s_clause 0x1
	global_load_b128 v[70:73], v[6:7], off offset:2080
	global_load_b128 v[74:77], v[6:7], off offset:2096
	s_waitcnt vmcnt(13)
	v_cvt_f64_f32_e32 v[80:81], v8
	v_cvt_f64_f32_e32 v[110:111], v9
	;; [unrolled: 1-line block ×4, first 2 shown]
	s_waitcnt vmcnt(12)
	v_cvt_f64_f32_e32 v[116:117], v12
	v_cvt_f64_f32_e32 v[118:119], v13
	v_cvt_f64_f32_e32 v[120:121], v14
	v_cvt_f64_f32_e32 v[122:123], v15
	global_load_b128 v[8:11], v[94:95], off offset:16
	v_fma_f64 v[12:13], -v[82:83], v[31:32], v[96:97]
	v_fma_f64 v[14:15], v[78:79], v[31:32], v[38:39]
	v_fma_f64 v[38:39], -v[84:85], v[31:32], v[98:99]
	v_fma_f64 v[78:79], v[102:103], v[31:32], v[90:91]
	;; [unrolled: 2-line block ×4, first 2 shown]
	s_waitcnt vmcnt(12)
	v_fma_f64 v[88:89], v[80:81], v[21:22], v[12:13]
	v_fma_f64 v[90:91], v[110:111], v[21:22], v[14:15]
	;; [unrolled: 1-line block ×8, first 2 shown]
	s_clause 0x1
	global_load_b128 v[12:15], v[6:7], off offset:2112
	global_load_b128 v[29:32], v[6:7], off offset:2128
	s_waitcnt vmcnt(13)
	v_cvt_f64_f32_e32 v[92:93], v25
	v_cvt_f64_f32_e32 v[96:97], v26
	;; [unrolled: 1-line block ×4, first 2 shown]
	s_waitcnt vmcnt(12)
	v_cvt_f64_f32_e32 v[102:103], v34
	v_cvt_f64_f32_e32 v[104:105], v35
	;; [unrolled: 1-line block ×4, first 2 shown]
	v_fma_f64 v[25:26], -v[110:111], v[23:24], v[88:89]
	v_fma_f64 v[27:28], v[80:81], v[23:24], v[90:91]
	v_fma_f64 v[34:35], -v[114:115], v[23:24], v[38:39]
	v_fma_f64 v[36:37], v[112:113], v[23:24], v[78:79]
	;; [unrolled: 2-line block ×4, first 2 shown]
	global_load_b128 v[21:24], v[94:95], off offset:32
	s_waitcnt vmcnt(12)
	v_fma_f64 v[84:85], v[92:93], v[42:43], v[25:26]
	v_fma_f64 v[86:87], v[96:97], v[42:43], v[27:28]
	;; [unrolled: 1-line block ×8, first 2 shown]
	s_clause 0x1
	global_load_b128 v[25:28], v[6:7], off offset:2144
	global_load_b128 v[34:37], v[6:7], off offset:2160
	s_waitcnt vmcnt(13)
	v_cvt_f64_f32_e32 v[82:83], v46
	v_cvt_f64_f32_e32 v[110:111], v47
	;; [unrolled: 1-line block ×4, first 2 shown]
	s_waitcnt vmcnt(12)
	v_cvt_f64_f32_e32 v[116:117], v50
	v_cvt_f64_f32_e32 v[118:119], v51
	;; [unrolled: 1-line block ×4, first 2 shown]
	v_fma_f64 v[46:47], -v[96:97], v[44:45], v[84:85]
	v_fma_f64 v[48:49], v[92:93], v[44:45], v[86:87]
	v_fma_f64 v[50:51], -v[100:101], v[44:45], v[88:89]
	v_fma_f64 v[52:53], v[98:99], v[44:45], v[90:91]
	;; [unrolled: 2-line block ×4, first 2 shown]
	global_load_b128 v[42:45], v[94:95], off offset:48
	s_waitcnt vmcnt(11)
	v_cvt_f64_f32_e32 v[94:95], v59
	v_cvt_f64_f32_e32 v[96:97], v60
	;; [unrolled: 1-line block ×3, first 2 shown]
	v_fma_f64 v[86:87], v[82:83], v[54:55], v[46:47]
	v_fma_f64 v[88:89], v[110:111], v[54:55], v[48:49]
	;; [unrolled: 1-line block ×8, first 2 shown]
	s_clause 0x1
	global_load_b128 v[46:49], v[6:7], off offset:3072
	global_load_b128 v[50:53], v[6:7], off offset:3088
	v_cvt_f64_f32_e32 v[84:85], v58
	v_lshlrev_b32_e32 v58, 2, v5
	s_delay_alu instid0(VALU_DEP_1)
	v_ashrrev_i32_e32 v59, 31, v58
	s_waitcnt vmcnt(12)
	v_cvt_f64_f32_e32 v[100:101], v62
	v_cvt_f64_f32_e32 v[102:103], v63
	;; [unrolled: 1-line block ×4, first 2 shown]
	v_fma_f64 v[60:61], -v[110:111], v[56:57], v[86:87]
	v_fma_f64 v[62:63], v[82:83], v[56:57], v[88:89]
	v_fma_f64 v[64:65], -v[114:115], v[56:57], v[90:91]
	v_fma_f64 v[82:83], v[112:113], v[56:57], v[92:93]
	;; [unrolled: 2-line block ×4, first 2 shown]
	v_lshlrev_b64 v[54:55], 4, v[58:59]
	s_delay_alu instid0(VALU_DEP_1) | instskip(NEXT) | instid1(VALU_DEP_2)
	v_add_co_u32 v88, vcc_lo, s4, v54
	v_add_co_ci_u32_e32 v89, vcc_lo, s5, v55, vcc_lo
	v_cmp_ge_i32_e32 vcc_lo, v4, v33
	global_load_b128 v[54:57], v[88:89], off
	s_or_b32 s7, vcc_lo, s7
	s_waitcnt vmcnt(12)
	v_fma_f64 v[90:91], v[84:85], v[66:67], v[60:61]
	v_fma_f64 v[92:93], v[94:95], v[66:67], v[62:63]
	;; [unrolled: 1-line block ×8, first 2 shown]
	s_clause 0x1
	global_load_b128 v[58:61], v[6:7], off offset:3104
	global_load_b128 v[62:65], v[6:7], off offset:3120
	s_waitcnt vmcnt(13)
	v_cvt_f64_f32_e32 v[86:87], v70
	v_cvt_f64_f32_e32 v[110:111], v71
	;; [unrolled: 1-line block ×4, first 2 shown]
	s_waitcnt vmcnt(12)
	v_cvt_f64_f32_e32 v[116:117], v74
	v_cvt_f64_f32_e32 v[118:119], v75
	;; [unrolled: 1-line block ×4, first 2 shown]
	v_fma_f64 v[70:71], -v[94:95], v[68:69], v[90:91]
	v_fma_f64 v[72:73], v[84:85], v[68:69], v[92:93]
	v_fma_f64 v[74:75], -v[98:99], v[68:69], v[108:109]
	v_fma_f64 v[76:77], v[96:97], v[68:69], v[82:83]
	;; [unrolled: 2-line block ×4, first 2 shown]
	global_load_b128 v[66:69], v[88:89], off offset:16
	s_waitcnt vmcnt(12)
	v_fma_f64 v[84:85], v[86:87], v[8:9], v[70:71]
	v_fma_f64 v[90:91], v[110:111], v[8:9], v[72:73]
	v_fma_f64 v[92:93], v[112:113], v[8:9], v[74:75]
	v_fma_f64 v[94:95], v[114:115], v[8:9], v[76:77]
	v_fma_f64 v[38:39], v[116:117], v[8:9], v[38:39]
	v_fma_f64 v[78:79], v[118:119], v[8:9], v[78:79]
	v_fma_f64 v[80:81], v[120:121], v[8:9], v[80:81]
	v_fma_f64 v[8:9], v[122:123], v[8:9], v[82:83]
	s_clause 0x1
	global_load_b128 v[70:73], v[6:7], off offset:3136
	global_load_b128 v[74:77], v[6:7], off offset:3152
	s_waitcnt vmcnt(13)
	v_cvt_f64_f32_e32 v[82:83], v12
	v_cvt_f64_f32_e32 v[96:97], v13
	v_cvt_f64_f32_e32 v[98:99], v14
	v_cvt_f64_f32_e32 v[100:101], v15
	s_waitcnt vmcnt(12)
	v_cvt_f64_f32_e32 v[102:103], v29
	v_cvt_f64_f32_e32 v[104:105], v30
	;; [unrolled: 1-line block ×4, first 2 shown]
	v_fma_f64 v[12:13], -v[110:111], v[10:11], v[84:85]
	v_fma_f64 v[14:15], v[86:87], v[10:11], v[90:91]
	v_fma_f64 v[29:30], -v[114:115], v[10:11], v[92:93]
	v_fma_f64 v[31:32], v[112:113], v[10:11], v[94:95]
	;; [unrolled: 2-line block ×4, first 2 shown]
	global_load_b128 v[8:11], v[88:89], off offset:32
	s_waitcnt vmcnt(12)
	v_fma_f64 v[86:87], v[82:83], v[21:22], v[12:13]
	v_fma_f64 v[90:91], v[96:97], v[21:22], v[14:15]
	;; [unrolled: 1-line block ×8, first 2 shown]
	s_clause 0x1
	global_load_b128 v[12:15], v[6:7], off offset:3168
	global_load_b128 v[29:32], v[6:7], off offset:3184
	v_add_co_u32 v6, s0, 0x1000, v6
	s_delay_alu instid0(VALU_DEP_1)
	v_add_co_ci_u32_e64 v7, s0, 0, v7, s0
	s_waitcnt vmcnt(13)
	v_cvt_f64_f32_e32 v[84:85], v25
	v_cvt_f64_f32_e32 v[25:26], v26
	;; [unrolled: 1-line block ×4, first 2 shown]
	s_waitcnt vmcnt(12)
	v_cvt_f64_f32_e32 v[112:113], v34
	v_cvt_f64_f32_e32 v[114:115], v35
	;; [unrolled: 1-line block ×4, first 2 shown]
	global_load_b128 v[34:37], v[88:89], off offset:48
	v_fma_f64 v[86:87], -v[96:97], v[23:24], v[86:87]
	v_fma_f64 v[82:83], v[82:83], v[23:24], v[90:91]
	v_fma_f64 v[90:91], -v[100:101], v[23:24], v[92:93]
	v_fma_f64 v[92:93], v[98:99], v[23:24], v[94:95]
	v_fma_f64 v[38:39], -v[104:105], v[23:24], v[38:39]
	v_fma_f64 v[78:79], v[102:103], v[23:24], v[78:79]
	v_fma_f64 v[80:81], -v[108:109], v[23:24], v[80:81]
	v_fma_f64 v[21:22], v[106:107], v[23:24], v[21:22]
	s_waitcnt vmcnt(12)
	v_fma_f64 v[23:24], v[84:85], v[42:43], v[86:87]
	v_fma_f64 v[82:83], v[25:26], v[42:43], v[82:83]
	v_fma_f64 v[86:87], v[110:111], v[42:43], v[90:91]
	v_fma_f64 v[88:89], v[27:28], v[42:43], v[92:93]
	v_fma_f64 v[38:39], v[112:113], v[42:43], v[38:39]
	v_fma_f64 v[78:79], v[114:115], v[42:43], v[78:79]
	v_fma_f64 v[80:81], v[116:117], v[42:43], v[80:81]
	v_fma_f64 v[21:22], v[118:119], v[42:43], v[21:22]
	s_waitcnt vmcnt(11)
	v_cvt_f64_f32_e32 v[42:43], v46
	v_cvt_f64_f32_e32 v[46:47], v47
	v_cvt_f64_f32_e32 v[90:91], v48
	v_cvt_f64_f32_e32 v[48:49], v49
	s_waitcnt vmcnt(10)
	v_cvt_f64_f32_e32 v[92:93], v50
	v_cvt_f64_f32_e32 v[50:51], v51
	v_cvt_f64_f32_e32 v[94:95], v52
	v_cvt_f64_f32_e32 v[52:53], v53
	v_fma_f64 v[23:24], -v[25:26], v[44:45], v[23:24]
	v_fma_f64 v[25:26], v[84:85], v[44:45], v[82:83]
	v_fma_f64 v[27:28], -v[27:28], v[44:45], v[86:87]
	v_fma_f64 v[82:83], v[110:111], v[44:45], v[88:89]
	v_fma_f64 v[38:39], -v[114:115], v[44:45], v[38:39]
	v_fma_f64 v[78:79], v[112:113], v[44:45], v[78:79]
	v_fma_f64 v[80:81], -v[118:119], v[44:45], v[80:81]
	v_fma_f64 v[21:22], v[116:117], v[44:45], v[21:22]
	s_waitcnt vmcnt(9)
	v_fma_f64 v[23:24], v[42:43], v[54:55], v[23:24]
	v_fma_f64 v[25:26], v[46:47], v[54:55], v[25:26]
	v_fma_f64 v[27:28], v[90:91], v[54:55], v[27:28]
	v_fma_f64 v[44:45], v[48:49], v[54:55], v[82:83]
	v_fma_f64 v[38:39], v[92:93], v[54:55], v[38:39]
	v_fma_f64 v[78:79], v[50:51], v[54:55], v[78:79]
	v_fma_f64 v[80:81], v[94:95], v[54:55], v[80:81]
	v_fma_f64 v[21:22], v[52:53], v[54:55], v[21:22]
	s_waitcnt vmcnt(8)
	v_cvt_f64_f32_e32 v[54:55], v58
	v_cvt_f64_f32_e32 v[58:59], v59
	v_cvt_f64_f32_e32 v[82:83], v60
	v_cvt_f64_f32_e32 v[60:61], v61
	s_waitcnt vmcnt(7)
	v_cvt_f64_f32_e32 v[84:85], v62
	v_cvt_f64_f32_e32 v[62:63], v63
	v_cvt_f64_f32_e32 v[86:87], v64
	v_cvt_f64_f32_e32 v[64:65], v65
	;; [unrolled: 27-line block ×4, first 2 shown]
	v_fma_f64 v[14:15], -v[50:51], v[10:11], v[23:24]
	v_fma_f64 v[23:24], v[48:49], v[10:11], v[25:26]
	v_fma_f64 v[25:26], -v[56:57], v[10:11], v[27:28]
	v_fma_f64 v[27:28], v[52:53], v[10:11], v[42:43]
	;; [unrolled: 2-line block ×4, first 2 shown]
	s_waitcnt vmcnt(0)
	v_fma_f64 v[10:11], v[21:22], v[34:35], v[14:15]
	v_fma_f64 v[23:24], v[12:13], v[34:35], v[23:24]
	;; [unrolled: 1-line block ×8, first 2 shown]
	v_fma_f64 v[14:15], -v[12:13], v[36:37], v[10:11]
	v_fma_f64 v[10:11], v[21:22], v[36:37], v[23:24]
	v_fma_f64 v[25:26], -v[58:59], v[36:37], v[25:26]
	v_fma_f64 v[12:13], v[54:55], v[36:37], v[27:28]
	;; [unrolled: 2-line block ×4, first 2 shown]
	s_and_not1_b32 exec_lo, exec_lo, s7
	s_cbranch_execnz .LBB166_35
; %bb.36:
	s_or_b32 exec_lo, exec_lo, s7
.LBB166_37:
	s_delay_alu instid0(SALU_CYCLE_1)
	s_or_b32 exec_lo, exec_lo, s6
.LBB166_38:
	s_delay_alu instid0(SALU_CYCLE_1)
	s_or_b32 exec_lo, exec_lo, s1
.LBB166_39:
	v_mbcnt_lo_u32_b32 v44, -1, 0
	s_delay_alu instid0(VALU_DEP_1) | instskip(NEXT) | instid1(VALU_DEP_1)
	v_xor_b32_e32 v4, 4, v44
	v_cmp_gt_i32_e32 vcc_lo, 32, v4
	v_cndmask_b32_e32 v4, v44, v4, vcc_lo
	s_delay_alu instid0(VALU_DEP_1)
	v_lshlrev_b32_e32 v40, 2, v4
	ds_bpermute_b32 v4, v40, v14
	ds_bpermute_b32 v5, v40, v15
	;; [unrolled: 1-line block ×16, first 2 shown]
	s_waitcnt lgkmcnt(0)
	v_add_f64 v[4:5], v[14:15], v[4:5]
	v_add_f64 v[6:7], v[10:11], v[6:7]
	;; [unrolled: 1-line block ×7, first 2 shown]
	v_xor_b32_e32 v8, 2, v44
	v_add_f64 v[21:22], v[21:22], v[39:40]
	s_delay_alu instid0(VALU_DEP_2) | instskip(SKIP_1) | instid1(VALU_DEP_1)
	v_cmp_gt_i32_e32 vcc_lo, 32, v8
	v_cndmask_b32_e32 v8, v44, v8, vcc_lo
	v_lshlrev_b32_e32 v27, 2, v8
	ds_bpermute_b32 v8, v27, v4
	ds_bpermute_b32 v9, v27, v5
	;; [unrolled: 1-line block ×16, first 2 shown]
	s_waitcnt lgkmcnt(14)
	v_add_f64 v[4:5], v[4:5], v[8:9]
	s_waitcnt lgkmcnt(12)
	v_add_f64 v[27:28], v[6:7], v[23:24]
	;; [unrolled: 2-line block ×8, first 2 shown]
	v_xor_b32_e32 v21, 1, v44
	s_delay_alu instid0(VALU_DEP_1) | instskip(SKIP_2) | instid1(VALU_DEP_2)
	v_cmp_gt_i32_e32 vcc_lo, 32, v21
	v_cndmask_b32_e32 v21, v44, v21, vcc_lo
	v_cmp_eq_u32_e32 vcc_lo, 7, v41
	v_lshlrev_b32_e32 v34, 2, v21
	ds_bpermute_b32 v21, v34, v4
	ds_bpermute_b32 v22, v34, v5
	;; [unrolled: 1-line block ×16, first 2 shown]
	s_and_b32 exec_lo, exec_lo, vcc_lo
	s_cbranch_execz .LBB166_12
; %bb.40:
	s_waitcnt lgkmcnt(12)
	v_add_f64 v[27:28], v[27:28], v[39:40]
	s_waitcnt lgkmcnt(8)
	v_add_f64 v[23:24], v[23:24], v[37:38]
	;; [unrolled: 2-line block ×4, first 2 shown]
	v_add_f64 v[4:5], v[4:5], v[21:22]
	v_add_f64 v[6:7], v[6:7], v[25:26]
	;; [unrolled: 1-line block ×4, first 2 shown]
	v_cmp_eq_f64_e32 vcc_lo, 0, v[16:17]
	v_cmp_eq_f64_e64 s0, 0, v[18:19]
	s_load_b64 s[2:3], s[2:3], 0x60
	v_lshlrev_b32_e32 v20, 2, v20
	v_mul_f64 v[8:9], v[27:28], -v[2:3]
	v_mul_f64 v[10:11], v[0:1], v[27:28]
	v_mul_f64 v[27:28], v[23:24], -v[2:3]
	v_mul_f64 v[23:24], v[0:1], v[23:24]
	;; [unrolled: 2-line block ×4, first 2 shown]
	s_and_b32 s0, vcc_lo, s0
	v_fma_f64 v[12:13], v[0:1], v[4:5], v[8:9]
	v_fma_f64 v[14:15], v[2:3], v[4:5], v[10:11]
	;; [unrolled: 1-line block ×8, first 2 shown]
	s_and_saveexec_b32 s1, s0
	s_delay_alu instid0(SALU_CYCLE_1)
	s_xor_b32 s0, exec_lo, s1
	s_cbranch_execz .LBB166_42
; %bb.41:
	v_ashrrev_i32_e32 v21, 31, v20
                                        ; implicit-def: $vgpr18_vgpr19
	s_delay_alu instid0(VALU_DEP_1) | instskip(SKIP_1) | instid1(VALU_DEP_1)
	v_lshlrev_b64 v[16:17], 4, v[20:21]
                                        ; implicit-def: $vgpr20
	s_waitcnt lgkmcnt(0)
	v_add_co_u32 v16, vcc_lo, s2, v16
	s_delay_alu instid0(VALU_DEP_2)
	v_add_co_ci_u32_e32 v17, vcc_lo, s3, v17, vcc_lo
	s_clause 0x3
	global_store_b128 v[16:17], v[12:15], off
	global_store_b128 v[16:17], v[8:11], off offset:16
	global_store_b128 v[16:17], v[4:7], off offset:32
	;; [unrolled: 1-line block ×3, first 2 shown]
                                        ; implicit-def: $vgpr16_vgpr17
                                        ; implicit-def: $vgpr12_vgpr13
                                        ; implicit-def: $vgpr8_vgpr9
                                        ; implicit-def: $vgpr4_vgpr5
                                        ; implicit-def: $vgpr0_vgpr1
.LBB166_42:
	s_and_not1_saveexec_b32 s0, s0
	s_cbranch_execz .LBB166_12
; %bb.43:
	v_ashrrev_i32_e32 v21, 31, v20
	s_delay_alu instid0(VALU_DEP_1) | instskip(SKIP_1) | instid1(VALU_DEP_1)
	v_lshlrev_b64 v[20:21], 4, v[20:21]
	s_waitcnt lgkmcnt(0)
	v_add_co_u32 v36, vcc_lo, s2, v20
	s_delay_alu instid0(VALU_DEP_2)
	v_add_co_ci_u32_e32 v37, vcc_lo, s3, v21, vcc_lo
	s_clause 0x3
	global_load_b128 v[20:23], v[36:37], off
	global_load_b128 v[24:27], v[36:37], off offset:16
	global_load_b128 v[28:31], v[36:37], off offset:32
	;; [unrolled: 1-line block ×3, first 2 shown]
	s_waitcnt vmcnt(3)
	v_fma_f64 v[12:13], v[16:17], v[20:21], v[12:13]
	v_fma_f64 v[14:15], v[18:19], v[20:21], v[14:15]
	s_waitcnt vmcnt(2)
	v_fma_f64 v[8:9], v[16:17], v[24:25], v[8:9]
	v_fma_f64 v[10:11], v[18:19], v[24:25], v[10:11]
	;; [unrolled: 3-line block ×4, first 2 shown]
	v_fma_f64 v[0:1], -v[18:19], v[22:23], v[12:13]
	v_fma_f64 v[2:3], v[16:17], v[22:23], v[14:15]
	v_fma_f64 v[4:5], -v[18:19], v[26:27], v[8:9]
	v_fma_f64 v[6:7], v[16:17], v[26:27], v[10:11]
	;; [unrolled: 2-line block ×4, first 2 shown]
	s_clause 0x3
	global_store_b128 v[36:37], v[0:3], off
	global_store_b128 v[36:37], v[4:7], off offset:16
	global_store_b128 v[36:37], v[8:11], off offset:32
	;; [unrolled: 1-line block ×3, first 2 shown]
	s_nop 0
	s_sendmsg sendmsg(MSG_DEALLOC_VGPRS)
	s_endpgm
	.section	.rodata,"a",@progbits
	.p2align	6, 0x0
	.amdhsa_kernel _ZN9rocsparseL18bsrxmvn_4x4_kernelILj128ELj8E21rocsparse_complex_numIdEiiS1_IfES2_S2_EEvT3_20rocsparse_direction_NS_24const_host_device_scalarIT1_EES4_PKS4_PKT2_SD_SA_PKT4_PKT5_S8_PT6_21rocsparse_index_base_b
		.amdhsa_group_segment_fixed_size 2048
		.amdhsa_private_segment_fixed_size 0
		.amdhsa_kernarg_size 112
		.amdhsa_user_sgpr_count 15
		.amdhsa_user_sgpr_dispatch_ptr 1
		.amdhsa_user_sgpr_queue_ptr 0
		.amdhsa_user_sgpr_kernarg_segment_ptr 1
		.amdhsa_user_sgpr_dispatch_id 0
		.amdhsa_user_sgpr_private_segment_size 0
		.amdhsa_wavefront_size32 1
		.amdhsa_uses_dynamic_stack 0
		.amdhsa_enable_private_segment 0
		.amdhsa_system_sgpr_workgroup_id_x 1
		.amdhsa_system_sgpr_workgroup_id_y 0
		.amdhsa_system_sgpr_workgroup_id_z 0
		.amdhsa_system_sgpr_workgroup_info 0
		.amdhsa_system_vgpr_workitem_id 2
		.amdhsa_next_free_vgpr 129
		.amdhsa_next_free_sgpr 18
		.amdhsa_reserve_vcc 1
		.amdhsa_float_round_mode_32 0
		.amdhsa_float_round_mode_16_64 0
		.amdhsa_float_denorm_mode_32 3
		.amdhsa_float_denorm_mode_16_64 3
		.amdhsa_dx10_clamp 1
		.amdhsa_ieee_mode 1
		.amdhsa_fp16_overflow 0
		.amdhsa_workgroup_processor_mode 1
		.amdhsa_memory_ordered 1
		.amdhsa_forward_progress 0
		.amdhsa_shared_vgpr_count 0
		.amdhsa_exception_fp_ieee_invalid_op 0
		.amdhsa_exception_fp_denorm_src 0
		.amdhsa_exception_fp_ieee_div_zero 0
		.amdhsa_exception_fp_ieee_overflow 0
		.amdhsa_exception_fp_ieee_underflow 0
		.amdhsa_exception_fp_ieee_inexact 0
		.amdhsa_exception_int_div_zero 0
	.end_amdhsa_kernel
	.section	.text._ZN9rocsparseL18bsrxmvn_4x4_kernelILj128ELj8E21rocsparse_complex_numIdEiiS1_IfES2_S2_EEvT3_20rocsparse_direction_NS_24const_host_device_scalarIT1_EES4_PKS4_PKT2_SD_SA_PKT4_PKT5_S8_PT6_21rocsparse_index_base_b,"axG",@progbits,_ZN9rocsparseL18bsrxmvn_4x4_kernelILj128ELj8E21rocsparse_complex_numIdEiiS1_IfES2_S2_EEvT3_20rocsparse_direction_NS_24const_host_device_scalarIT1_EES4_PKS4_PKT2_SD_SA_PKT4_PKT5_S8_PT6_21rocsparse_index_base_b,comdat
.Lfunc_end166:
	.size	_ZN9rocsparseL18bsrxmvn_4x4_kernelILj128ELj8E21rocsparse_complex_numIdEiiS1_IfES2_S2_EEvT3_20rocsparse_direction_NS_24const_host_device_scalarIT1_EES4_PKS4_PKT2_SD_SA_PKT4_PKT5_S8_PT6_21rocsparse_index_base_b, .Lfunc_end166-_ZN9rocsparseL18bsrxmvn_4x4_kernelILj128ELj8E21rocsparse_complex_numIdEiiS1_IfES2_S2_EEvT3_20rocsparse_direction_NS_24const_host_device_scalarIT1_EES4_PKS4_PKT2_SD_SA_PKT4_PKT5_S8_PT6_21rocsparse_index_base_b
                                        ; -- End function
	.section	.AMDGPU.csdata,"",@progbits
; Kernel info:
; codeLenInByte = 11404
; NumSgprs: 20
; NumVgprs: 129
; ScratchSize: 0
; MemoryBound: 0
; FloatMode: 240
; IeeeMode: 1
; LDSByteSize: 2048 bytes/workgroup (compile time only)
; SGPRBlocks: 2
; VGPRBlocks: 16
; NumSGPRsForWavesPerEU: 20
; NumVGPRsForWavesPerEU: 129
; Occupancy: 10
; WaveLimiterHint : 1
; COMPUTE_PGM_RSRC2:SCRATCH_EN: 0
; COMPUTE_PGM_RSRC2:USER_SGPR: 15
; COMPUTE_PGM_RSRC2:TRAP_HANDLER: 0
; COMPUTE_PGM_RSRC2:TGID_X_EN: 1
; COMPUTE_PGM_RSRC2:TGID_Y_EN: 0
; COMPUTE_PGM_RSRC2:TGID_Z_EN: 0
; COMPUTE_PGM_RSRC2:TIDIG_COMP_CNT: 2
	.section	.text._ZN9rocsparseL18bsrxmvn_4x4_kernelILj128ELj16E21rocsparse_complex_numIdEiiS1_IfES2_S2_EEvT3_20rocsparse_direction_NS_24const_host_device_scalarIT1_EES4_PKS4_PKT2_SD_SA_PKT4_PKT5_S8_PT6_21rocsparse_index_base_b,"axG",@progbits,_ZN9rocsparseL18bsrxmvn_4x4_kernelILj128ELj16E21rocsparse_complex_numIdEiiS1_IfES2_S2_EEvT3_20rocsparse_direction_NS_24const_host_device_scalarIT1_EES4_PKS4_PKT2_SD_SA_PKT4_PKT5_S8_PT6_21rocsparse_index_base_b,comdat
	.globl	_ZN9rocsparseL18bsrxmvn_4x4_kernelILj128ELj16E21rocsparse_complex_numIdEiiS1_IfES2_S2_EEvT3_20rocsparse_direction_NS_24const_host_device_scalarIT1_EES4_PKS4_PKT2_SD_SA_PKT4_PKT5_S8_PT6_21rocsparse_index_base_b ; -- Begin function _ZN9rocsparseL18bsrxmvn_4x4_kernelILj128ELj16E21rocsparse_complex_numIdEiiS1_IfES2_S2_EEvT3_20rocsparse_direction_NS_24const_host_device_scalarIT1_EES4_PKS4_PKT2_SD_SA_PKT4_PKT5_S8_PT6_21rocsparse_index_base_b
	.p2align	8
	.type	_ZN9rocsparseL18bsrxmvn_4x4_kernelILj128ELj16E21rocsparse_complex_numIdEiiS1_IfES2_S2_EEvT3_20rocsparse_direction_NS_24const_host_device_scalarIT1_EES4_PKS4_PKT2_SD_SA_PKT4_PKT5_S8_PT6_21rocsparse_index_base_b,@function
_ZN9rocsparseL18bsrxmvn_4x4_kernelILj128ELj16E21rocsparse_complex_numIdEiiS1_IfES2_S2_EEvT3_20rocsparse_direction_NS_24const_host_device_scalarIT1_EES4_PKS4_PKT2_SD_SA_PKT4_PKT5_S8_PT6_21rocsparse_index_base_b: ; @_ZN9rocsparseL18bsrxmvn_4x4_kernelILj128ELj16E21rocsparse_complex_numIdEiiS1_IfES2_S2_EEvT3_20rocsparse_direction_NS_24const_host_device_scalarIT1_EES4_PKS4_PKT2_SD_SA_PKT4_PKT5_S8_PT6_21rocsparse_index_base_b
; %bb.0:
	s_load_b64 s[12:13], s[2:3], 0x68
	s_load_b64 s[16:17], s[0:1], 0x4
	s_load_b128 s[8:11], s[2:3], 0x8
	v_bfe_u32 v2, v0, 10, 10
	s_mov_b64 s[0:1], src_shared_base
	s_load_b128 s[4:7], s[2:3], 0x50
	v_and_b32_e32 v1, 0x3ff, v0
	v_bfe_u32 v0, v0, 20, 10
	s_waitcnt lgkmcnt(0)
	s_bitcmp1_b32 s13, 0
	v_mul_u32_u24_e32 v2, s17, v2
	s_cselect_b32 s0, -1, 0
	v_mov_b32_e32 v23, s11
	s_and_b32 vcc_lo, s0, exec_lo
	s_cselect_b32 s13, s1, s9
	s_lshr_b32 s14, s16, 16
	v_dual_mov_b32 v4, s4 :: v_dual_mov_b32 v5, s5
	s_mul_i32 s14, s14, s17
	v_dual_mov_b32 v7, s13 :: v_dual_mov_b32 v22, s10
	v_mad_u32_u24 v2, s14, v1, v2
	s_xor_b32 s10, s0, -1
	s_delay_alu instid0(VALU_DEP_1) | instskip(SKIP_1) | instid1(VALU_DEP_2)
	v_add_lshl_u32 v0, v2, v0, 3
	v_dual_mov_b32 v2, s8 :: v_dual_mov_b32 v3, s9
	v_add_nc_u32_e32 v6, 0x400, v0
	ds_store_2addr_stride64_b64 v0, v[4:5], v[2:3] offset1:2
	v_cndmask_b32_e64 v6, s8, v6, s0
	flat_load_b64 v[20:21], v[6:7]
	s_cbranch_vccnz .LBB167_2
; %bb.1:
	v_dual_mov_b32 v2, s8 :: v_dual_mov_b32 v3, s9
	flat_load_b64 v[22:23], v[2:3] offset:8
.LBB167_2:
	s_and_b32 s8, s0, exec_lo
	s_cselect_b32 s1, s1, s5
	v_cndmask_b32_e64 v2, s4, v0, s0
	v_mov_b32_e32 v3, s1
	v_dual_mov_b32 v19, s7 :: v_dual_mov_b32 v18, s6
	s_and_not1_b32 vcc_lo, exec_lo, s10
	flat_load_b64 v[16:17], v[2:3]
	s_cbranch_vccnz .LBB167_4
; %bb.3:
	v_dual_mov_b32 v2, s4 :: v_dual_mov_b32 v3, s5
	flat_load_b64 v[18:19], v[2:3] offset:8
.LBB167_4:
	s_waitcnt vmcnt(1) lgkmcnt(1)
	v_cmp_eq_f64_e32 vcc_lo, 0, v[20:21]
	v_cmp_eq_f64_e64 s0, 0, v[22:23]
	s_delay_alu instid0(VALU_DEP_1)
	s_and_b32 s4, vcc_lo, s0
	s_mov_b32 s0, -1
	s_and_saveexec_b32 s1, s4
	s_cbranch_execz .LBB167_6
; %bb.5:
	s_waitcnt vmcnt(0) lgkmcnt(0)
	v_cmp_neq_f64_e32 vcc_lo, 1.0, v[16:17]
	v_cmp_neq_f64_e64 s0, 0, v[18:19]
	s_delay_alu instid0(VALU_DEP_1) | instskip(NEXT) | instid1(SALU_CYCLE_1)
	s_or_b32 s0, vcc_lo, s0
	s_or_not1_b32 s0, s0, exec_lo
.LBB167_6:
	s_or_b32 exec_lo, exec_lo, s1
	s_and_saveexec_b32 s1, s0
	s_cbranch_execz .LBB167_12
; %bb.7:
	s_clause 0x1
	s_load_b64 s[4:5], s[2:3], 0x20
	s_load_b64 s[0:1], s[2:3], 0x0
	v_lshrrev_b32_e32 v0, 4, v1
	s_delay_alu instid0(VALU_DEP_1)
	v_lshl_or_b32 v24, s15, 3, v0
	s_waitcnt lgkmcnt(0)
	s_cmp_lg_u64 s[4:5], 0
	s_cbranch_scc0 .LBB167_13
; %bb.8:
	s_load_b32 s6, s[2:3], 0x18
	s_mov_b32 s7, 0
                                        ; implicit-def: $vgpr0
	s_waitcnt lgkmcnt(0)
	v_cmp_gt_i32_e32 vcc_lo, s6, v24
	s_mov_b32 s6, 0
	s_and_saveexec_b32 s8, vcc_lo
	s_delay_alu instid0(SALU_CYCLE_1)
	s_xor_b32 s8, exec_lo, s8
	s_cbranch_execz .LBB167_10
; %bb.9:
	v_ashrrev_i32_e32 v25, 31, v24
	s_mov_b32 s6, exec_lo
	s_delay_alu instid0(VALU_DEP_1) | instskip(NEXT) | instid1(VALU_DEP_1)
	v_lshlrev_b64 v[2:3], 2, v[24:25]
	v_add_co_u32 v2, vcc_lo, s4, v2
	s_delay_alu instid0(VALU_DEP_2)
	v_add_co_ci_u32_e32 v3, vcc_lo, s5, v3, vcc_lo
	global_load_b32 v0, v[2:3], off
	s_waitcnt vmcnt(0)
	v_subrev_nc_u32_e32 v0, s12, v0
.LBB167_10:
	s_or_b32 exec_lo, exec_lo, s8
	s_delay_alu instid0(SALU_CYCLE_1)
	s_and_b32 vcc_lo, exec_lo, s7
	s_cbranch_vccz .LBB167_14
.LBB167_11:
	v_cmp_gt_i32_e32 vcc_lo, s0, v24
	s_and_not1_b32 s0, s6, exec_lo
	s_and_b32 s4, vcc_lo, exec_lo
	s_delay_alu instid0(SALU_CYCLE_1) | instskip(NEXT) | instid1(SALU_CYCLE_1)
	s_or_b32 s6, s0, s4
	s_and_b32 exec_lo, exec_lo, s6
	s_cbranch_execnz .LBB167_15
.LBB167_12:
	s_nop 0
	s_sendmsg sendmsg(MSG_DEALLOC_VGPRS)
	s_endpgm
.LBB167_13:
	s_mov_b32 s6, 0
                                        ; implicit-def: $vgpr0
	s_cbranch_execnz .LBB167_11
.LBB167_14:
	s_delay_alu instid0(VALU_DEP_1)
	v_mov_b32_e32 v24, v0
	s_and_b32 exec_lo, exec_lo, s6
	s_cbranch_execz .LBB167_12
.LBB167_15:
	s_load_b256 s[4:11], s[2:3], 0x28
	s_delay_alu instid0(VALU_DEP_1) | instskip(SKIP_1) | instid1(VALU_DEP_2)
	v_ashrrev_i32_e32 v25, 31, v24
	v_and_b32_e32 v41, 15, v1
	v_lshlrev_b64 v[2:3], 2, v[24:25]
	s_waitcnt lgkmcnt(0)
	s_delay_alu instid0(VALU_DEP_1) | instskip(NEXT) | instid1(VALU_DEP_2)
	v_add_co_u32 v4, vcc_lo, s4, v2
	v_add_co_ci_u32_e32 v5, vcc_lo, s5, v3, vcc_lo
	v_add_co_u32 v0, vcc_lo, s6, v2
	v_add_co_ci_u32_e32 v2, vcc_lo, s7, v3, vcc_lo
	global_load_b32 v43, v[4:5], off
	v_add_co_u32 v4, vcc_lo, v4, 4
	v_add_co_ci_u32_e32 v3, vcc_lo, 0, v5, vcc_lo
	s_cmp_eq_u64 s[6:7], 0
	s_load_b64 s[4:5], s[2:3], 0x48
	s_cselect_b32 vcc_lo, -1, 0
	s_cmp_eq_u32 s1, 1
	v_dual_cndmask_b32 v3, v2, v3 :: v_dual_cndmask_b32 v2, v0, v4
	global_load_b32 v2, v[2:3], off
	s_waitcnt vmcnt(1)
	v_subrev_nc_u32_e32 v0, s12, v43
	s_delay_alu instid0(VALU_DEP_1) | instskip(NEXT) | instid1(VALU_DEP_1)
	v_add_nc_u32_e32 v8, v0, v41
	v_ashrrev_i32_e32 v9, 31, v8
	s_waitcnt vmcnt(0)
	v_subrev_nc_u32_e32 v42, s12, v2
	s_delay_alu instid0(VALU_DEP_2) | instskip(NEXT) | instid1(VALU_DEP_2)
	v_lshlrev_b64 v[0:1], 7, v[8:9]
	v_cmp_lt_i32_e64 s0, v8, v42
	s_delay_alu instid0(VALU_DEP_2) | instskip(NEXT) | instid1(VALU_DEP_3)
	v_add_co_u32 v10, vcc_lo, s10, v0
	v_add_co_ci_u32_e32 v11, vcc_lo, s11, v1, vcc_lo
	s_cbranch_scc1 .LBB167_27
; %bb.16:
	v_mov_b32_e32 v14, 0
	v_mov_b32_e32 v15, 0
	s_delay_alu instid0(VALU_DEP_1)
	v_dual_mov_b32 v12, v14 :: v_dual_mov_b32 v13, v15
	v_dual_mov_b32 v28, v15 :: v_dual_mov_b32 v27, v14
	;; [unrolled: 1-line block ×7, first 2 shown]
	s_and_saveexec_b32 s6, s0
	s_cbranch_execz .LBB167_26
; %bb.17:
	v_add_nc_u32_e32 v0, v43, v41
	v_mov_b32_e32 v12, 0
	v_dual_mov_b32 v13, 0 :: v_dual_mov_b32 v38, v11
	v_not_b32_e32 v1, v43
	s_delay_alu instid0(VALU_DEP_4) | instskip(NEXT) | instid1(VALU_DEP_3)
	v_subrev_nc_u32_e32 v0, s12, v0
	v_dual_mov_b32 v39, v8 :: v_dual_mov_b32 v30, v13
	v_dual_mov_b32 v36, v13 :: v_dual_mov_b32 v29, v12
	s_delay_alu instid0(VALU_DEP_3) | instskip(SKIP_2) | instid1(VALU_DEP_3)
	v_dual_mov_b32 v37, v10 :: v_dual_add_nc_u32 v0, 16, v0
	v_dual_mov_b32 v35, v12 :: v_dual_mov_b32 v34, v13
	v_mov_b32_e32 v33, v12
	v_max_i32_e32 v0, v0, v42
	v_dual_mov_b32 v26, v13 :: v_dual_mov_b32 v25, v12
	v_dual_mov_b32 v28, v13 :: v_dual_mov_b32 v27, v12
	s_delay_alu instid0(VALU_DEP_3) | instskip(SKIP_3) | instid1(VALU_DEP_2)
	v_add3_u32 v0, v0, s12, v1
	v_dual_mov_b32 v15, v13 :: v_dual_mov_b32 v14, v12
	s_mov_b32 s10, 0
	s_mov_b32 s7, exec_lo
	v_sub_nc_u32_e32 v0, v0, v41
	s_delay_alu instid0(VALU_DEP_1) | instskip(NEXT) | instid1(VALU_DEP_1)
	v_lshrrev_b32_e32 v1, 4, v0
	v_dual_mov_b32 v32, v13 :: v_dual_add_nc_u32 v1, 1, v1
	v_mov_b32_e32 v31, v12
	s_delay_alu instid0(VALU_DEP_2) | instskip(NEXT) | instid1(VALU_DEP_1)
	v_and_b32_e32 v1, 3, v1
	v_cmpx_ne_u32_e32 0, v1
	s_cbranch_execz .LBB167_21
; %bb.18:
	v_dual_mov_b32 v14, 0 :: v_dual_lshlrev_b32 v1, 7, v1
	v_dual_mov_b32 v15, 0 :: v_dual_mov_b32 v38, v11
	v_mov_b32_e32 v39, v8
	v_mov_b32_e32 v37, v10
	s_delay_alu instid0(VALU_DEP_3)
	v_dual_mov_b32 v12, v14 :: v_dual_mov_b32 v13, v15
	v_mov_b32_e32 v28, v15
	v_dual_mov_b32 v26, v15 :: v_dual_mov_b32 v27, v14
	v_dual_mov_b32 v34, v15 :: v_dual_mov_b32 v25, v14
	;; [unrolled: 1-line block ×5, first 2 shown]
	v_mov_b32_e32 v29, v14
.LBB167_19:                             ; =>This Inner Loop Header: Depth=1
	v_ashrrev_i32_e32 v40, 31, v39
	v_add_nc_u32_e32 v1, 0xffffff80, v1
	s_delay_alu instid0(VALU_DEP_2) | instskip(NEXT) | instid1(VALU_DEP_2)
	v_lshlrev_b64 v[2:3], 2, v[39:40]
	v_cmp_eq_u32_e64 s1, 0, v1
	v_add_nc_u32_e32 v39, 16, v39
	s_delay_alu instid0(VALU_DEP_2) | instskip(NEXT) | instid1(VALU_DEP_3)
	s_or_b32 s10, s1, s10
	v_add_co_u32 v2, vcc_lo, s8, v2
	s_delay_alu instid0(VALU_DEP_4)
	v_add_co_ci_u32_e32 v3, vcc_lo, s9, v3, vcc_lo
	global_load_b32 v6, v[2:3], off
	s_clause 0x7
	global_load_b128 v[2:5], v[37:38], off
	global_load_b128 v[44:47], v[37:38], off offset:32
	global_load_b128 v[48:51], v[37:38], off offset:64
	;; [unrolled: 1-line block ×7, first 2 shown]
	s_waitcnt vmcnt(8)
	v_subrev_nc_u32_e32 v6, s12, v6
	s_waitcnt vmcnt(6)
	v_cvt_f64_f32_e32 v[88:89], v44
	v_cvt_f64_f32_e32 v[44:45], v45
	s_waitcnt vmcnt(5)
	v_cvt_f64_f32_e32 v[90:91], v48
	v_lshlrev_b32_e32 v6, 2, v6
	v_cvt_f64_f32_e32 v[48:49], v49
	s_waitcnt vmcnt(3)
	v_cvt_f64_f32_e32 v[92:93], v56
	v_cvt_f64_f32_e32 v[56:57], v57
	;; [unrolled: 1-line block ×3, first 2 shown]
	v_ashrrev_i32_e32 v7, 31, v6
	v_cvt_f64_f32_e32 v[46:47], v47
	v_cvt_f64_f32_e32 v[96:97], v50
	;; [unrolled: 1-line block ×4, first 2 shown]
	v_lshlrev_b64 v[6:7], 4, v[6:7]
	v_cvt_f64_f32_e32 v[58:59], v59
	s_waitcnt lgkmcnt(0)
	s_delay_alu instid0(VALU_DEP_2) | instskip(NEXT) | instid1(VALU_DEP_3)
	v_add_co_u32 v6, vcc_lo, s4, v6
	v_add_co_ci_u32_e32 v7, vcc_lo, s5, v7, vcc_lo
	v_add_co_u32 v37, vcc_lo, 0x800, v37
	s_clause 0x3
	global_load_b128 v[72:75], v[6:7], off
	global_load_b128 v[76:79], v[6:7], off offset:16
	global_load_b128 v[80:83], v[6:7], off offset:32
	;; [unrolled: 1-line block ×3, first 2 shown]
	v_cvt_f64_f32_e32 v[6:7], v2
	v_cvt_f64_f32_e32 v[2:3], v3
	v_add_co_ci_u32_e32 v38, vcc_lo, 0, v38, vcc_lo
	s_waitcnt vmcnt(3)
	s_delay_alu instid0(VALU_DEP_3) | instskip(NEXT) | instid1(VALU_DEP_3)
	v_fma_f64 v[27:28], v[6:7], v[72:73], v[27:28]
	v_fma_f64 v[14:15], v[2:3], v[72:73], v[14:15]
	;; [unrolled: 1-line block ×8, first 2 shown]
	v_cvt_f64_f32_e32 v[72:73], v4
	v_cvt_f64_f32_e32 v[4:5], v5
	v_fma_f64 v[2:3], -v[2:3], v[74:75], v[27:28]
	v_fma_f64 v[6:7], v[6:7], v[74:75], v[14:15]
	v_fma_f64 v[14:15], -v[44:45], v[74:75], v[33:34]
	v_fma_f64 v[25:26], v[88:89], v[74:75], v[25:26]
	;; [unrolled: 2-line block ×4, first 2 shown]
	v_cvt_f64_f32_e32 v[33:34], v60
	v_cvt_f64_f32_e32 v[35:36], v61
	;; [unrolled: 1-line block ×10, first 2 shown]
	s_waitcnt vmcnt(2)
	v_fma_f64 v[2:3], v[72:73], v[76:77], v[2:3]
	v_fma_f64 v[6:7], v[4:5], v[76:77], v[6:7]
	;; [unrolled: 1-line block ×8, first 2 shown]
	v_fma_f64 v[2:3], -v[4:5], v[78:79], v[2:3]
	v_fma_f64 v[4:5], v[72:73], v[78:79], v[6:7]
	v_fma_f64 v[6:7], -v[46:47], v[78:79], v[14:15]
	v_fma_f64 v[14:15], v[94:95], v[78:79], v[25:26]
	v_fma_f64 v[25:26], -v[50:51], v[78:79], v[27:28]
	v_fma_f64 v[27:28], v[96:97], v[78:79], v[31:32]
	v_fma_f64 v[12:13], -v[58:59], v[78:79], v[12:13]
	v_fma_f64 v[29:30], v[98:99], v[78:79], v[29:30]
	v_cvt_f64_f32_e32 v[31:32], v62
	v_cvt_f64_f32_e32 v[46:47], v63
	;; [unrolled: 1-line block ×6, first 2 shown]
	s_waitcnt vmcnt(1)
	v_fma_f64 v[2:3], v[33:34], v[80:81], v[2:3]
	v_fma_f64 v[4:5], v[35:36], v[80:81], v[4:5]
	v_fma_f64 v[6:7], v[44:45], v[80:81], v[6:7]
	v_fma_f64 v[14:15], v[48:49], v[80:81], v[14:15]
	v_fma_f64 v[25:26], v[52:53], v[80:81], v[25:26]
	v_fma_f64 v[27:28], v[56:57], v[80:81], v[27:28]
	v_fma_f64 v[12:13], v[60:61], v[80:81], v[12:13]
	v_fma_f64 v[29:30], v[64:65], v[80:81], v[29:30]
	v_fma_f64 v[2:3], -v[35:36], v[82:83], v[2:3]
	v_fma_f64 v[4:5], v[33:34], v[82:83], v[4:5]
	v_fma_f64 v[6:7], -v[48:49], v[82:83], v[6:7]
	v_fma_f64 v[14:15], v[44:45], v[82:83], v[14:15]
	;; [unrolled: 2-line block ×4, first 2 shown]
	s_waitcnt vmcnt(0)
	v_fma_f64 v[2:3], v[31:32], v[84:85], v[2:3]
	v_fma_f64 v[4:5], v[46:47], v[84:85], v[4:5]
	;; [unrolled: 1-line block ×8, first 2 shown]
	v_fma_f64 v[27:28], -v[46:47], v[86:87], v[2:3]
	v_fma_f64 v[14:15], v[31:32], v[86:87], v[4:5]
	v_fma_f64 v[33:34], -v[54:55], v[86:87], v[6:7]
	v_fma_f64 v[25:26], v[50:51], v[86:87], v[35:36]
	;; [unrolled: 2-line block ×4, first 2 shown]
	s_and_not1_b32 exec_lo, exec_lo, s10
	s_cbranch_execnz .LBB167_19
; %bb.20:
	s_or_b32 exec_lo, exec_lo, s10
.LBB167_21:
	s_delay_alu instid0(SALU_CYCLE_1) | instskip(NEXT) | instid1(SALU_CYCLE_1)
	s_or_b32 exec_lo, exec_lo, s7
	s_mov_b32 s7, exec_lo
	v_cmpx_lt_u32_e32 47, v0
	s_cbranch_execz .LBB167_25
; %bb.22:
	s_mov_b32 s10, 0
.LBB167_23:                             ; =>This Inner Loop Header: Depth=1
	v_ashrrev_i32_e32 v40, 31, v39
	s_delay_alu instid0(VALU_DEP_1) | instskip(SKIP_1) | instid1(VALU_DEP_2)
	v_lshlrev_b64 v[0:1], 2, v[39:40]
	v_add_nc_u32_e32 v39, 64, v39
	v_add_co_u32 v68, vcc_lo, s8, v0
	s_delay_alu instid0(VALU_DEP_3)
	v_add_co_ci_u32_e32 v69, vcc_lo, s9, v1, vcc_lo
	global_load_b32 v9, v[68:69], off
	s_clause 0x7
	global_load_b128 v[44:47], v[37:38], off
	global_load_b128 v[0:3], v[37:38], off offset:48
	global_load_b128 v[48:51], v[37:38], off offset:32
	;; [unrolled: 1-line block ×7, first 2 shown]
	s_clause 0x2
	global_load_b32 v40, v[68:69], off offset:64
	global_load_b32 v140, v[68:69], off offset:128
	global_load_b32 v142, v[68:69], off offset:192
	s_waitcnt vmcnt(11)
	v_subrev_nc_u32_e32 v9, s12, v9
	s_waitcnt vmcnt(10)
	v_cvt_f64_f32_e32 v[124:125], v44
	v_cvt_f64_f32_e32 v[44:45], v45
	s_waitcnt vmcnt(8)
	v_cvt_f64_f32_e32 v[126:127], v48
	v_cvt_f64_f32_e32 v[48:49], v49
	v_lshlrev_b32_e32 v68, 2, v9
	s_waitcnt vmcnt(6)
	v_cvt_f64_f32_e32 v[128:129], v52
	v_cvt_f64_f32_e32 v[52:53], v53
	s_waitcnt vmcnt(4)
	v_cvt_f64_f32_e32 v[130:131], v60
	s_waitcnt vmcnt(2)
	v_subrev_nc_u32_e32 v9, s12, v40
	v_ashrrev_i32_e32 v69, 31, v68
	v_cvt_f64_f32_e32 v[60:61], v61
	v_cvt_f64_f32_e32 v[134:135], v50
	;; [unrolled: 1-line block ×3, first 2 shown]
	v_lshlrev_b32_e32 v116, 2, v9
	v_lshlrev_b64 v[68:69], 4, v[68:69]
	v_cvt_f64_f32_e32 v[136:137], v54
	v_cvt_f64_f32_e32 v[54:55], v55
	;; [unrolled: 1-line block ×3, first 2 shown]
	v_ashrrev_i32_e32 v117, 31, v116
	v_cvt_f64_f32_e32 v[62:63], v63
	s_waitcnt lgkmcnt(0)
	v_add_co_u32 v80, vcc_lo, s4, v68
	v_add_co_ci_u32_e32 v81, vcc_lo, s5, v69, vcc_lo
	v_lshlrev_b64 v[116:117], 4, v[116:117]
	s_waitcnt vmcnt(1)
	v_subrev_nc_u32_e32 v9, s12, v140
	s_clause 0x3
	global_load_b128 v[68:71], v[80:81], off
	global_load_b128 v[72:75], v[80:81], off offset:16
	global_load_b128 v[76:79], v[80:81], off offset:32
	;; [unrolled: 1-line block ×3, first 2 shown]
	s_clause 0x7
	global_load_b128 v[84:87], v[37:38], off offset:2048
	global_load_b128 v[88:91], v[37:38], off offset:2080
	;; [unrolled: 1-line block ×8, first 2 shown]
	v_lshlrev_b32_e32 v140, 2, v9
	v_add_co_u32 v132, vcc_lo, s4, v116
	v_add_co_ci_u32_e32 v133, vcc_lo, s5, v117, vcc_lo
	s_delay_alu instid0(VALU_DEP_3)
	v_ashrrev_i32_e32 v141, 31, v140
	s_clause 0x1
	global_load_b128 v[116:119], v[132:133], off
	global_load_b128 v[120:123], v[132:133], off offset:16
	s_waitcnt vmcnt(14)
	v_subrev_nc_u32_e32 v9, s12, v142
	s_delay_alu instid0(VALU_DEP_1) | instskip(NEXT) | instid1(VALU_DEP_1)
	v_lshlrev_b32_e32 v142, 2, v9
	v_ashrrev_i32_e32 v143, 31, v142
	s_waitcnt vmcnt(13)
	v_fma_f64 v[27:28], v[124:125], v[68:69], v[27:28]
	v_fma_f64 v[14:15], v[44:45], v[68:69], v[14:15]
	;; [unrolled: 1-line block ×8, first 2 shown]
	v_cvt_f64_f32_e32 v[68:69], v46
	v_cvt_f64_f32_e32 v[46:47], v47
	v_fma_f64 v[27:28], -v[44:45], v[70:71], v[27:28]
	v_fma_f64 v[14:15], v[124:125], v[70:71], v[14:15]
	v_fma_f64 v[33:34], -v[48:49], v[70:71], v[33:34]
	v_fma_f64 v[25:26], v[126:127], v[70:71], v[25:26]
	;; [unrolled: 2-line block ×4, first 2 shown]
	v_cvt_f64_f32_e32 v[44:45], v4
	v_cvt_f64_f32_e32 v[4:5], v5
	;; [unrolled: 1-line block ×11, first 2 shown]
	v_add_co_u32 v126, vcc_lo, 0x1000, v37
	v_add_co_ci_u32_e32 v127, vcc_lo, 0, v38, vcc_lo
	v_add_co_u32 v37, s1, 0x2000, v37
	s_delay_alu instid0(VALU_DEP_1)
	v_add_co_ci_u32_e64 v38, s1, 0, v38, s1
	s_waitcnt vmcnt(12)
	v_fma_f64 v[27:28], v[68:69], v[72:73], v[27:28]
	v_fma_f64 v[14:15], v[46:47], v[72:73], v[14:15]
	;; [unrolled: 1-line block ×8, first 2 shown]
	v_cvt_f64_f32_e32 v[72:73], v2
	v_fma_f64 v[46:47], -v[46:47], v[74:75], v[27:28]
	v_fma_f64 v[68:69], v[68:69], v[74:75], v[14:15]
	v_fma_f64 v[33:34], -v[50:51], v[74:75], v[33:34]
	v_fma_f64 v[50:51], v[134:135], v[74:75], v[25:26]
	;; [unrolled: 2-line block ×4, first 2 shown]
	s_clause 0x1
	global_load_b128 v[12:15], v[132:133], off offset:32
	global_load_b128 v[25:28], v[132:133], off offset:48
	v_cvt_f64_f32_e32 v[74:75], v3
	s_waitcnt vmcnt(11)
	v_cvt_f64_f32_e32 v[132:133], v84
	v_cvt_f64_f32_e32 v[84:85], v85
	s_waitcnt vmcnt(10)
	v_cvt_f64_f32_e32 v[134:135], v88
	;; [unrolled: 3-line block ×4, first 2 shown]
	v_cvt_f64_f32_e32 v[96:97], v97
	v_fma_f64 v[46:47], v[44:45], v[76:77], v[46:47]
	v_fma_f64 v[62:63], v[4:5], v[76:77], v[68:69]
	;; [unrolled: 1-line block ×8, first 2 shown]
	v_cvt_f64_f32_e32 v[68:69], v6
	v_cvt_f64_f32_e32 v[76:77], v66
	;; [unrolled: 1-line block ×3, first 2 shown]
	v_fma_f64 v[46:47], -v[4:5], v[78:79], v[46:47]
	v_fma_f64 v[44:45], v[44:45], v[78:79], v[62:63]
	v_fma_f64 v[33:34], -v[0:1], v[78:79], v[33:34]
	v_fma_f64 v[48:49], v[48:49], v[78:79], v[50:51]
	;; [unrolled: 2-line block ×4, first 2 shown]
	s_clause 0x1
	global_load_b128 v[0:3], v[126:127], off
	global_load_b128 v[4:7], v[126:127], off offset:32
	v_fma_f64 v[56:57], v[68:69], v[80:81], v[46:47]
	v_fma_f64 v[60:61], v[70:71], v[80:81], v[44:45]
	;; [unrolled: 1-line block ×8, first 2 shown]
	s_clause 0x4
	global_load_b128 v[29:32], v[126:127], off offset:64
	global_load_b128 v[33:36], v[126:127], off offset:96
	;; [unrolled: 1-line block ×5, first 2 shown]
	v_fma_f64 v[70:71], -v[70:71], v[82:83], v[56:57]
	v_fma_f64 v[68:69], v[68:69], v[82:83], v[60:61]
	v_fma_f64 v[74:75], -v[74:75], v[82:83], v[62:63]
	v_fma_f64 v[64:65], v[72:73], v[82:83], v[64:65]
	;; [unrolled: 2-line block ×4, first 2 shown]
	v_lshlrev_b64 v[56:57], 4, v[140:141]
	v_cvt_f64_f32_e32 v[82:83], v86
	v_cvt_f64_f32_e32 v[86:87], v87
	;; [unrolled: 1-line block ×5, first 2 shown]
	v_add_co_u32 v80, vcc_lo, s4, v56
	v_add_co_ci_u32_e32 v81, vcc_lo, s5, v57, vcc_lo
	s_clause 0x1
	global_load_b128 v[56:59], v[80:81], off
	global_load_b128 v[60:63], v[80:81], off offset:16
	v_cvt_f64_f32_e32 v[98:99], v99
	s_waitcnt vmcnt(14)
	v_cvt_f64_f32_e32 v[130:131], v110
	v_cvt_f64_f32_e32 v[110:111], v111
	s_waitcnt vmcnt(12)
	v_fma_f64 v[70:71], v[132:133], v[116:117], v[70:71]
	v_fma_f64 v[68:69], v[84:85], v[116:117], v[68:69]
	;; [unrolled: 1-line block ×8, first 2 shown]
	v_cvt_f64_f32_e32 v[116:117], v90
	v_cvt_f64_f32_e32 v[90:91], v91
	v_fma_f64 v[70:71], -v[84:85], v[118:119], v[70:71]
	v_fma_f64 v[68:69], v[132:133], v[118:119], v[68:69]
	v_fma_f64 v[74:75], -v[88:89], v[118:119], v[74:75]
	v_fma_f64 v[64:65], v[134:135], v[118:119], v[64:65]
	;; [unrolled: 2-line block ×4, first 2 shown]
	v_cvt_f64_f32_e32 v[92:93], v104
	v_cvt_f64_f32_e32 v[96:97], v105
	v_cvt_f64_f32_e32 v[104:105], v100
	v_cvt_f64_f32_e32 v[100:101], v101
	v_cvt_f64_f32_e32 v[118:119], v112
	v_cvt_f64_f32_e32 v[112:113], v113
	s_waitcnt vmcnt(11)
	v_fma_f64 v[70:71], v[82:83], v[120:121], v[70:71]
	v_fma_f64 v[68:69], v[86:87], v[120:121], v[68:69]
	;; [unrolled: 1-line block ×8, first 2 shown]
	global_load_b128 v[64:67], v[126:127], off offset:16
	v_cvt_f64_f32_e32 v[120:121], v108
	v_cvt_f64_f32_e32 v[108:109], v109
	v_fma_f64 v[86:87], -v[86:87], v[122:123], v[70:71]
	v_fma_f64 v[82:83], v[82:83], v[122:123], v[68:69]
	v_fma_f64 v[90:91], -v[90:91], v[122:123], v[74:75]
	v_fma_f64 v[84:85], v[116:117], v[122:123], v[84:85]
	;; [unrolled: 2-line block ×4, first 2 shown]
	s_clause 0x1
	global_load_b128 v[68:71], v[80:81], off offset:32
	global_load_b128 v[72:75], v[80:81], off offset:48
	v_cvt_f64_f32_e32 v[116:117], v106
	v_cvt_f64_f32_e32 v[106:107], v107
	;; [unrolled: 1-line block ×6, first 2 shown]
	s_waitcnt vmcnt(13)
	v_fma_f64 v[80:81], v[92:93], v[12:13], v[86:87]
	v_fma_f64 v[82:83], v[96:97], v[12:13], v[82:83]
	;; [unrolled: 1-line block ×8, first 2 shown]
	v_fma_f64 v[78:79], -v[96:97], v[14:15], v[80:81]
	v_fma_f64 v[80:81], v[92:93], v[14:15], v[82:83]
	v_fma_f64 v[82:83], -v[100:101], v[14:15], v[86:87]
	v_fma_f64 v[84:85], v[104:105], v[14:15], v[84:85]
	;; [unrolled: 2-line block ×4, first 2 shown]
	s_waitcnt vmcnt(10)
	v_cvt_f64_f32_e32 v[136:137], v4
	v_cvt_f64_f32_e32 v[4:5], v5
	v_fma_f64 v[104:105], v[116:117], v[25:26], v[78:79]
	v_fma_f64 v[108:109], v[106:107], v[25:26], v[80:81]
	;; [unrolled: 1-line block ×8, first 2 shown]
	s_clause 0x7
	global_load_b128 v[12:15], v[126:127], off offset:2064
	global_load_b128 v[76:79], v[126:127], off offset:2048
	;; [unrolled: 1-line block ×8, first 2 shown]
	v_cvt_f64_f32_e32 v[126:127], v0
	v_cvt_f64_f32_e32 v[0:1], v1
	s_waitcnt vmcnt(17)
	v_cvt_f64_f32_e32 v[138:139], v29
	v_cvt_f64_f32_e32 v[29:30], v30
	s_waitcnt vmcnt(16)
	v_cvt_f64_f32_e32 v[140:141], v33
	v_cvt_f64_f32_e32 v[33:34], v34
	v_fma_f64 v[144:145], -v[106:107], v[27:28], v[104:105]
	v_fma_f64 v[108:109], v[116:117], v[27:28], v[108:109]
	v_fma_f64 v[112:113], -v[124:125], v[27:28], v[112:113]
	v_fma_f64 v[116:117], v[122:123], v[27:28], v[118:119]
	;; [unrolled: 2-line block ×4, first 2 shown]
	v_lshlrev_b64 v[25:26], 4, v[142:143]
	v_cvt_f64_f32_e32 v[128:129], v6
	v_cvt_f64_f32_e32 v[6:7], v7
	;; [unrolled: 1-line block ×5, first 2 shown]
	v_add_co_u32 v122, vcc_lo, s4, v25
	v_add_co_ci_u32_e32 v123, vcc_lo, s5, v26, vcc_lo
	s_clause 0x1
	global_load_b128 v[25:28], v[122:123], off
	global_load_b128 v[104:107], v[122:123], off offset:16
	v_cvt_f64_f32_e32 v[35:36], v36
	v_cmp_ge_i32_e32 vcc_lo, v39, v42
	s_or_b32 s10, vcc_lo, s10
	s_waitcnt vmcnt(14)
	v_fma_f64 v[124:125], v[126:127], v[56:57], v[144:145]
	v_fma_f64 v[108:109], v[0:1], v[56:57], v[108:109]
	;; [unrolled: 1-line block ×8, first 2 shown]
	v_cvt_f64_f32_e32 v[120:121], v2
	v_cvt_f64_f32_e32 v[2:3], v3
	v_fma_f64 v[0:1], -v[0:1], v[58:59], v[124:125]
	v_fma_f64 v[108:109], v[126:127], v[58:59], v[108:109]
	v_fma_f64 v[4:5], -v[4:5], v[58:59], v[112:113]
	v_fma_f64 v[112:113], v[136:137], v[58:59], v[116:117]
	;; [unrolled: 2-line block ×4, first 2 shown]
	v_cvt_f64_f32_e32 v[116:117], v48
	v_cvt_f64_f32_e32 v[48:49], v49
	s_waitcnt vmcnt(13)
	v_fma_f64 v[0:1], v[120:121], v[60:61], v[0:1]
	v_fma_f64 v[58:59], v[2:3], v[60:61], v[108:109]
	;; [unrolled: 1-line block ×8, first 2 shown]
	v_cvt_f64_f32_e32 v[112:113], v44
	v_cvt_f64_f32_e32 v[44:45], v45
	;; [unrolled: 1-line block ×4, first 2 shown]
	s_waitcnt vmcnt(12)
	v_cvt_f64_f32_e32 v[60:61], v64
	v_cvt_f64_f32_e32 v[64:65], v65
	v_fma_f64 v[118:119], -v[2:3], v[62:63], v[0:1]
	v_fma_f64 v[58:59], v[120:121], v[62:63], v[58:59]
	v_fma_f64 v[120:121], -v[6:7], v[62:63], v[4:5]
	v_fma_f64 v[108:109], v[128:129], v[62:63], v[108:109]
	;; [unrolled: 2-line block ×4, first 2 shown]
	s_clause 0x1
	global_load_b128 v[0:3], v[122:123], off offset:32
	global_load_b128 v[4:7], v[122:123], off offset:48
	v_cvt_f64_f32_e32 v[110:111], v46
	v_cvt_f64_f32_e32 v[46:47], v47
	s_waitcnt vmcnt(13)
	v_fma_f64 v[56:57], v[60:61], v[68:69], v[118:119]
	v_fma_f64 v[58:59], v[64:65], v[68:69], v[58:59]
	v_fma_f64 v[62:63], v[112:113], v[68:69], v[120:121]
	v_fma_f64 v[108:109], v[44:45], v[68:69], v[108:109]
	v_fma_f64 v[29:30], v[114:115], v[68:69], v[29:30]
	v_fma_f64 v[31:32], v[52:53], v[68:69], v[31:32]
	v_fma_f64 v[33:34], v[116:117], v[68:69], v[33:34]
	v_fma_f64 v[35:36], v[48:49], v[68:69], v[35:36]
	v_cvt_f64_f32_e32 v[68:69], v66
	v_cvt_f64_f32_e32 v[66:67], v67
	;; [unrolled: 1-line block ×6, first 2 shown]
	v_fma_f64 v[56:57], -v[64:65], v[70:71], v[56:57]
	v_fma_f64 v[58:59], v[60:61], v[70:71], v[58:59]
	v_fma_f64 v[44:45], -v[44:45], v[70:71], v[62:63]
	v_fma_f64 v[60:61], v[112:113], v[70:71], v[108:109]
	;; [unrolled: 2-line block ×4, first 2 shown]
	s_waitcnt vmcnt(12)
	v_fma_f64 v[48:49], v[68:69], v[72:73], v[56:57]
	v_fma_f64 v[52:53], v[66:67], v[72:73], v[58:59]
	;; [unrolled: 1-line block ×8, first 2 shown]
	s_waitcnt vmcnt(10)
	v_cvt_f64_f32_e32 v[58:59], v76
	v_cvt_f64_f32_e32 v[60:61], v77
	s_waitcnt vmcnt(8)
	v_cvt_f64_f32_e32 v[62:63], v84
	v_cvt_f64_f32_e32 v[64:65], v85
	s_waitcnt vmcnt(6)
	v_cvt_f64_f32_e32 v[70:71], v92
	v_cvt_f64_f32_e32 v[72:73], v93
	s_waitcnt vmcnt(4)
	v_cvt_f64_f32_e32 v[76:77], v100
	v_cvt_f64_f32_e32 v[84:85], v101
	v_fma_f64 v[48:49], -v[66:67], v[74:75], v[48:49]
	v_fma_f64 v[52:53], v[68:69], v[74:75], v[52:53]
	v_fma_f64 v[44:45], -v[46:47], v[74:75], v[44:45]
	v_fma_f64 v[46:47], v[110:111], v[74:75], v[56:57]
	;; [unrolled: 2-line block ×4, first 2 shown]
	v_cvt_f64_f32_e32 v[54:55], v86
	v_cvt_f64_f32_e32 v[56:57], v87
	;; [unrolled: 1-line block ×5, first 2 shown]
	s_waitcnt vmcnt(3)
	v_fma_f64 v[48:49], v[58:59], v[25:26], v[48:49]
	v_fma_f64 v[50:51], v[60:61], v[25:26], v[52:53]
	;; [unrolled: 1-line block ×8, first 2 shown]
	v_cvt_f64_f32_e32 v[35:36], v78
	v_cvt_f64_f32_e32 v[52:53], v79
	;; [unrolled: 1-line block ×3, first 2 shown]
	v_fma_f64 v[48:49], -v[60:61], v[27:28], v[48:49]
	v_fma_f64 v[50:51], v[58:59], v[27:28], v[50:51]
	v_fma_f64 v[44:45], -v[64:65], v[27:28], v[44:45]
	v_fma_f64 v[46:47], v[62:63], v[27:28], v[46:47]
	;; [unrolled: 2-line block ×4, first 2 shown]
	v_cvt_f64_f32_e32 v[58:59], v80
	v_cvt_f64_f32_e32 v[60:61], v81
	;; [unrolled: 1-line block ×6, first 2 shown]
	s_waitcnt vmcnt(2)
	v_fma_f64 v[27:28], v[35:36], v[104:105], v[48:49]
	v_fma_f64 v[48:49], v[52:53], v[104:105], v[50:51]
	;; [unrolled: 1-line block ×8, first 2 shown]
	v_cvt_f64_f32_e32 v[50:51], v12
	v_cvt_f64_f32_e32 v[12:13], v13
	v_fma_f64 v[27:28], -v[52:53], v[106:107], v[27:28]
	v_fma_f64 v[35:36], v[35:36], v[106:107], v[48:49]
	v_fma_f64 v[44:45], -v[56:57], v[106:107], v[44:45]
	v_fma_f64 v[46:47], v[54:55], v[106:107], v[46:47]
	;; [unrolled: 2-line block ×4, first 2 shown]
	v_cvt_f64_f32_e32 v[48:49], v82
	v_cvt_f64_f32_e32 v[52:53], v83
	;; [unrolled: 1-line block ×6, first 2 shown]
	s_waitcnt vmcnt(1)
	v_fma_f64 v[27:28], v[50:51], v[0:1], v[27:28]
	v_fma_f64 v[35:36], v[12:13], v[0:1], v[35:36]
	;; [unrolled: 1-line block ×8, first 2 shown]
	v_cvt_f64_f32_e32 v[25:26], v14
	v_cvt_f64_f32_e32 v[14:15], v15
	v_fma_f64 v[12:13], -v[12:13], v[2:3], v[27:28]
	v_fma_f64 v[27:28], v[50:51], v[2:3], v[35:36]
	v_fma_f64 v[35:36], -v[60:61], v[2:3], v[44:45]
	v_fma_f64 v[44:45], v[58:59], v[2:3], v[46:47]
	;; [unrolled: 2-line block ×4, first 2 shown]
	s_waitcnt vmcnt(0)
	v_fma_f64 v[2:3], v[25:26], v[4:5], v[12:13]
	v_fma_f64 v[12:13], v[14:15], v[4:5], v[27:28]
	;; [unrolled: 1-line block ×8, first 2 shown]
	v_fma_f64 v[27:28], -v[14:15], v[6:7], v[2:3]
	v_fma_f64 v[14:15], v[25:26], v[6:7], v[12:13]
	v_fma_f64 v[33:34], -v[52:53], v[6:7], v[35:36]
	v_fma_f64 v[25:26], v[48:49], v[6:7], v[44:45]
	;; [unrolled: 2-line block ×4, first 2 shown]
	s_and_not1_b32 exec_lo, exec_lo, s10
	s_cbranch_execnz .LBB167_23
; %bb.24:
	s_or_b32 exec_lo, exec_lo, s10
.LBB167_25:
	s_delay_alu instid0(SALU_CYCLE_1)
	s_or_b32 exec_lo, exec_lo, s7
.LBB167_26:
	s_delay_alu instid0(SALU_CYCLE_1)
	s_or_b32 exec_lo, exec_lo, s6
	s_cbranch_execz .LBB167_28
	s_branch .LBB167_39
.LBB167_27:
                                        ; implicit-def: $vgpr14_vgpr15
                                        ; implicit-def: $vgpr27_vgpr28
                                        ; implicit-def: $vgpr25_vgpr26
                                        ; implicit-def: $vgpr33_vgpr34
                                        ; implicit-def: $vgpr31_vgpr32
                                        ; implicit-def: $vgpr35_vgpr36
                                        ; implicit-def: $vgpr29_vgpr30
                                        ; implicit-def: $vgpr12_vgpr13
.LBB167_28:
	v_mov_b32_e32 v14, 0
	v_mov_b32_e32 v15, 0
	s_delay_alu instid0(VALU_DEP_1)
	v_dual_mov_b32 v12, v14 :: v_dual_mov_b32 v13, v15
	v_dual_mov_b32 v28, v15 :: v_dual_mov_b32 v27, v14
	;; [unrolled: 1-line block ×7, first 2 shown]
	s_and_saveexec_b32 s1, s0
	s_cbranch_execz .LBB167_38
; %bb.29:
	v_add_nc_u32_e32 v0, v43, v41
	v_mov_b32_e32 v12, 0
	v_mov_b32_e32 v13, 0
	v_not_b32_e32 v1, v43
	s_mov_b32 s7, 0
	v_subrev_nc_u32_e32 v0, s12, v0
	s_mov_b32 s6, exec_lo
	v_mov_b32_e32 v30, v13
	v_dual_mov_b32 v32, v13 :: v_dual_mov_b32 v31, v12
	s_delay_alu instid0(VALU_DEP_3) | instskip(SKIP_2) | instid1(VALU_DEP_3)
	v_dual_mov_b32 v29, v12 :: v_dual_add_nc_u32 v0, 16, v0
	v_dual_mov_b32 v34, v13 :: v_dual_mov_b32 v33, v12
	v_dual_mov_b32 v26, v13 :: v_dual_mov_b32 v25, v12
	v_max_i32_e32 v0, v0, v42
	v_dual_mov_b32 v28, v13 :: v_dual_mov_b32 v27, v12
	v_dual_mov_b32 v15, v13 :: v_dual_mov_b32 v14, v12
	s_delay_alu instid0(VALU_DEP_3) | instskip(NEXT) | instid1(VALU_DEP_1)
	v_add3_u32 v0, v0, s12, v1
	v_sub_nc_u32_e32 v0, v0, v41
	s_delay_alu instid0(VALU_DEP_1) | instskip(NEXT) | instid1(VALU_DEP_1)
	v_lshrrev_b32_e32 v1, 4, v0
	v_dual_mov_b32 v36, v13 :: v_dual_add_nc_u32 v1, 1, v1
	v_mov_b32_e32 v35, v12
	s_delay_alu instid0(VALU_DEP_2) | instskip(NEXT) | instid1(VALU_DEP_1)
	v_and_b32_e32 v1, 3, v1
	v_cmpx_ne_u32_e32 0, v1
	s_cbranch_execz .LBB167_33
; %bb.30:
	v_dual_mov_b32 v14, 0 :: v_dual_lshlrev_b32 v1, 7, v1
	v_mov_b32_e32 v15, 0
	s_delay_alu instid0(VALU_DEP_1)
	v_dual_mov_b32 v12, v14 :: v_dual_mov_b32 v13, v15
	v_dual_mov_b32 v28, v15 :: v_dual_mov_b32 v27, v14
	v_dual_mov_b32 v26, v15 :: v_dual_mov_b32 v25, v14
	v_dual_mov_b32 v34, v15 :: v_dual_mov_b32 v33, v14
	v_dual_mov_b32 v32, v15 :: v_dual_mov_b32 v31, v14
	v_dual_mov_b32 v36, v15 :: v_dual_mov_b32 v35, v14
	v_dual_mov_b32 v30, v15 :: v_dual_mov_b32 v29, v14
.LBB167_31:                             ; =>This Inner Loop Header: Depth=1
	v_ashrrev_i32_e32 v9, 31, v8
	v_add_nc_u32_e32 v1, 0xffffff80, v1
	s_delay_alu instid0(VALU_DEP_2) | instskip(NEXT) | instid1(VALU_DEP_2)
	v_lshlrev_b64 v[2:3], 2, v[8:9]
	v_cmp_eq_u32_e64 s0, 0, v1
	v_add_nc_u32_e32 v8, 16, v8
	s_delay_alu instid0(VALU_DEP_2) | instskip(NEXT) | instid1(VALU_DEP_3)
	s_or_b32 s7, s0, s7
	v_add_co_u32 v2, vcc_lo, s8, v2
	s_delay_alu instid0(VALU_DEP_4)
	v_add_co_ci_u32_e32 v3, vcc_lo, s9, v3, vcc_lo
	global_load_b32 v6, v[2:3], off
	s_clause 0x1
	global_load_b128 v[2:5], v[10:11], off
	global_load_b128 v[37:40], v[10:11], off offset:16
	s_waitcnt vmcnt(2)
	v_subrev_nc_u32_e32 v6, s12, v6
	s_waitcnt vmcnt(1)
	v_cvt_f64_f32_e32 v[83:84], v4
	v_cvt_f64_f32_e32 v[4:5], v5
	s_waitcnt vmcnt(0)
	v_cvt_f64_f32_e32 v[85:86], v37
	v_cvt_f64_f32_e32 v[37:38], v38
	v_lshlrev_b32_e32 v6, 2, v6
	v_cvt_f64_f32_e32 v[87:88], v39
	v_cvt_f64_f32_e32 v[39:40], v40
	s_delay_alu instid0(VALU_DEP_3) | instskip(NEXT) | instid1(VALU_DEP_1)
	v_ashrrev_i32_e32 v7, 31, v6
	v_lshlrev_b64 v[6:7], 4, v[6:7]
	s_waitcnt lgkmcnt(0)
	s_delay_alu instid0(VALU_DEP_1) | instskip(NEXT) | instid1(VALU_DEP_2)
	v_add_co_u32 v6, vcc_lo, s4, v6
	v_add_co_ci_u32_e32 v7, vcc_lo, s5, v7, vcc_lo
	s_clause 0x1
	global_load_b128 v[43:46], v[6:7], off
	global_load_b128 v[47:50], v[6:7], off offset:16
	s_clause 0x3
	global_load_b128 v[51:54], v[10:11], off offset:32
	global_load_b128 v[55:58], v[10:11], off offset:48
	;; [unrolled: 1-line block ×4, first 2 shown]
	s_clause 0x1
	global_load_b128 v[67:70], v[6:7], off offset:32
	global_load_b128 v[71:74], v[6:7], off offset:48
	s_clause 0x1
	global_load_b128 v[75:78], v[10:11], off offset:96
	global_load_b128 v[79:82], v[10:11], off offset:112
	v_cvt_f64_f32_e32 v[6:7], v2
	v_cvt_f64_f32_e32 v[2:3], v3
	v_add_co_u32 v10, vcc_lo, 0x800, v10
	v_add_co_ci_u32_e32 v11, vcc_lo, 0, v11, vcc_lo
	s_waitcnt vmcnt(9)
	s_delay_alu instid0(VALU_DEP_4) | instskip(NEXT) | instid1(VALU_DEP_4)
	v_fma_f64 v[27:28], v[6:7], v[43:44], v[27:28]
	v_fma_f64 v[14:15], v[2:3], v[43:44], v[14:15]
	v_fma_f64 v[33:34], v[83:84], v[43:44], v[33:34]
	v_fma_f64 v[25:26], v[4:5], v[43:44], v[25:26]
	v_fma_f64 v[35:36], v[85:86], v[43:44], v[35:36]
	v_fma_f64 v[31:32], v[37:38], v[43:44], v[31:32]
	v_fma_f64 v[12:13], v[87:88], v[43:44], v[12:13]
	v_fma_f64 v[29:30], v[39:40], v[43:44], v[29:30]
	s_waitcnt vmcnt(7)
	v_cvt_f64_f32_e32 v[43:44], v51
	v_cvt_f64_f32_e32 v[51:52], v52
	;; [unrolled: 1-line block ×4, first 2 shown]
	s_waitcnt vmcnt(6)
	v_cvt_f64_f32_e32 v[91:92], v55
	v_cvt_f64_f32_e32 v[55:56], v56
	;; [unrolled: 1-line block ×4, first 2 shown]
	v_fma_f64 v[2:3], -v[2:3], v[45:46], v[27:28]
	v_fma_f64 v[6:7], v[6:7], v[45:46], v[14:15]
	v_fma_f64 v[4:5], -v[4:5], v[45:46], v[33:34]
	v_fma_f64 v[14:15], v[83:84], v[45:46], v[25:26]
	;; [unrolled: 2-line block ×4, first 2 shown]
	s_waitcnt vmcnt(5)
	v_cvt_f64_f32_e32 v[31:32], v59
	v_cvt_f64_f32_e32 v[33:34], v60
	;; [unrolled: 1-line block ×4, first 2 shown]
	s_waitcnt vmcnt(4)
	v_cvt_f64_f32_e32 v[39:40], v63
	v_cvt_f64_f32_e32 v[45:46], v64
	;; [unrolled: 1-line block ×3, first 2 shown]
	s_waitcnt vmcnt(0)
	v_cvt_f64_f32_e32 v[61:62], v81
	v_cvt_f64_f32_e32 v[63:64], v82
	v_fma_f64 v[2:3], v[43:44], v[47:48], v[2:3]
	v_fma_f64 v[6:7], v[51:52], v[47:48], v[6:7]
	;; [unrolled: 1-line block ×8, first 2 shown]
	v_cvt_f64_f32_e32 v[47:48], v65
	v_fma_f64 v[2:3], -v[51:52], v[49:50], v[2:3]
	v_fma_f64 v[6:7], v[43:44], v[49:50], v[6:7]
	v_fma_f64 v[4:5], -v[53:54], v[49:50], v[4:5]
	v_fma_f64 v[14:15], v[89:90], v[49:50], v[14:15]
	;; [unrolled: 2-line block ×4, first 2 shown]
	v_cvt_f64_f32_e32 v[43:44], v75
	v_cvt_f64_f32_e32 v[49:50], v76
	v_cvt_f64_f32_e32 v[51:52], v77
	v_cvt_f64_f32_e32 v[53:54], v78
	v_cvt_f64_f32_e32 v[55:56], v79
	v_cvt_f64_f32_e32 v[57:58], v80
	v_fma_f64 v[2:3], v[31:32], v[67:68], v[2:3]
	v_fma_f64 v[6:7], v[33:34], v[67:68], v[6:7]
	;; [unrolled: 1-line block ×8, first 2 shown]
	v_fma_f64 v[2:3], -v[33:34], v[69:70], v[2:3]
	v_fma_f64 v[6:7], v[31:32], v[69:70], v[6:7]
	v_fma_f64 v[4:5], -v[37:38], v[69:70], v[4:5]
	v_fma_f64 v[14:15], v[35:36], v[69:70], v[14:15]
	;; [unrolled: 2-line block ×4, first 2 shown]
	v_fma_f64 v[2:3], v[43:44], v[71:72], v[2:3]
	v_fma_f64 v[6:7], v[49:50], v[71:72], v[6:7]
	;; [unrolled: 1-line block ×8, first 2 shown]
	v_fma_f64 v[27:28], -v[49:50], v[73:74], v[2:3]
	v_fma_f64 v[14:15], v[43:44], v[73:74], v[6:7]
	v_fma_f64 v[33:34], -v[53:54], v[73:74], v[4:5]
	v_fma_f64 v[25:26], v[51:52], v[73:74], v[31:32]
	;; [unrolled: 2-line block ×4, first 2 shown]
	s_and_not1_b32 exec_lo, exec_lo, s7
	s_cbranch_execnz .LBB167_31
; %bb.32:
	s_or_b32 exec_lo, exec_lo, s7
.LBB167_33:
	s_delay_alu instid0(SALU_CYCLE_1) | instskip(NEXT) | instid1(SALU_CYCLE_1)
	s_or_b32 exec_lo, exec_lo, s6
	s_mov_b32 s6, exec_lo
	v_cmpx_lt_u32_e32 47, v0
	s_cbranch_execz .LBB167_37
; %bb.34:
	s_mov_b32 s7, 0
.LBB167_35:                             ; =>This Inner Loop Header: Depth=1
	v_ashrrev_i32_e32 v9, 31, v8
	s_delay_alu instid0(VALU_DEP_1) | instskip(SKIP_1) | instid1(VALU_DEP_2)
	v_lshlrev_b64 v[0:1], 2, v[8:9]
	v_add_nc_u32_e32 v8, 64, v8
	v_add_co_u32 v0, vcc_lo, s8, v0
	s_delay_alu instid0(VALU_DEP_3)
	v_add_co_ci_u32_e32 v1, vcc_lo, s9, v1, vcc_lo
	global_load_b32 v2, v[0:1], off
	s_clause 0x1
	global_load_b128 v[37:40], v[10:11], off
	global_load_b128 v[43:46], v[10:11], off offset:16
	s_clause 0x2
	global_load_b32 v9, v[0:1], off offset:64
	global_load_b32 v5, v[0:1], off offset:128
	;; [unrolled: 1-line block ×3, first 2 shown]
	s_waitcnt vmcnt(5)
	v_subrev_nc_u32_e32 v0, s12, v2
	s_waitcnt vmcnt(4)
	v_cvt_f64_f32_e32 v[91:92], v38
	v_cvt_f64_f32_e32 v[93:94], v39
	s_waitcnt vmcnt(2)
	v_subrev_nc_u32_e32 v9, s12, v9
	v_cvt_f64_f32_e32 v[95:96], v40
	v_lshlrev_b32_e32 v0, 2, v0
	v_cvt_f64_f32_e32 v[97:98], v43
	v_cvt_f64_f32_e32 v[43:44], v44
	;; [unrolled: 1-line block ×4, first 2 shown]
	v_ashrrev_i32_e32 v1, 31, v0
	s_waitcnt vmcnt(1)
	v_subrev_nc_u32_e32 v5, s12, v5
	s_waitcnt vmcnt(0)
	v_subrev_nc_u32_e32 v4, s12, v4
	v_lshlrev_b64 v[0:1], 4, v[0:1]
	s_delay_alu instid0(VALU_DEP_3) | instskip(NEXT) | instid1(VALU_DEP_3)
	v_lshlrev_b32_e32 v5, 2, v5
	v_lshlrev_b32_e32 v4, 2, v4
	s_waitcnt lgkmcnt(0)
	s_delay_alu instid0(VALU_DEP_3) | instskip(NEXT) | instid1(VALU_DEP_4)
	v_add_co_u32 v6, vcc_lo, s4, v0
	v_add_co_ci_u32_e32 v7, vcc_lo, s5, v1, vcc_lo
	global_load_b128 v[0:3], v[6:7], off
	s_clause 0x1
	global_load_b128 v[47:50], v[10:11], off offset:32
	global_load_b128 v[51:54], v[10:11], off offset:48
	global_load_b128 v[55:58], v[6:7], off offset:16
	s_clause 0x1
	global_load_b128 v[59:62], v[10:11], off offset:64
	global_load_b128 v[63:66], v[10:11], off offset:80
	global_load_b128 v[67:70], v[6:7], off offset:32
	;; [unrolled: 4-line block ×3, first 2 shown]
	s_clause 0x1
	global_load_b128 v[83:86], v[10:11], off offset:2048
	global_load_b128 v[87:90], v[10:11], off offset:2064
	v_cvt_f64_f32_e32 v[6:7], v37
	v_lshlrev_b32_e32 v37, 2, v9
	s_delay_alu instid0(VALU_DEP_1) | instskip(NEXT) | instid1(VALU_DEP_1)
	v_ashrrev_i32_e32 v38, 31, v37
	v_lshlrev_b64 v[37:38], 4, v[37:38]
	s_delay_alu instid0(VALU_DEP_1) | instskip(NEXT) | instid1(VALU_DEP_2)
	v_add_co_u32 v101, vcc_lo, s4, v37
	v_add_co_ci_u32_e32 v102, vcc_lo, s5, v38, vcc_lo
	global_load_b128 v[37:40], v[101:102], off
	s_waitcnt vmcnt(12)
	v_fma_f64 v[105:106], v[91:92], v[0:1], v[14:15]
	v_fma_f64 v[103:104], v[6:7], v[0:1], v[27:28]
	;; [unrolled: 1-line block ×8, first 2 shown]
	s_waitcnt vmcnt(11)
	v_cvt_f64_f32_e32 v[111:112], v47
	v_cvt_f64_f32_e32 v[47:48], v48
	s_clause 0x1
	global_load_b128 v[12:15], v[10:11], off offset:2080
	global_load_b128 v[25:28], v[10:11], off offset:2096
	v_cvt_f64_f32_e32 v[113:114], v49
	v_cvt_f64_f32_e32 v[49:50], v50
	s_waitcnt vmcnt(12)
	v_cvt_f64_f32_e32 v[115:116], v51
	v_cvt_f64_f32_e32 v[51:52], v52
	;; [unrolled: 1-line block ×4, first 2 shown]
	v_fma_f64 v[6:7], v[6:7], v[2:3], v[105:106]
	v_fma_f64 v[91:92], -v[91:92], v[2:3], v[103:104]
	v_fma_f64 v[33:34], -v[95:96], v[2:3], v[33:34]
	v_fma_f64 v[93:94], v[93:94], v[2:3], v[107:108]
	v_fma_f64 v[35:36], -v[43:44], v[2:3], v[35:36]
	v_fma_f64 v[43:44], v[97:98], v[2:3], v[31:32]
	;; [unrolled: 2-line block ×3, first 2 shown]
	global_load_b128 v[29:32], v[101:102], off offset:16
	s_waitcnt vmcnt(11)
	v_cvt_f64_f32_e32 v[103:104], v59
	v_cvt_f64_f32_e32 v[59:60], v60
	;; [unrolled: 1-line block ×4, first 2 shown]
	s_waitcnt vmcnt(10)
	v_cvt_f64_f32_e32 v[107:108], v63
	v_cvt_f64_f32_e32 v[63:64], v64
	;; [unrolled: 1-line block ×4, first 2 shown]
	v_fma_f64 v[6:7], v[47:48], v[55:56], v[6:7]
	v_fma_f64 v[2:3], v[111:112], v[55:56], v[91:92]
	;; [unrolled: 1-line block ×8, first 2 shown]
	s_clause 0x1
	global_load_b128 v[33:36], v[10:11], off offset:2112
	global_load_b128 v[43:46], v[10:11], off offset:2128
	v_fma_f64 v[6:7], v[111:112], v[57:58], v[6:7]
	v_fma_f64 v[2:3], -v[47:48], v[57:58], v[2:3]
	v_fma_f64 v[55:56], -v[49:50], v[57:58], v[91:92]
	v_fma_f64 v[91:92], v[113:114], v[57:58], v[93:94]
	v_fma_f64 v[51:52], -v[51:52], v[57:58], v[95:96]
	v_fma_f64 v[93:94], v[115:116], v[57:58], v[97:98]
	;; [unrolled: 2-line block ×3, first 2 shown]
	global_load_b128 v[47:50], v[101:102], off offset:32
	s_waitcnt vmcnt(11)
	v_cvt_f64_f32_e32 v[111:112], v71
	v_cvt_f64_f32_e32 v[71:72], v72
	;; [unrolled: 1-line block ×4, first 2 shown]
	s_waitcnt vmcnt(10)
	v_cvt_f64_f32_e32 v[115:116], v75
	v_cvt_f64_f32_e32 v[75:76], v76
	;; [unrolled: 1-line block ×4, first 2 shown]
	v_fma_f64 v[6:7], v[59:60], v[67:68], v[6:7]
	v_fma_f64 v[2:3], v[103:104], v[67:68], v[2:3]
	;; [unrolled: 1-line block ×8, first 2 shown]
	s_clause 0x1
	global_load_b128 v[51:54], v[10:11], off offset:2144
	global_load_b128 v[55:58], v[10:11], off offset:2160
	v_fma_f64 v[6:7], v[103:104], v[69:70], v[6:7]
	v_fma_f64 v[2:3], -v[59:60], v[69:70], v[2:3]
	v_fma_f64 v[67:68], -v[61:62], v[69:70], v[95:96]
	v_fma_f64 v[91:92], v[105:106], v[69:70], v[91:92]
	v_fma_f64 v[95:96], -v[63:64], v[69:70], v[97:98]
	v_fma_f64 v[93:94], v[107:108], v[69:70], v[93:94]
	;; [unrolled: 2-line block ×3, first 2 shown]
	global_load_b128 v[59:62], v[101:102], off offset:48
	v_add_co_u32 v0, vcc_lo, 0x1000, v10
	v_add_co_ci_u32_e32 v1, vcc_lo, 0, v11, vcc_lo
	s_waitcnt vmcnt(11)
	v_cvt_f64_f32_e32 v[103:104], v85
	v_cvt_f64_f32_e32 v[85:86], v86
	s_waitcnt vmcnt(10)
	v_cvt_f64_f32_e32 v[105:106], v87
	global_load_b128 v[63:66], v[0:1], off
	v_cvt_f64_f32_e32 v[87:88], v88
	v_cvt_f64_f32_e32 v[107:108], v89
	;; [unrolled: 1-line block ×3, first 2 shown]
	v_add_co_u32 v10, s0, 0x2000, v10
	s_delay_alu instid0(VALU_DEP_1)
	v_add_co_ci_u32_e64 v11, s0, 0, v11, s0
	v_fma_f64 v[6:7], v[71:72], v[79:80], v[6:7]
	v_fma_f64 v[2:3], v[111:112], v[79:80], v[2:3]
	;; [unrolled: 1-line block ×8, first 2 shown]
	global_load_b128 v[67:70], v[0:1], off offset:16
	v_fma_f64 v[109:110], v[111:112], v[81:82], v[6:7]
	v_ashrrev_i32_e32 v6, 31, v5
	v_fma_f64 v[2:3], -v[71:72], v[81:82], v[2:3]
	v_fma_f64 v[99:100], -v[73:74], v[81:82], v[99:100]
	v_fma_f64 v[91:92], v[113:114], v[81:82], v[91:92]
	v_fma_f64 v[75:76], -v[75:76], v[81:82], v[95:96]
	v_lshlrev_b64 v[5:6], 4, v[5:6]
	v_fma_f64 v[93:94], v[115:116], v[81:82], v[93:94]
	v_fma_f64 v[77:78], -v[77:78], v[81:82], v[97:98]
	v_fma_f64 v[79:80], v[117:118], v[81:82], v[79:80]
	s_delay_alu instid0(VALU_DEP_4)
	v_add_co_u32 v5, vcc_lo, s4, v5
	v_add_co_ci_u32_e32 v6, vcc_lo, s5, v6, vcc_lo
	global_load_b128 v[71:74], v[5:6], off
	v_cvt_f64_f32_e32 v[101:102], v83
	v_cvt_f64_f32_e32 v[83:84], v84
	s_waitcnt vmcnt(12)
	v_fma_f64 v[97:98], v[103:104], v[37:38], v[99:100]
	v_fma_f64 v[91:92], v[85:86], v[37:38], v[91:92]
	;; [unrolled: 1-line block ×8, first 2 shown]
	s_clause 0x1
	global_load_b128 v[75:78], v[0:1], off offset:32
	global_load_b128 v[79:82], v[0:1], off offset:48
	s_waitcnt vmcnt(13)
	v_cvt_f64_f32_e32 v[111:112], v12
	v_cvt_f64_f32_e32 v[113:114], v13
	;; [unrolled: 1-line block ×4, first 2 shown]
	s_waitcnt vmcnt(12)
	v_cvt_f64_f32_e32 v[119:120], v25
	v_cvt_f64_f32_e32 v[121:122], v26
	;; [unrolled: 1-line block ×4, first 2 shown]
	global_load_b128 v[12:15], v[5:6], off offset:16
	v_fma_f64 v[27:28], -v[85:86], v[39:40], v[97:98]
	v_fma_f64 v[85:86], -v[87:88], v[39:40], v[99:100]
	v_fma_f64 v[87:88], v[105:106], v[39:40], v[93:94]
	v_fma_f64 v[2:3], -v[83:84], v[39:40], v[2:3]
	v_fma_f64 v[25:26], v[101:102], v[39:40], v[95:96]
	v_fma_f64 v[83:84], v[103:104], v[39:40], v[91:92]
	v_fma_f64 v[89:90], -v[89:90], v[39:40], v[109:110]
	v_fma_f64 v[37:38], v[107:108], v[39:40], v[37:38]
	s_waitcnt vmcnt(12)
	v_fma_f64 v[93:94], v[115:116], v[29:30], v[27:28]
	v_fma_f64 v[85:86], v[119:120], v[29:30], v[85:86]
	;; [unrolled: 1-line block ×8, first 2 shown]
	s_clause 0x1
	global_load_b128 v[25:28], v[0:1], off offset:64
	global_load_b128 v[37:40], v[0:1], off offset:80
	s_waitcnt vmcnt(13)
	v_cvt_f64_f32_e32 v[95:96], v33
	v_cvt_f64_f32_e32 v[97:98], v34
	v_cvt_f64_f32_e32 v[99:100], v35
	v_cvt_f64_f32_e32 v[101:102], v36
	s_waitcnt vmcnt(12)
	v_cvt_f64_f32_e32 v[103:104], v43
	v_cvt_f64_f32_e32 v[105:106], v44
	;; [unrolled: 1-line block ×4, first 2 shown]
	v_fma_f64 v[35:36], -v[117:118], v[31:32], v[93:94]
	v_fma_f64 v[45:46], -v[121:122], v[31:32], v[85:86]
	;; [unrolled: 1-line block ×3, first 2 shown]
	v_fma_f64 v[33:34], v[111:112], v[31:32], v[91:92]
	v_fma_f64 v[43:44], v[115:116], v[31:32], v[83:84]
	;; [unrolled: 1-line block ×3, first 2 shown]
	v_fma_f64 v[85:86], -v[125:126], v[31:32], v[89:90]
	v_fma_f64 v[87:88], v[123:124], v[31:32], v[29:30]
	global_load_b128 v[29:32], v[5:6], off offset:32
	s_waitcnt vmcnt(12)
	v_fma_f64 v[91:92], v[99:100], v[47:48], v[35:36]
	v_fma_f64 v[111:112], v[103:104], v[47:48], v[45:46]
	;; [unrolled: 1-line block ×8, first 2 shown]
	s_clause 0x1
	global_load_b128 v[33:36], v[0:1], off offset:96
	global_load_b128 v[43:46], v[0:1], off offset:112
	s_waitcnt vmcnt(13)
	v_cvt_f64_f32_e32 v[87:88], v51
	v_cvt_f64_f32_e32 v[113:114], v52
	;; [unrolled: 1-line block ×4, first 2 shown]
	s_waitcnt vmcnt(12)
	v_cvt_f64_f32_e32 v[119:120], v55
	v_cvt_f64_f32_e32 v[121:122], v56
	;; [unrolled: 1-line block ×4, first 2 shown]
	v_fma_f64 v[53:54], -v[101:102], v[49:50], v[91:92]
	v_fma_f64 v[57:58], -v[105:106], v[49:50], v[111:112]
	;; [unrolled: 1-line block ×3, first 2 shown]
	v_fma_f64 v[51:52], v[95:96], v[49:50], v[89:90]
	v_fma_f64 v[55:56], v[99:100], v[49:50], v[93:94]
	;; [unrolled: 1-line block ×3, first 2 shown]
	v_fma_f64 v[85:86], -v[109:110], v[49:50], v[85:86]
	v_fma_f64 v[89:90], v[107:108], v[49:50], v[47:48]
	global_load_b128 v[47:50], v[5:6], off offset:48
	s_waitcnt vmcnt(11)
	v_cvt_f64_f32_e32 v[97:98], v64
	v_cvt_f64_f32_e32 v[99:100], v65
	;; [unrolled: 1-line block ×3, first 2 shown]
	v_fma_f64 v[91:92], v[115:116], v[59:60], v[53:54]
	v_fma_f64 v[95:96], v[119:120], v[59:60], v[57:58]
	;; [unrolled: 1-line block ×8, first 2 shown]
	s_clause 0x1
	global_load_b128 v[51:54], v[0:1], off offset:2048
	global_load_b128 v[55:58], v[0:1], off offset:2064
	v_cvt_f64_f32_e32 v[89:90], v63
	s_waitcnt vmcnt(12)
	v_cvt_f64_f32_e32 v[103:104], v67
	v_cvt_f64_f32_e32 v[67:68], v68
	;; [unrolled: 1-line block ×4, first 2 shown]
	v_fma_f64 v[65:66], -v[117:118], v[61:62], v[91:92]
	v_fma_f64 v[91:92], -v[121:122], v[61:62], v[95:96]
	;; [unrolled: 1-line block ×3, first 2 shown]
	v_fma_f64 v[6:7], v[87:88], v[61:62], v[5:6]
	v_fma_f64 v[87:88], v[115:116], v[61:62], v[93:94]
	;; [unrolled: 1-line block ×3, first 2 shown]
	v_fma_f64 v[85:86], -v[125:126], v[61:62], v[85:86]
	v_fma_f64 v[59:60], v[123:124], v[61:62], v[59:60]
	v_ashrrev_i32_e32 v5, 31, v4
	s_delay_alu instid0(VALU_DEP_1) | instskip(NEXT) | instid1(VALU_DEP_1)
	v_lshlrev_b64 v[2:3], 4, v[4:5]
	v_add_co_u32 v93, vcc_lo, s4, v2
	s_delay_alu instid0(VALU_DEP_2)
	v_add_co_ci_u32_e32 v94, vcc_lo, s5, v3, vcc_lo
	s_waitcnt vmcnt(11)
	v_fma_f64 v[107:108], v[99:100], v[71:72], v[65:66]
	v_cmp_ge_i32_e32 vcc_lo, v8, v42
	v_fma_f64 v[91:92], v[103:104], v[71:72], v[91:92]
	global_load_b128 v[2:5], v[93:94], off
	s_or_b32 s7, vcc_lo, s7
	v_fma_f64 v[95:96], v[89:90], v[71:72], v[63:64]
	v_fma_f64 v[6:7], v[97:98], v[71:72], v[6:7]
	;; [unrolled: 1-line block ×6, first 2 shown]
	s_clause 0x1
	global_load_b128 v[59:62], v[0:1], off offset:2080
	global_load_b128 v[63:66], v[0:1], off offset:2096
	s_waitcnt vmcnt(13)
	v_cvt_f64_f32_e32 v[109:110], v75
	v_cvt_f64_f32_e32 v[111:112], v76
	v_cvt_f64_f32_e32 v[113:114], v77
	v_cvt_f64_f32_e32 v[115:116], v78
	s_waitcnt vmcnt(12)
	v_cvt_f64_f32_e32 v[117:118], v79
	v_cvt_f64_f32_e32 v[79:80], v80
	;; [unrolled: 1-line block ×4, first 2 shown]
	v_fma_f64 v[77:78], -v[101:102], v[73:74], v[107:108]
	v_fma_f64 v[75:76], -v[97:98], v[73:74], v[95:96]
	v_fma_f64 v[6:7], v[89:90], v[73:74], v[6:7]
	v_fma_f64 v[87:88], v[99:100], v[73:74], v[87:88]
	v_fma_f64 v[89:90], -v[67:68], v[73:74], v[91:92]
	v_fma_f64 v[83:84], v[103:104], v[73:74], v[83:84]
	v_fma_f64 v[85:86], -v[69:70], v[73:74], v[85:86]
	v_fma_f64 v[71:72], v[105:106], v[73:74], v[71:72]
	global_load_b128 v[67:70], v[93:94], off offset:16
	s_waitcnt vmcnt(12)
	v_fma_f64 v[95:96], v[113:114], v[12:13], v[77:78]
	v_fma_f64 v[91:92], v[109:110], v[12:13], v[75:76]
	;; [unrolled: 1-line block ×8, first 2 shown]
	s_clause 0x1
	global_load_b128 v[71:74], v[0:1], off offset:2112
	global_load_b128 v[75:78], v[0:1], off offset:2128
	s_waitcnt vmcnt(13)
	v_cvt_f64_f32_e32 v[97:98], v25
	v_cvt_f64_f32_e32 v[99:100], v26
	;; [unrolled: 1-line block ×4, first 2 shown]
	s_waitcnt vmcnt(12)
	v_cvt_f64_f32_e32 v[105:106], v37
	v_cvt_f64_f32_e32 v[107:108], v38
	;; [unrolled: 1-line block ×4, first 2 shown]
	v_fma_f64 v[27:28], -v[115:116], v[14:15], v[95:96]
	v_fma_f64 v[25:26], -v[111:112], v[14:15], v[91:92]
	v_fma_f64 v[6:7], v[109:110], v[14:15], v[6:7]
	v_fma_f64 v[37:38], v[113:114], v[14:15], v[87:88]
	v_fma_f64 v[39:40], -v[79:80], v[14:15], v[89:90]
	v_fma_f64 v[79:80], v[117:118], v[14:15], v[83:84]
	v_fma_f64 v[81:82], -v[81:82], v[14:15], v[85:86]
	v_fma_f64 v[83:84], v[119:120], v[14:15], v[12:13]
	global_load_b128 v[12:15], v[93:94], off offset:32
	s_waitcnt vmcnt(12)
	v_fma_f64 v[87:88], v[101:102], v[29:30], v[27:28]
	v_fma_f64 v[85:86], v[97:98], v[29:30], v[25:26]
	;; [unrolled: 1-line block ×8, first 2 shown]
	s_clause 0x1
	global_load_b128 v[25:28], v[0:1], off offset:2144
	global_load_b128 v[37:40], v[0:1], off offset:2160
	s_waitcnt vmcnt(13)
	v_cvt_f64_f32_e32 v[0:1], v33
	v_cvt_f64_f32_e32 v[33:34], v34
	;; [unrolled: 1-line block ×4, first 2 shown]
	s_waitcnt vmcnt(12)
	v_cvt_f64_f32_e32 v[95:96], v43
	v_cvt_f64_f32_e32 v[109:110], v44
	;; [unrolled: 1-line block ×4, first 2 shown]
	v_fma_f64 v[87:88], -v[103:104], v[31:32], v[87:88]
	global_load_b128 v[43:46], v[93:94], off offset:48
	v_fma_f64 v[85:86], -v[99:100], v[31:32], v[85:86]
	v_fma_f64 v[6:7], v[97:98], v[31:32], v[6:7]
	v_fma_f64 v[89:90], v[101:102], v[31:32], v[89:90]
	v_fma_f64 v[91:92], -v[107:108], v[31:32], v[91:92]
	v_fma_f64 v[79:80], v[105:106], v[31:32], v[79:80]
	v_fma_f64 v[81:82], -v[123:124], v[31:32], v[81:82]
	v_fma_f64 v[29:30], v[121:122], v[31:32], v[29:30]
	s_waitcnt vmcnt(12)
	v_fma_f64 v[31:32], v[0:1], v[47:48], v[85:86]
	v_fma_f64 v[6:7], v[33:34], v[47:48], v[6:7]
	v_fma_f64 v[85:86], v[83:84], v[47:48], v[87:88]
	v_fma_f64 v[87:88], v[35:36], v[47:48], v[89:90]
	v_fma_f64 v[89:90], v[95:96], v[47:48], v[91:92]
	v_fma_f64 v[79:80], v[109:110], v[47:48], v[79:80]
	v_fma_f64 v[81:82], v[111:112], v[47:48], v[81:82]
	v_fma_f64 v[29:30], v[113:114], v[47:48], v[29:30]
	s_waitcnt vmcnt(11)
	v_cvt_f64_f32_e32 v[47:48], v51
	v_cvt_f64_f32_e32 v[51:52], v52
	v_cvt_f64_f32_e32 v[91:92], v53
	v_cvt_f64_f32_e32 v[53:54], v54
	s_waitcnt vmcnt(10)
	v_cvt_f64_f32_e32 v[93:94], v55
	v_cvt_f64_f32_e32 v[55:56], v56
	v_cvt_f64_f32_e32 v[97:98], v57
	v_cvt_f64_f32_e32 v[57:58], v58
	v_fma_f64 v[31:32], -v[33:34], v[49:50], v[31:32]
	v_fma_f64 v[0:1], v[0:1], v[49:50], v[6:7]
	v_fma_f64 v[6:7], -v[35:36], v[49:50], v[85:86]
	v_fma_f64 v[33:34], v[83:84], v[49:50], v[87:88]
	v_fma_f64 v[35:36], -v[109:110], v[49:50], v[89:90]
	v_fma_f64 v[79:80], v[95:96], v[49:50], v[79:80]
	v_fma_f64 v[81:82], -v[113:114], v[49:50], v[81:82]
	v_fma_f64 v[29:30], v[111:112], v[49:50], v[29:30]
	s_waitcnt vmcnt(9)
	v_fma_f64 v[31:32], v[47:48], v[2:3], v[31:32]
	v_fma_f64 v[0:1], v[51:52], v[2:3], v[0:1]
	v_fma_f64 v[6:7], v[91:92], v[2:3], v[6:7]
	v_fma_f64 v[33:34], v[53:54], v[2:3], v[33:34]
	v_fma_f64 v[35:36], v[93:94], v[2:3], v[35:36]
	v_fma_f64 v[49:50], v[55:56], v[2:3], v[79:80]
	v_fma_f64 v[79:80], v[97:98], v[2:3], v[81:82]
	v_fma_f64 v[2:3], v[57:58], v[2:3], v[29:30]
	s_waitcnt vmcnt(8)
	v_cvt_f64_f32_e32 v[29:30], v59
	v_cvt_f64_f32_e32 v[59:60], v60
	v_cvt_f64_f32_e32 v[81:82], v61
	v_cvt_f64_f32_e32 v[61:62], v62
	s_waitcnt vmcnt(7)
	v_cvt_f64_f32_e32 v[83:84], v63
	v_cvt_f64_f32_e32 v[63:64], v64
	v_cvt_f64_f32_e32 v[85:86], v65
	v_cvt_f64_f32_e32 v[65:66], v66
	v_fma_f64 v[31:32], -v[51:52], v[4:5], v[31:32]
	v_fma_f64 v[0:1], v[47:48], v[4:5], v[0:1]
	v_fma_f64 v[6:7], -v[53:54], v[4:5], v[6:7]
	;; [unrolled: 27-line block ×4, first 2 shown]
	v_fma_f64 v[27:28], v[53:54], v[14:15], v[29:30]
	v_fma_f64 v[29:30], -v[67:68], v[14:15], v[31:32]
	v_fma_f64 v[31:32], v[57:58], v[14:15], v[33:34]
	v_fma_f64 v[33:34], -v[73:74], v[14:15], v[35:36]
	v_fma_f64 v[2:3], v[71:72], v[14:15], v[2:3]
	s_waitcnt vmcnt(0)
	v_fma_f64 v[4:5], v[12:13], v[43:44], v[4:5]
	v_fma_f64 v[0:1], v[25:26], v[43:44], v[0:1]
	;; [unrolled: 1-line block ×8, first 2 shown]
	v_fma_f64 v[27:28], -v[25:26], v[45:46], v[4:5]
	v_fma_f64 v[14:15], v[12:13], v[45:46], v[0:1]
	v_fma_f64 v[33:34], -v[59:60], v[45:46], v[6:7]
	v_fma_f64 v[25:26], v[47:48], v[45:46], v[35:36]
	;; [unrolled: 2-line block ×4, first 2 shown]
	s_and_not1_b32 exec_lo, exec_lo, s7
	s_cbranch_execnz .LBB167_35
; %bb.36:
	s_or_b32 exec_lo, exec_lo, s7
.LBB167_37:
	s_delay_alu instid0(SALU_CYCLE_1)
	s_or_b32 exec_lo, exec_lo, s6
.LBB167_38:
	s_delay_alu instid0(SALU_CYCLE_1)
	s_or_b32 exec_lo, exec_lo, s1
.LBB167_39:
	v_mbcnt_lo_u32_b32 v42, -1, 0
	s_delay_alu instid0(VALU_DEP_1) | instskip(NEXT) | instid1(VALU_DEP_1)
	v_xor_b32_e32 v0, 8, v42
	v_cmp_gt_i32_e32 vcc_lo, 32, v0
	v_cndmask_b32_e32 v0, v42, v0, vcc_lo
	s_delay_alu instid0(VALU_DEP_1)
	v_lshlrev_b32_e32 v40, 2, v0
	ds_bpermute_b32 v6, v40, v25
	ds_bpermute_b32 v7, v40, v26
	s_waitcnt lgkmcnt(0)
	v_add_f64 v[6:7], v[25:26], v[6:7]
	v_xor_b32_e32 v25, 4, v42
	s_delay_alu instid0(VALU_DEP_1)
	v_cmp_gt_i32_e32 vcc_lo, 32, v25
	v_cndmask_b32_e32 v25, v42, v25, vcc_lo
	ds_bpermute_b32 v0, v40, v27
	ds_bpermute_b32 v1, v40, v28
	;; [unrolled: 1-line block ×14, first 2 shown]
	s_waitcnt lgkmcnt(12)
	v_add_f64 v[0:1], v[27:28], v[0:1]
	s_waitcnt lgkmcnt(10)
	v_add_f64 v[2:3], v[14:15], v[2:3]
	;; [unrolled: 2-line block ×7, first 2 shown]
	v_lshlrev_b32_e32 v40, 2, v25
	ds_bpermute_b32 v31, v40, v6
	ds_bpermute_b32 v32, v40, v7
	;; [unrolled: 1-line block ×16, first 2 shown]
	s_waitcnt lgkmcnt(14)
	v_add_f64 v[6:7], v[6:7], v[31:32]
	s_waitcnt lgkmcnt(12)
	v_add_f64 v[0:1], v[0:1], v[25:26]
	;; [unrolled: 2-line block ×8, first 2 shown]
	v_xor_b32_e32 v14, 2, v42
	s_delay_alu instid0(VALU_DEP_1) | instskip(SKIP_1) | instid1(VALU_DEP_1)
	v_cmp_gt_i32_e32 vcc_lo, 32, v14
	v_cndmask_b32_e32 v14, v42, v14, vcc_lo
	v_lshlrev_b32_e32 v40, 2, v14
	ds_bpermute_b32 v31, v40, v6
	ds_bpermute_b32 v32, v40, v7
	;; [unrolled: 1-line block ×16, first 2 shown]
	s_waitcnt lgkmcnt(12)
	v_add_f64 v[0:1], v[0:1], v[14:15]
	v_add_f64 v[14:15], v[6:7], v[31:32]
	s_waitcnt lgkmcnt(10)
	v_add_f64 v[27:28], v[2:3], v[27:28]
	s_waitcnt lgkmcnt(8)
	;; [unrolled: 2-line block ×5, first 2 shown]
	v_add_f64 v[6:7], v[12:13], v[37:38]
	v_xor_b32_e32 v12, 1, v42
	s_waitcnt lgkmcnt(0)
	v_add_f64 v[8:9], v[25:26], v[39:40]
	s_delay_alu instid0(VALU_DEP_2) | instskip(SKIP_2) | instid1(VALU_DEP_2)
	v_cmp_gt_i32_e32 vcc_lo, 32, v12
	v_cndmask_b32_e32 v12, v42, v12, vcc_lo
	v_cmp_eq_u32_e32 vcc_lo, 15, v41
	v_lshlrev_b32_e32 v34, 2, v12
	ds_bpermute_b32 v12, v34, v0
	ds_bpermute_b32 v13, v34, v1
	;; [unrolled: 1-line block ×16, first 2 shown]
	s_and_b32 exec_lo, exec_lo, vcc_lo
	s_cbranch_execz .LBB167_12
; %bb.40:
	s_waitcnt lgkmcnt(12)
	v_add_f64 v[27:28], v[27:28], v[39:40]
	s_waitcnt lgkmcnt(8)
	v_add_f64 v[14:15], v[14:15], v[37:38]
	s_waitcnt lgkmcnt(4)
	v_add_f64 v[10:11], v[10:11], v[35:36]
	s_waitcnt lgkmcnt(0)
	v_add_f64 v[8:9], v[8:9], v[33:34]
	v_add_f64 v[0:1], v[0:1], v[12:13]
	v_add_f64 v[2:3], v[2:3], v[25:26]
	;; [unrolled: 1-line block ×4, first 2 shown]
	v_cmp_eq_f64_e32 vcc_lo, 0, v[16:17]
	v_cmp_eq_f64_e64 s0, 0, v[18:19]
	s_load_b64 s[2:3], s[2:3], 0x60
	v_mul_f64 v[4:5], v[27:28], -v[22:23]
	v_mul_f64 v[6:7], v[20:21], v[27:28]
	v_mul_f64 v[27:28], v[14:15], -v[22:23]
	v_mul_f64 v[31:32], v[20:21], v[14:15]
	v_mul_f64 v[33:34], v[10:11], -v[22:23]
	v_mul_f64 v[35:36], v[20:21], v[10:11]
	v_mul_f64 v[37:38], v[8:9], -v[22:23]
	v_mul_f64 v[39:40], v[20:21], v[8:9]
	s_and_b32 s0, vcc_lo, s0
	v_fma_f64 v[12:13], v[20:21], v[0:1], v[4:5]
	v_fma_f64 v[14:15], v[22:23], v[0:1], v[6:7]
	;; [unrolled: 1-line block ×8, first 2 shown]
	v_lshlrev_b32_e32 v20, 2, v24
	s_and_saveexec_b32 s1, s0
	s_delay_alu instid0(SALU_CYCLE_1)
	s_xor_b32 s0, exec_lo, s1
	s_cbranch_execz .LBB167_42
; %bb.41:
	s_delay_alu instid0(VALU_DEP_1) | instskip(NEXT) | instid1(VALU_DEP_1)
	v_ashrrev_i32_e32 v21, 31, v20
                                        ; implicit-def: $vgpr18_vgpr19
	v_lshlrev_b64 v[16:17], 4, v[20:21]
                                        ; implicit-def: $vgpr20
	s_waitcnt lgkmcnt(0)
	s_delay_alu instid0(VALU_DEP_1) | instskip(NEXT) | instid1(VALU_DEP_2)
	v_add_co_u32 v16, vcc_lo, s2, v16
	v_add_co_ci_u32_e32 v17, vcc_lo, s3, v17, vcc_lo
	s_clause 0x3
	global_store_b128 v[16:17], v[12:15], off
	global_store_b128 v[16:17], v[8:11], off offset:16
	global_store_b128 v[16:17], v[4:7], off offset:32
	;; [unrolled: 1-line block ×3, first 2 shown]
                                        ; implicit-def: $vgpr16_vgpr17
                                        ; implicit-def: $vgpr12_vgpr13
                                        ; implicit-def: $vgpr8_vgpr9
                                        ; implicit-def: $vgpr4_vgpr5
                                        ; implicit-def: $vgpr0_vgpr1
.LBB167_42:
	s_and_not1_saveexec_b32 s0, s0
	s_cbranch_execz .LBB167_12
; %bb.43:
	v_ashrrev_i32_e32 v21, 31, v20
	s_delay_alu instid0(VALU_DEP_1) | instskip(SKIP_1) | instid1(VALU_DEP_1)
	v_lshlrev_b64 v[20:21], 4, v[20:21]
	s_waitcnt lgkmcnt(0)
	v_add_co_u32 v36, vcc_lo, s2, v20
	s_delay_alu instid0(VALU_DEP_2)
	v_add_co_ci_u32_e32 v37, vcc_lo, s3, v21, vcc_lo
	s_clause 0x3
	global_load_b128 v[20:23], v[36:37], off
	global_load_b128 v[24:27], v[36:37], off offset:16
	global_load_b128 v[28:31], v[36:37], off offset:32
	;; [unrolled: 1-line block ×3, first 2 shown]
	s_waitcnt vmcnt(3)
	v_fma_f64 v[12:13], v[16:17], v[20:21], v[12:13]
	v_fma_f64 v[14:15], v[18:19], v[20:21], v[14:15]
	s_waitcnt vmcnt(2)
	v_fma_f64 v[8:9], v[16:17], v[24:25], v[8:9]
	v_fma_f64 v[10:11], v[18:19], v[24:25], v[10:11]
	;; [unrolled: 3-line block ×4, first 2 shown]
	v_fma_f64 v[0:1], -v[18:19], v[22:23], v[12:13]
	v_fma_f64 v[2:3], v[16:17], v[22:23], v[14:15]
	v_fma_f64 v[4:5], -v[18:19], v[26:27], v[8:9]
	v_fma_f64 v[6:7], v[16:17], v[26:27], v[10:11]
	;; [unrolled: 2-line block ×4, first 2 shown]
	s_clause 0x3
	global_store_b128 v[36:37], v[0:3], off
	global_store_b128 v[36:37], v[4:7], off offset:16
	global_store_b128 v[36:37], v[8:11], off offset:32
	;; [unrolled: 1-line block ×3, first 2 shown]
	s_nop 0
	s_sendmsg sendmsg(MSG_DEALLOC_VGPRS)
	s_endpgm
	.section	.rodata,"a",@progbits
	.p2align	6, 0x0
	.amdhsa_kernel _ZN9rocsparseL18bsrxmvn_4x4_kernelILj128ELj16E21rocsparse_complex_numIdEiiS1_IfES2_S2_EEvT3_20rocsparse_direction_NS_24const_host_device_scalarIT1_EES4_PKS4_PKT2_SD_SA_PKT4_PKT5_S8_PT6_21rocsparse_index_base_b
		.amdhsa_group_segment_fixed_size 2048
		.amdhsa_private_segment_fixed_size 0
		.amdhsa_kernarg_size 112
		.amdhsa_user_sgpr_count 15
		.amdhsa_user_sgpr_dispatch_ptr 1
		.amdhsa_user_sgpr_queue_ptr 0
		.amdhsa_user_sgpr_kernarg_segment_ptr 1
		.amdhsa_user_sgpr_dispatch_id 0
		.amdhsa_user_sgpr_private_segment_size 0
		.amdhsa_wavefront_size32 1
		.amdhsa_uses_dynamic_stack 0
		.amdhsa_enable_private_segment 0
		.amdhsa_system_sgpr_workgroup_id_x 1
		.amdhsa_system_sgpr_workgroup_id_y 0
		.amdhsa_system_sgpr_workgroup_id_z 0
		.amdhsa_system_sgpr_workgroup_info 0
		.amdhsa_system_vgpr_workitem_id 2
		.amdhsa_next_free_vgpr 146
		.amdhsa_next_free_sgpr 18
		.amdhsa_reserve_vcc 1
		.amdhsa_float_round_mode_32 0
		.amdhsa_float_round_mode_16_64 0
		.amdhsa_float_denorm_mode_32 3
		.amdhsa_float_denorm_mode_16_64 3
		.amdhsa_dx10_clamp 1
		.amdhsa_ieee_mode 1
		.amdhsa_fp16_overflow 0
		.amdhsa_workgroup_processor_mode 1
		.amdhsa_memory_ordered 1
		.amdhsa_forward_progress 0
		.amdhsa_shared_vgpr_count 0
		.amdhsa_exception_fp_ieee_invalid_op 0
		.amdhsa_exception_fp_denorm_src 0
		.amdhsa_exception_fp_ieee_div_zero 0
		.amdhsa_exception_fp_ieee_overflow 0
		.amdhsa_exception_fp_ieee_underflow 0
		.amdhsa_exception_fp_ieee_inexact 0
		.amdhsa_exception_int_div_zero 0
	.end_amdhsa_kernel
	.section	.text._ZN9rocsparseL18bsrxmvn_4x4_kernelILj128ELj16E21rocsparse_complex_numIdEiiS1_IfES2_S2_EEvT3_20rocsparse_direction_NS_24const_host_device_scalarIT1_EES4_PKS4_PKT2_SD_SA_PKT4_PKT5_S8_PT6_21rocsparse_index_base_b,"axG",@progbits,_ZN9rocsparseL18bsrxmvn_4x4_kernelILj128ELj16E21rocsparse_complex_numIdEiiS1_IfES2_S2_EEvT3_20rocsparse_direction_NS_24const_host_device_scalarIT1_EES4_PKS4_PKT2_SD_SA_PKT4_PKT5_S8_PT6_21rocsparse_index_base_b,comdat
.Lfunc_end167:
	.size	_ZN9rocsparseL18bsrxmvn_4x4_kernelILj128ELj16E21rocsparse_complex_numIdEiiS1_IfES2_S2_EEvT3_20rocsparse_direction_NS_24const_host_device_scalarIT1_EES4_PKS4_PKT2_SD_SA_PKT4_PKT5_S8_PT6_21rocsparse_index_base_b, .Lfunc_end167-_ZN9rocsparseL18bsrxmvn_4x4_kernelILj128ELj16E21rocsparse_complex_numIdEiiS1_IfES2_S2_EEvT3_20rocsparse_direction_NS_24const_host_device_scalarIT1_EES4_PKS4_PKT2_SD_SA_PKT4_PKT5_S8_PT6_21rocsparse_index_base_b
                                        ; -- End function
	.section	.AMDGPU.csdata,"",@progbits
; Kernel info:
; codeLenInByte = 11660
; NumSgprs: 20
; NumVgprs: 146
; ScratchSize: 0
; MemoryBound: 0
; FloatMode: 240
; IeeeMode: 1
; LDSByteSize: 2048 bytes/workgroup (compile time only)
; SGPRBlocks: 2
; VGPRBlocks: 18
; NumSGPRsForWavesPerEU: 20
; NumVGPRsForWavesPerEU: 146
; Occupancy: 9
; WaveLimiterHint : 1
; COMPUTE_PGM_RSRC2:SCRATCH_EN: 0
; COMPUTE_PGM_RSRC2:USER_SGPR: 15
; COMPUTE_PGM_RSRC2:TRAP_HANDLER: 0
; COMPUTE_PGM_RSRC2:TGID_X_EN: 1
; COMPUTE_PGM_RSRC2:TGID_Y_EN: 0
; COMPUTE_PGM_RSRC2:TGID_Z_EN: 0
; COMPUTE_PGM_RSRC2:TIDIG_COMP_CNT: 2
	.section	.text._ZN9rocsparseL18bsrxmvn_4x4_kernelILj128ELj32E21rocsparse_complex_numIdEiiS1_IfES2_S2_EEvT3_20rocsparse_direction_NS_24const_host_device_scalarIT1_EES4_PKS4_PKT2_SD_SA_PKT4_PKT5_S8_PT6_21rocsparse_index_base_b,"axG",@progbits,_ZN9rocsparseL18bsrxmvn_4x4_kernelILj128ELj32E21rocsparse_complex_numIdEiiS1_IfES2_S2_EEvT3_20rocsparse_direction_NS_24const_host_device_scalarIT1_EES4_PKS4_PKT2_SD_SA_PKT4_PKT5_S8_PT6_21rocsparse_index_base_b,comdat
	.globl	_ZN9rocsparseL18bsrxmvn_4x4_kernelILj128ELj32E21rocsparse_complex_numIdEiiS1_IfES2_S2_EEvT3_20rocsparse_direction_NS_24const_host_device_scalarIT1_EES4_PKS4_PKT2_SD_SA_PKT4_PKT5_S8_PT6_21rocsparse_index_base_b ; -- Begin function _ZN9rocsparseL18bsrxmvn_4x4_kernelILj128ELj32E21rocsparse_complex_numIdEiiS1_IfES2_S2_EEvT3_20rocsparse_direction_NS_24const_host_device_scalarIT1_EES4_PKS4_PKT2_SD_SA_PKT4_PKT5_S8_PT6_21rocsparse_index_base_b
	.p2align	8
	.type	_ZN9rocsparseL18bsrxmvn_4x4_kernelILj128ELj32E21rocsparse_complex_numIdEiiS1_IfES2_S2_EEvT3_20rocsparse_direction_NS_24const_host_device_scalarIT1_EES4_PKS4_PKT2_SD_SA_PKT4_PKT5_S8_PT6_21rocsparse_index_base_b,@function
_ZN9rocsparseL18bsrxmvn_4x4_kernelILj128ELj32E21rocsparse_complex_numIdEiiS1_IfES2_S2_EEvT3_20rocsparse_direction_NS_24const_host_device_scalarIT1_EES4_PKS4_PKT2_SD_SA_PKT4_PKT5_S8_PT6_21rocsparse_index_base_b: ; @_ZN9rocsparseL18bsrxmvn_4x4_kernelILj128ELj32E21rocsparse_complex_numIdEiiS1_IfES2_S2_EEvT3_20rocsparse_direction_NS_24const_host_device_scalarIT1_EES4_PKS4_PKT2_SD_SA_PKT4_PKT5_S8_PT6_21rocsparse_index_base_b
; %bb.0:
	s_load_b64 s[12:13], s[2:3], 0x68
	s_load_b64 s[16:17], s[0:1], 0x4
	s_load_b128 s[8:11], s[2:3], 0x8
	v_bfe_u32 v2, v0, 10, 10
	s_mov_b64 s[0:1], src_shared_base
	s_load_b128 s[4:7], s[2:3], 0x50
	v_and_b32_e32 v1, 0x3ff, v0
	v_bfe_u32 v0, v0, 20, 10
	s_waitcnt lgkmcnt(0)
	s_bitcmp1_b32 s13, 0
	v_mul_u32_u24_e32 v2, s17, v2
	s_cselect_b32 s0, -1, 0
	v_mov_b32_e32 v23, s11
	s_and_b32 vcc_lo, s0, exec_lo
	s_cselect_b32 s13, s1, s9
	s_lshr_b32 s14, s16, 16
	v_dual_mov_b32 v4, s4 :: v_dual_mov_b32 v5, s5
	s_mul_i32 s14, s14, s17
	v_dual_mov_b32 v7, s13 :: v_dual_mov_b32 v22, s10
	v_mad_u32_u24 v2, s14, v1, v2
	s_xor_b32 s10, s0, -1
	s_delay_alu instid0(VALU_DEP_1) | instskip(SKIP_1) | instid1(VALU_DEP_2)
	v_add_lshl_u32 v0, v2, v0, 3
	v_dual_mov_b32 v2, s8 :: v_dual_mov_b32 v3, s9
	v_add_nc_u32_e32 v6, 0x400, v0
	ds_store_2addr_stride64_b64 v0, v[4:5], v[2:3] offset1:2
	v_cndmask_b32_e64 v6, s8, v6, s0
	flat_load_b64 v[20:21], v[6:7]
	s_cbranch_vccnz .LBB168_2
; %bb.1:
	v_dual_mov_b32 v2, s8 :: v_dual_mov_b32 v3, s9
	flat_load_b64 v[22:23], v[2:3] offset:8
.LBB168_2:
	s_and_b32 s8, s0, exec_lo
	s_cselect_b32 s1, s1, s5
	v_cndmask_b32_e64 v2, s4, v0, s0
	v_mov_b32_e32 v3, s1
	v_dual_mov_b32 v19, s7 :: v_dual_mov_b32 v18, s6
	s_and_not1_b32 vcc_lo, exec_lo, s10
	flat_load_b64 v[16:17], v[2:3]
	s_cbranch_vccnz .LBB168_4
; %bb.3:
	v_dual_mov_b32 v2, s4 :: v_dual_mov_b32 v3, s5
	flat_load_b64 v[18:19], v[2:3] offset:8
.LBB168_4:
	s_waitcnt vmcnt(1) lgkmcnt(1)
	v_cmp_eq_f64_e32 vcc_lo, 0, v[20:21]
	v_cmp_eq_f64_e64 s0, 0, v[22:23]
	s_delay_alu instid0(VALU_DEP_1)
	s_and_b32 s4, vcc_lo, s0
	s_mov_b32 s0, -1
	s_and_saveexec_b32 s1, s4
	s_cbranch_execz .LBB168_6
; %bb.5:
	s_waitcnt vmcnt(0) lgkmcnt(0)
	v_cmp_neq_f64_e32 vcc_lo, 1.0, v[16:17]
	v_cmp_neq_f64_e64 s0, 0, v[18:19]
	s_delay_alu instid0(VALU_DEP_1) | instskip(NEXT) | instid1(SALU_CYCLE_1)
	s_or_b32 s0, vcc_lo, s0
	s_or_not1_b32 s0, s0, exec_lo
.LBB168_6:
	s_or_b32 exec_lo, exec_lo, s1
	s_and_saveexec_b32 s1, s0
	s_cbranch_execz .LBB168_12
; %bb.7:
	s_clause 0x1
	s_load_b64 s[4:5], s[2:3], 0x20
	s_load_b64 s[0:1], s[2:3], 0x0
	v_lshrrev_b32_e32 v0, 5, v1
	s_delay_alu instid0(VALU_DEP_1)
	v_lshl_or_b32 v24, s15, 2, v0
	s_waitcnt lgkmcnt(0)
	s_cmp_lg_u64 s[4:5], 0
	s_cbranch_scc0 .LBB168_13
; %bb.8:
	s_load_b32 s6, s[2:3], 0x18
	s_mov_b32 s7, 0
                                        ; implicit-def: $vgpr0
	s_waitcnt lgkmcnt(0)
	v_cmp_gt_i32_e32 vcc_lo, s6, v24
	s_mov_b32 s6, 0
	s_and_saveexec_b32 s8, vcc_lo
	s_delay_alu instid0(SALU_CYCLE_1)
	s_xor_b32 s8, exec_lo, s8
	s_cbranch_execz .LBB168_10
; %bb.9:
	v_ashrrev_i32_e32 v25, 31, v24
	s_mov_b32 s6, exec_lo
	s_delay_alu instid0(VALU_DEP_1) | instskip(NEXT) | instid1(VALU_DEP_1)
	v_lshlrev_b64 v[2:3], 2, v[24:25]
	v_add_co_u32 v2, vcc_lo, s4, v2
	s_delay_alu instid0(VALU_DEP_2)
	v_add_co_ci_u32_e32 v3, vcc_lo, s5, v3, vcc_lo
	global_load_b32 v0, v[2:3], off
	s_waitcnt vmcnt(0)
	v_subrev_nc_u32_e32 v0, s12, v0
.LBB168_10:
	s_or_b32 exec_lo, exec_lo, s8
	s_delay_alu instid0(SALU_CYCLE_1)
	s_and_b32 vcc_lo, exec_lo, s7
	s_cbranch_vccz .LBB168_14
.LBB168_11:
	v_cmp_gt_i32_e32 vcc_lo, s0, v24
	s_and_not1_b32 s0, s6, exec_lo
	s_and_b32 s4, vcc_lo, exec_lo
	s_delay_alu instid0(SALU_CYCLE_1) | instskip(NEXT) | instid1(SALU_CYCLE_1)
	s_or_b32 s6, s0, s4
	s_and_b32 exec_lo, exec_lo, s6
	s_cbranch_execnz .LBB168_15
.LBB168_12:
	s_nop 0
	s_sendmsg sendmsg(MSG_DEALLOC_VGPRS)
	s_endpgm
.LBB168_13:
	s_mov_b32 s6, 0
                                        ; implicit-def: $vgpr0
	s_cbranch_execnz .LBB168_11
.LBB168_14:
	s_delay_alu instid0(VALU_DEP_1)
	v_mov_b32_e32 v24, v0
	s_and_b32 exec_lo, exec_lo, s6
	s_cbranch_execz .LBB168_12
.LBB168_15:
	s_load_b256 s[4:11], s[2:3], 0x28
	s_delay_alu instid0(VALU_DEP_1) | instskip(SKIP_1) | instid1(VALU_DEP_2)
	v_ashrrev_i32_e32 v25, 31, v24
	v_and_b32_e32 v49, 31, v1
	v_lshlrev_b64 v[2:3], 2, v[24:25]
	s_waitcnt lgkmcnt(0)
	s_delay_alu instid0(VALU_DEP_1) | instskip(NEXT) | instid1(VALU_DEP_2)
	v_add_co_u32 v4, vcc_lo, s4, v2
	v_add_co_ci_u32_e32 v5, vcc_lo, s5, v3, vcc_lo
	v_add_co_u32 v0, vcc_lo, s6, v2
	v_add_co_ci_u32_e32 v2, vcc_lo, s7, v3, vcc_lo
	global_load_b32 v51, v[4:5], off
	v_add_co_u32 v4, vcc_lo, v4, 4
	v_add_co_ci_u32_e32 v3, vcc_lo, 0, v5, vcc_lo
	s_cmp_eq_u64 s[6:7], 0
	s_load_b64 s[4:5], s[2:3], 0x48
	s_cselect_b32 vcc_lo, -1, 0
	s_cmp_eq_u32 s1, 1
	v_dual_cndmask_b32 v3, v2, v3 :: v_dual_cndmask_b32 v2, v0, v4
	global_load_b32 v2, v[2:3], off
	s_waitcnt vmcnt(1)
	v_subrev_nc_u32_e32 v0, s12, v51
	s_delay_alu instid0(VALU_DEP_1) | instskip(NEXT) | instid1(VALU_DEP_1)
	v_add_nc_u32_e32 v25, v0, v49
	v_ashrrev_i32_e32 v26, 31, v25
	s_waitcnt vmcnt(0)
	v_subrev_nc_u32_e32 v50, s12, v2
	s_delay_alu instid0(VALU_DEP_2) | instskip(NEXT) | instid1(VALU_DEP_2)
	v_lshlrev_b64 v[0:1], 7, v[25:26]
	v_cmp_lt_i32_e64 s0, v25, v50
	s_delay_alu instid0(VALU_DEP_2) | instskip(NEXT) | instid1(VALU_DEP_3)
	v_add_co_u32 v27, vcc_lo, s10, v0
	v_add_co_ci_u32_e32 v28, vcc_lo, s11, v1, vcc_lo
	s_cbranch_scc1 .LBB168_27
; %bb.16:
	v_mov_b32_e32 v31, 0
	v_mov_b32_e32 v32, 0
	s_delay_alu instid0(VALU_DEP_1)
	v_dual_mov_b32 v29, v31 :: v_dual_mov_b32 v30, v32
	v_dual_mov_b32 v36, v32 :: v_dual_mov_b32 v35, v31
	;; [unrolled: 1-line block ×7, first 2 shown]
	s_and_saveexec_b32 s6, s0
	s_cbranch_execz .LBB168_26
; %bb.17:
	v_dual_mov_b32 v29, 0 :: v_dual_add_nc_u32 v0, v51, v49
	v_mov_b32_e32 v46, v28
	v_not_b32_e32 v1, v51
	v_mov_b32_e32 v47, v25
	s_delay_alu instid0(VALU_DEP_4) | instskip(SKIP_2) | instid1(VALU_DEP_1)
	v_subrev_nc_u32_e32 v0, s12, v0
	s_mov_b32 s10, 0
	s_mov_b32 s7, exec_lo
	v_dual_mov_b32 v45, v27 :: v_dual_add_nc_u32 v0, 32, v0
	s_delay_alu instid0(VALU_DEP_1) | instskip(NEXT) | instid1(VALU_DEP_1)
	v_max_i32_e32 v0, v0, v50
	v_add3_u32 v0, v0, s12, v1
	s_delay_alu instid0(VALU_DEP_1) | instskip(NEXT) | instid1(VALU_DEP_1)
	v_sub_nc_u32_e32 v0, v0, v49
	v_lshrrev_b32_e32 v1, 5, v0
	s_delay_alu instid0(VALU_DEP_1) | instskip(NEXT) | instid1(VALU_DEP_1)
	v_dual_mov_b32 v30, 0 :: v_dual_add_nc_u32 v1, 1, v1
	v_mov_b32_e32 v38, v30
	v_mov_b32_e32 v44, v30
	v_dual_mov_b32 v40, v30 :: v_dual_mov_b32 v37, v29
	s_delay_alu instid0(VALU_DEP_4)
	v_and_b32_e32 v1, 3, v1
	v_mov_b32_e32 v43, v29
	v_dual_mov_b32 v39, v29 :: v_dual_mov_b32 v42, v30
	v_dual_mov_b32 v41, v29 :: v_dual_mov_b32 v34, v30
	v_dual_mov_b32 v33, v29 :: v_dual_mov_b32 v36, v30
	v_dual_mov_b32 v35, v29 :: v_dual_mov_b32 v32, v30
	v_mov_b32_e32 v31, v29
	v_cmpx_ne_u32_e32 0, v1
	s_cbranch_execz .LBB168_21
; %bb.18:
	v_dual_mov_b32 v31, 0 :: v_dual_mov_b32 v46, v28
	v_dual_mov_b32 v32, 0 :: v_dual_lshlrev_b32 v1, 7, v1
	v_mov_b32_e32 v47, v25
	v_mov_b32_e32 v45, v27
	s_delay_alu instid0(VALU_DEP_3)
	v_dual_mov_b32 v29, v31 :: v_dual_mov_b32 v34, v32
	v_dual_mov_b32 v36, v32 :: v_dual_mov_b32 v35, v31
	;; [unrolled: 1-line block ×7, first 2 shown]
.LBB168_19:                             ; =>This Inner Loop Header: Depth=1
	v_ashrrev_i32_e32 v48, 31, v47
	v_add_nc_u32_e32 v1, 0xffffff80, v1
	s_delay_alu instid0(VALU_DEP_2) | instskip(NEXT) | instid1(VALU_DEP_2)
	v_lshlrev_b64 v[2:3], 2, v[47:48]
	v_cmp_eq_u32_e64 s1, 0, v1
	v_add_nc_u32_e32 v47, 32, v47
	s_delay_alu instid0(VALU_DEP_2) | instskip(NEXT) | instid1(VALU_DEP_3)
	s_or_b32 s10, s1, s10
	v_add_co_u32 v2, vcc_lo, s8, v2
	s_delay_alu instid0(VALU_DEP_4)
	v_add_co_ci_u32_e32 v3, vcc_lo, s9, v3, vcc_lo
	global_load_b32 v14, v[2:3], off
	s_clause 0x7
	global_load_b128 v[2:5], v[45:46], off
	global_load_b128 v[6:9], v[45:46], off offset:32
	global_load_b128 v[10:13], v[45:46], off offset:64
	;; [unrolled: 1-line block ×7, first 2 shown]
	s_waitcnt vmcnt(8)
	v_subrev_nc_u32_e32 v14, s12, v14
	s_waitcnt vmcnt(6)
	v_cvt_f64_f32_e32 v[88:89], v6
	v_cvt_f64_f32_e32 v[6:7], v7
	s_waitcnt vmcnt(5)
	v_cvt_f64_f32_e32 v[90:91], v10
	v_lshlrev_b32_e32 v14, 2, v14
	v_cvt_f64_f32_e32 v[10:11], v11
	s_waitcnt vmcnt(3)
	v_cvt_f64_f32_e32 v[92:93], v56
	v_cvt_f64_f32_e32 v[56:57], v57
	;; [unrolled: 1-line block ×3, first 2 shown]
	v_ashrrev_i32_e32 v15, 31, v14
	v_cvt_f64_f32_e32 v[8:9], v9
	v_cvt_f64_f32_e32 v[96:97], v12
	;; [unrolled: 1-line block ×4, first 2 shown]
	v_lshlrev_b64 v[14:15], 4, v[14:15]
	v_cvt_f64_f32_e32 v[58:59], v59
	s_waitcnt lgkmcnt(0)
	s_delay_alu instid0(VALU_DEP_2) | instskip(NEXT) | instid1(VALU_DEP_3)
	v_add_co_u32 v14, vcc_lo, s4, v14
	v_add_co_ci_u32_e32 v15, vcc_lo, s5, v15, vcc_lo
	v_add_co_u32 v45, vcc_lo, 0x1000, v45
	s_clause 0x3
	global_load_b128 v[72:75], v[14:15], off
	global_load_b128 v[76:79], v[14:15], off offset:16
	global_load_b128 v[80:83], v[14:15], off offset:32
	;; [unrolled: 1-line block ×3, first 2 shown]
	v_cvt_f64_f32_e32 v[14:15], v2
	v_cvt_f64_f32_e32 v[2:3], v3
	v_add_co_ci_u32_e32 v46, vcc_lo, 0, v46, vcc_lo
	s_waitcnt vmcnt(3)
	s_delay_alu instid0(VALU_DEP_3) | instskip(NEXT) | instid1(VALU_DEP_3)
	v_fma_f64 v[35:36], v[14:15], v[72:73], v[35:36]
	v_fma_f64 v[31:32], v[2:3], v[72:73], v[31:32]
	;; [unrolled: 1-line block ×8, first 2 shown]
	v_cvt_f64_f32_e32 v[72:73], v4
	v_cvt_f64_f32_e32 v[4:5], v5
	v_fma_f64 v[2:3], -v[2:3], v[74:75], v[35:36]
	v_fma_f64 v[14:15], v[14:15], v[74:75], v[31:32]
	v_fma_f64 v[6:7], -v[6:7], v[74:75], v[41:42]
	v_fma_f64 v[31:32], v[88:89], v[74:75], v[33:34]
	;; [unrolled: 2-line block ×4, first 2 shown]
	v_cvt_f64_f32_e32 v[37:38], v60
	v_cvt_f64_f32_e32 v[39:40], v61
	;; [unrolled: 1-line block ×9, first 2 shown]
	s_waitcnt vmcnt(2)
	v_fma_f64 v[2:3], v[72:73], v[76:77], v[2:3]
	v_fma_f64 v[14:15], v[4:5], v[76:77], v[14:15]
	;; [unrolled: 1-line block ×8, first 2 shown]
	v_fma_f64 v[2:3], -v[4:5], v[78:79], v[2:3]
	v_fma_f64 v[4:5], v[72:73], v[78:79], v[14:15]
	v_fma_f64 v[6:7], -v[8:9], v[78:79], v[6:7]
	v_fma_f64 v[8:9], v[94:95], v[78:79], v[31:32]
	;; [unrolled: 2-line block ×4, first 2 shown]
	v_cvt_f64_f32_e32 v[31:32], v62
	v_cvt_f64_f32_e32 v[33:34], v63
	;; [unrolled: 1-line block ×7, first 2 shown]
	s_waitcnt vmcnt(1)
	v_fma_f64 v[2:3], v[37:38], v[80:81], v[2:3]
	v_fma_f64 v[4:5], v[39:40], v[80:81], v[4:5]
	;; [unrolled: 1-line block ×8, first 2 shown]
	v_fma_f64 v[2:3], -v[39:40], v[82:83], v[2:3]
	v_fma_f64 v[4:5], v[37:38], v[82:83], v[4:5]
	v_fma_f64 v[6:7], -v[43:44], v[82:83], v[6:7]
	v_fma_f64 v[8:9], v[41:42], v[82:83], v[8:9]
	;; [unrolled: 2-line block ×4, first 2 shown]
	s_waitcnt vmcnt(0)
	v_fma_f64 v[2:3], v[31:32], v[84:85], v[2:3]
	v_fma_f64 v[4:5], v[33:34], v[84:85], v[4:5]
	;; [unrolled: 1-line block ×8, first 2 shown]
	v_fma_f64 v[35:36], -v[33:34], v[86:87], v[2:3]
	v_fma_f64 v[31:32], v[31:32], v[86:87], v[4:5]
	v_fma_f64 v[41:42], -v[54:55], v[86:87], v[6:7]
	v_fma_f64 v[33:34], v[58:59], v[86:87], v[8:9]
	;; [unrolled: 2-line block ×4, first 2 shown]
	s_and_not1_b32 exec_lo, exec_lo, s10
	s_cbranch_execnz .LBB168_19
; %bb.20:
	s_or_b32 exec_lo, exec_lo, s10
.LBB168_21:
	s_delay_alu instid0(SALU_CYCLE_1) | instskip(NEXT) | instid1(SALU_CYCLE_1)
	s_or_b32 exec_lo, exec_lo, s7
	s_mov_b32 s7, exec_lo
	v_cmpx_lt_u32_e32 0x5f, v0
	s_cbranch_execz .LBB168_25
; %bb.22:
	s_mov_b32 s10, 0
.LBB168_23:                             ; =>This Inner Loop Header: Depth=1
	v_ashrrev_i32_e32 v48, 31, v47
	s_delay_alu instid0(VALU_DEP_1) | instskip(SKIP_1) | instid1(VALU_DEP_2)
	v_lshlrev_b64 v[0:1], 2, v[47:48]
	v_add_nc_u32_e32 v47, 0x80, v47
	v_add_co_u32 v68, vcc_lo, s8, v0
	s_delay_alu instid0(VALU_DEP_3)
	v_add_co_ci_u32_e32 v69, vcc_lo, s9, v1, vcc_lo
	global_load_b32 v26, v[68:69], off
	s_clause 0x7
	global_load_b128 v[12:15], v[45:46], off
	global_load_b128 v[0:3], v[45:46], off offset:48
	global_load_b128 v[8:11], v[45:46], off offset:32
	;; [unrolled: 1-line block ×7, first 2 shown]
	s_clause 0x2
	global_load_b32 v48, v[68:69], off offset:128
	global_load_b32 v136, v[68:69], off offset:256
	;; [unrolled: 1-line block ×3, first 2 shown]
	s_waitcnt vmcnt(11)
	v_subrev_nc_u32_e32 v26, s12, v26
	s_waitcnt vmcnt(10)
	v_cvt_f64_f32_e32 v[116:117], v12
	v_cvt_f64_f32_e32 v[12:13], v13
	s_waitcnt vmcnt(8)
	v_cvt_f64_f32_e32 v[118:119], v8
	v_cvt_f64_f32_e32 v[8:9], v9
	v_lshlrev_b32_e32 v68, 2, v26
	s_waitcnt vmcnt(6)
	v_cvt_f64_f32_e32 v[120:121], v52
	v_cvt_f64_f32_e32 v[52:53], v53
	s_waitcnt vmcnt(4)
	v_cvt_f64_f32_e32 v[122:123], v60
	s_waitcnt vmcnt(2)
	v_subrev_nc_u32_e32 v26, s12, v48
	v_ashrrev_i32_e32 v69, 31, v68
	v_cvt_f64_f32_e32 v[60:61], v61
	v_cvt_f64_f32_e32 v[126:127], v15
	;; [unrolled: 1-line block ×3, first 2 shown]
	v_lshlrev_b32_e32 v104, 2, v26
	v_lshlrev_b64 v[68:69], 4, v[68:69]
	v_cvt_f64_f32_e32 v[130:131], v11
	v_cvt_f64_f32_e32 v[132:133], v54
	;; [unrolled: 1-line block ×3, first 2 shown]
	v_ashrrev_i32_e32 v105, 31, v104
	v_cvt_f64_f32_e32 v[134:135], v62
	s_waitcnt lgkmcnt(0)
	v_add_co_u32 v80, vcc_lo, s4, v68
	v_add_co_ci_u32_e32 v81, vcc_lo, s5, v69, vcc_lo
	v_add_co_u32 v112, vcc_lo, v45, 0x2000
	v_add_co_ci_u32_e32 v113, vcc_lo, 0, v46, vcc_lo
	s_clause 0x3
	global_load_b128 v[68:71], v[80:81], off
	global_load_b128 v[72:75], v[80:81], off offset:16
	global_load_b128 v[76:79], v[80:81], off offset:32
	;; [unrolled: 1-line block ×3, first 2 shown]
	v_add_co_u32 v114, vcc_lo, 0x1000, v45
	v_add_co_ci_u32_e32 v115, vcc_lo, 0, v46, vcc_lo
	s_clause 0x4
	global_load_b128 v[84:87], v[112:113], off offset:-4096
	global_load_b128 v[88:91], v[114:115], off offset:32
	global_load_b128 v[92:95], v[114:115], off offset:64
	;; [unrolled: 1-line block ×4, first 2 shown]
	v_lshlrev_b64 v[104:105], 4, v[104:105]
	v_cvt_f64_f32_e32 v[62:63], v63
	s_waitcnt vmcnt(10)
	v_subrev_nc_u32_e32 v26, s12, v136
	s_delay_alu instid0(VALU_DEP_3) | instskip(NEXT) | instid1(VALU_DEP_4)
	v_add_co_u32 v124, vcc_lo, s4, v104
	v_add_co_ci_u32_e32 v125, vcc_lo, s5, v105, vcc_lo
	s_clause 0x1
	global_load_b128 v[104:107], v[124:125], off
	global_load_b128 v[108:111], v[124:125], off offset:16
	s_waitcnt vmcnt(10)
	v_fma_f64 v[35:36], v[116:117], v[68:69], v[35:36]
	v_fma_f64 v[31:32], v[12:13], v[68:69], v[31:32]
	;; [unrolled: 1-line block ×8, first 2 shown]
	v_cvt_f64_f32_e32 v[68:69], v14
	v_fma_f64 v[10:11], -v[12:13], v[70:71], v[35:36]
	v_fma_f64 v[12:13], v[116:117], v[70:71], v[31:32]
	v_fma_f64 v[8:9], -v[8:9], v[70:71], v[41:42]
	v_fma_f64 v[14:15], v[118:119], v[70:71], v[33:34]
	v_fma_f64 v[31:32], -v[52:53], v[70:71], v[43:44]
	v_fma_f64 v[33:34], v[120:121], v[70:71], v[39:40]
	v_fma_f64 v[29:30], -v[60:61], v[70:71], v[29:30]
	v_fma_f64 v[35:36], v[122:123], v[70:71], v[37:38]
	v_cvt_f64_f32_e32 v[70:71], v4
	v_cvt_f64_f32_e32 v[4:5], v5
	;; [unrolled: 1-line block ×6, first 2 shown]
	s_waitcnt vmcnt(9)
	v_fma_f64 v[37:38], v[68:69], v[72:73], v[10:11]
	v_fma_f64 v[39:40], v[126:127], v[72:73], v[12:13]
	;; [unrolled: 1-line block ×8, first 2 shown]
	s_clause 0x2
	global_load_b128 v[8:11], v[114:115], off offset:16
	global_load_b128 v[12:15], v[114:115], off offset:80
	;; [unrolled: 1-line block ×3, first 2 shown]
	v_cvt_f64_f32_e32 v[72:73], v0
	v_cvt_f64_f32_e32 v[0:1], v1
	;; [unrolled: 1-line block ×4, first 2 shown]
	v_fma_f64 v[118:119], -v[126:127], v[74:75], v[37:38]
	v_fma_f64 v[68:69], v[68:69], v[74:75], v[39:40]
	v_fma_f64 v[41:42], -v[130:131], v[74:75], v[41:42]
	v_fma_f64 v[43:44], v[128:129], v[74:75], v[43:44]
	;; [unrolled: 2-line block ×4, first 2 shown]
	s_clause 0x1
	global_load_b128 v[33:36], v[124:125], off offset:32
	global_load_b128 v[37:40], v[124:125], off offset:48
	v_cvt_f64_f32_e32 v[124:125], v66
	v_cvt_f64_f32_e32 v[66:67], v67
	v_cvt_f64_f32_e32 v[126:127], v58
	v_cvt_f64_f32_e32 v[128:129], v59
	s_waitcnt vmcnt(8)
	v_cvt_f64_f32_e32 v[130:131], v96
	v_cvt_f64_f32_e32 v[96:97], v97
	v_lshlrev_b32_e32 v132, 2, v26
	v_subrev_nc_u32_e32 v26, s12, v140
	s_delay_alu instid0(VALU_DEP_2) | instskip(NEXT) | instid1(VALU_DEP_2)
	v_ashrrev_i32_e32 v133, 31, v132
	v_lshlrev_b32_e32 v140, 2, v26
	s_delay_alu instid0(VALU_DEP_1)
	v_ashrrev_i32_e32 v141, 31, v140
	v_fma_f64 v[74:75], v[70:71], v[76:77], v[118:119]
	v_fma_f64 v[68:69], v[4:5], v[76:77], v[68:69]
	;; [unrolled: 1-line block ×8, first 2 shown]
	v_cvt_f64_f32_e32 v[76:77], v6
	v_cvt_f64_f32_e32 v[118:119], v7
	v_fma_f64 v[58:59], -v[4:5], v[78:79], v[74:75]
	v_fma_f64 v[68:69], v[70:71], v[78:79], v[68:69]
	v_fma_f64 v[41:42], -v[0:1], v[78:79], v[41:42]
	v_fma_f64 v[43:44], v[72:73], v[78:79], v[43:44]
	;; [unrolled: 2-line block ×4, first 2 shown]
	v_add_co_u32 v78, vcc_lo, 0x2000, v45
	v_add_co_ci_u32_e32 v79, vcc_lo, 0, v46, vcc_lo
	s_clause 0x1
	global_load_b128 v[0:3], v[112:113], off
	global_load_b128 v[4:7], v[78:79], off offset:32
	v_cvt_f64_f32_e32 v[114:115], v88
	v_cvt_f64_f32_e32 v[88:89], v89
	;; [unrolled: 1-line block ×4, first 2 shown]
	v_fma_f64 v[62:63], v[76:77], v[80:81], v[58:59]
	v_fma_f64 v[64:65], v[118:119], v[80:81], v[68:69]
	;; [unrolled: 1-line block ×8, first 2 shown]
	s_clause 0x2
	global_load_b128 v[41:44], v[78:79], off offset:64
	global_load_b128 v[52:55], v[78:79], off offset:96
	;; [unrolled: 1-line block ×3, first 2 shown]
	v_cvt_f64_f32_e32 v[80:81], v84
	v_cvt_f64_f32_e32 v[84:85], v85
	v_fma_f64 v[118:119], -v[118:119], v[82:83], v[62:63]
	v_fma_f64 v[76:77], v[76:77], v[82:83], v[64:65]
	v_fma_f64 v[68:69], -v[122:123], v[82:83], v[68:69]
	v_fma_f64 v[70:71], v[120:121], v[82:83], v[70:71]
	;; [unrolled: 2-line block ×4, first 2 shown]
	v_lshlrev_b64 v[60:61], 4, v[132:133]
	v_cvt_f64_f32_e32 v[122:123], v90
	v_cvt_f64_f32_e32 v[90:91], v91
	;; [unrolled: 1-line block ×5, first 2 shown]
	v_add_co_u32 v120, vcc_lo, s4, v60
	v_add_co_ci_u32_e32 v121, vcc_lo, s5, v61, vcc_lo
	s_clause 0x1
	global_load_b128 v[60:63], v[120:121], off
	global_load_b128 v[64:67], v[120:121], off offset:16
	v_cvt_f64_f32_e32 v[98:99], v99
	s_waitcnt vmcnt(13)
	v_fma_f64 v[118:119], v[80:81], v[104:105], v[118:119]
	v_fma_f64 v[76:77], v[84:85], v[104:105], v[76:77]
	;; [unrolled: 1-line block ×8, first 2 shown]
	v_cvt_f64_f32_e32 v[104:105], v86
	v_cvt_f64_f32_e32 v[86:87], v87
	v_fma_f64 v[84:85], -v[84:85], v[106:107], v[118:119]
	v_fma_f64 v[76:77], v[80:81], v[106:107], v[76:77]
	v_fma_f64 v[68:69], -v[88:89], v[106:107], v[68:69]
	v_fma_f64 v[70:71], v[114:115], v[106:107], v[70:71]
	;; [unrolled: 2-line block ×4, first 2 shown]
	v_cvt_f64_f32_e32 v[114:115], v100
	v_cvt_f64_f32_e32 v[100:101], v101
	s_waitcnt vmcnt(12)
	v_fma_f64 v[84:85], v[104:105], v[108:109], v[84:85]
	v_fma_f64 v[88:89], v[86:87], v[108:109], v[76:77]
	;; [unrolled: 1-line block ×8, first 2 shown]
	s_clause 0x2
	global_load_b128 v[68:71], v[78:79], off offset:16
	global_load_b128 v[72:75], v[78:79], off offset:80
	global_load_b128 v[76:79], v[78:79], off offset:112
	s_waitcnt vmcnt(14)
	v_cvt_f64_f32_e32 v[108:109], v8
	v_cvt_f64_f32_e32 v[8:9], v9
	s_waitcnt vmcnt(13)
	v_cvt_f64_f32_e32 v[116:117], v12
	v_cvt_f64_f32_e32 v[12:13], v13
	;; [unrolled: 3-line block ×3, first 2 shown]
	v_fma_f64 v[128:129], -v[86:87], v[110:111], v[84:85]
	v_fma_f64 v[88:89], v[104:105], v[110:111], v[88:89]
	v_fma_f64 v[90:91], -v[90:91], v[110:111], v[92:93]
	v_fma_f64 v[92:93], v[122:123], v[110:111], v[96:97]
	;; [unrolled: 2-line block ×4, first 2 shown]
	s_clause 0x1
	global_load_b128 v[80:83], v[120:121], off offset:32
	global_load_b128 v[84:87], v[120:121], off offset:48
	v_cvt_f64_f32_e32 v[110:111], v11
	v_cvt_f64_f32_e32 v[112:113], v102
	;; [unrolled: 1-line block ×7, first 2 shown]
	s_waitcnt vmcnt(13)
	v_fma_f64 v[106:107], v[108:109], v[33:34], v[128:129]
	v_fma_f64 v[88:89], v[8:9], v[33:34], v[88:89]
	;; [unrolled: 1-line block ×8, first 2 shown]
	v_cvt_f64_f32_e32 v[104:105], v10
	v_fma_f64 v[8:9], -v[8:9], v[35:36], v[106:107]
	v_fma_f64 v[10:11], v[108:109], v[35:36], v[88:89]
	v_fma_f64 v[14:15], -v[100:101], v[35:36], v[90:91]
	v_fma_f64 v[31:32], v[114:115], v[35:36], v[92:93]
	;; [unrolled: 2-line block ×4, first 2 shown]
	v_add_co_u32 v106, vcc_lo, 0x3000, v45
	v_add_co_ci_u32_e32 v107, vcc_lo, 0, v46, vcc_lo
	v_add_co_u32 v45, s1, 0x4000, v45
	s_delay_alu instid0(VALU_DEP_1)
	v_add_co_ci_u32_e64 v46, s1, 0, v46, s1
	s_waitcnt vmcnt(11)
	v_cvt_f64_f32_e32 v[132:133], v0
	v_cvt_f64_f32_e32 v[0:1], v1
	s_waitcnt vmcnt(10)
	v_cvt_f64_f32_e32 v[134:135], v4
	v_cvt_f64_f32_e32 v[4:5], v5
	v_fma_f64 v[100:101], v[104:105], v[37:38], v[8:9]
	v_fma_f64 v[108:109], v[110:111], v[37:38], v[10:11]
	;; [unrolled: 1-line block ×8, first 2 shown]
	s_clause 0x6
	global_load_b128 v[8:11], v[106:107], off
	global_load_b128 v[12:15], v[106:107], off offset:48
	global_load_b128 v[29:32], v[106:107], off offset:32
	global_load_b128 v[33:36], v[106:107], off offset:80
	global_load_b128 v[88:91], v[106:107], off offset:64
	global_load_b128 v[92:95], v[106:107], off offset:112
	global_load_b128 v[96:99], v[106:107], off offset:96
	s_waitcnt vmcnt(16)
	v_cvt_f64_f32_e32 v[136:137], v41
	v_cvt_f64_f32_e32 v[41:42], v42
	s_waitcnt vmcnt(15)
	v_cvt_f64_f32_e32 v[138:139], v52
	v_cvt_f64_f32_e32 v[52:53], v53
	v_fma_f64 v[110:111], -v[110:111], v[39:40], v[100:101]
	v_fma_f64 v[104:105], v[104:105], v[39:40], v[108:109]
	v_fma_f64 v[108:109], -v[102:103], v[39:40], v[114:115]
	v_fma_f64 v[112:113], v[112:113], v[39:40], v[116:117]
	;; [unrolled: 2-line block ×4, first 2 shown]
	v_lshlrev_b64 v[37:38], 4, v[140:141]
	v_cvt_f64_f32_e32 v[124:125], v3
	v_cvt_f64_f32_e32 v[126:127], v6
	;; [unrolled: 1-line block ×5, first 2 shown]
	v_add_co_u32 v122, vcc_lo, s4, v37
	v_add_co_ci_u32_e32 v123, vcc_lo, s5, v38, vcc_lo
	s_clause 0x1
	global_load_b128 v[37:40], v[122:123], off
	global_load_b128 v[100:103], v[122:123], off offset:16
	v_cvt_f64_f32_e32 v[130:131], v54
	v_cvt_f64_f32_e32 v[54:55], v55
	v_cmp_ge_i32_e32 vcc_lo, v47, v50
	s_or_b32 s10, vcc_lo, s10
	s_waitcnt vmcnt(15)
	v_fma_f64 v[110:111], v[132:133], v[60:61], v[110:111]
	v_fma_f64 v[104:105], v[0:1], v[60:61], v[104:105]
	;; [unrolled: 1-line block ×8, first 2 shown]
	v_cvt_f64_f32_e32 v[120:121], v2
	v_fma_f64 v[0:1], -v[0:1], v[62:63], v[110:111]
	v_fma_f64 v[2:3], v[132:133], v[62:63], v[104:105]
	v_fma_f64 v[4:5], -v[4:5], v[62:63], v[108:109]
	v_fma_f64 v[104:105], v[134:135], v[62:63], v[112:113]
	;; [unrolled: 2-line block ×4, first 2 shown]
	s_waitcnt vmcnt(14)
	v_fma_f64 v[62:63], v[120:121], v[64:65], v[0:1]
	v_fma_f64 v[110:111], v[124:125], v[64:65], v[2:3]
	;; [unrolled: 1-line block ×8, first 2 shown]
	global_load_b128 v[0:3], v[106:107], off offset:16
	v_cvt_f64_f32_e32 v[106:107], v56
	v_cvt_f64_f32_e32 v[56:57], v57
	s_waitcnt vmcnt(14)
	v_cvt_f64_f32_e32 v[64:65], v68
	v_cvt_f64_f32_e32 v[68:69], v69
	s_waitcnt vmcnt(13)
	;; [unrolled: 3-line block ×3, first 2 shown]
	v_cvt_f64_f32_e32 v[114:115], v76
	v_cvt_f64_f32_e32 v[76:77], v77
	;; [unrolled: 1-line block ×4, first 2 shown]
	v_fma_f64 v[62:63], -v[124:125], v[66:67], v[62:63]
	v_fma_f64 v[110:111], v[120:121], v[66:67], v[110:111]
	v_fma_f64 v[116:117], -v[6:7], v[66:67], v[4:5]
	v_fma_f64 v[104:105], v[126:127], v[66:67], v[104:105]
	;; [unrolled: 2-line block ×4, first 2 shown]
	s_clause 0x1
	global_load_b128 v[4:7], v[122:123], off offset:32
	global_load_b128 v[52:55], v[122:123], off offset:48
	v_cvt_f64_f32_e32 v[120:121], v78
	v_cvt_f64_f32_e32 v[78:79], v79
	s_waitcnt vmcnt(13)
	v_fma_f64 v[62:63], v[64:65], v[80:81], v[62:63]
	v_fma_f64 v[66:67], v[68:69], v[80:81], v[110:111]
	;; [unrolled: 1-line block ×8, first 2 shown]
	v_cvt_f64_f32_e32 v[80:81], v70
	v_cvt_f64_f32_e32 v[70:71], v71
	;; [unrolled: 1-line block ×4, first 2 shown]
	v_fma_f64 v[62:63], -v[68:69], v[82:83], v[62:63]
	v_fma_f64 v[64:65], v[64:65], v[82:83], v[66:67]
	v_fma_f64 v[56:57], -v[56:57], v[82:83], v[110:111]
	v_fma_f64 v[66:67], v[106:107], v[82:83], v[104:105]
	;; [unrolled: 2-line block ×4, first 2 shown]
	s_waitcnt vmcnt(12)
	v_fma_f64 v[62:63], v[80:81], v[84:85], v[62:63]
	v_fma_f64 v[64:65], v[70:71], v[84:85], v[64:65]
	;; [unrolled: 1-line block ×8, first 2 shown]
	s_waitcnt vmcnt(11)
	v_cvt_f64_f32_e32 v[72:73], v8
	v_cvt_f64_f32_e32 v[8:9], v9
	s_waitcnt vmcnt(9)
	v_cvt_f64_f32_e32 v[76:77], v29
	v_cvt_f64_f32_e32 v[29:30], v30
	;; [unrolled: 3-line block ×4, first 2 shown]
	v_fma_f64 v[62:63], -v[70:71], v[86:87], v[62:63]
	v_fma_f64 v[64:65], v[80:81], v[86:87], v[64:65]
	v_fma_f64 v[56:57], -v[58:59], v[86:87], v[56:57]
	v_fma_f64 v[58:59], v[116:117], v[86:87], v[66:67]
	;; [unrolled: 2-line block ×4, first 2 shown]
	v_cvt_f64_f32_e32 v[68:69], v31
	v_cvt_f64_f32_e32 v[31:32], v32
	v_cvt_f64_f32_e32 v[70:71], v90
	v_cvt_f64_f32_e32 v[74:75], v91
	v_cvt_f64_f32_e32 v[78:79], v98
	v_cvt_f64_f32_e32 v[80:81], v99
	s_waitcnt vmcnt(4)
	v_fma_f64 v[62:63], v[72:73], v[37:38], v[62:63]
	v_fma_f64 v[64:65], v[8:9], v[37:38], v[64:65]
	;; [unrolled: 1-line block ×8, first 2 shown]
	v_cvt_f64_f32_e32 v[60:61], v10
	v_cvt_f64_f32_e32 v[10:11], v11
	v_fma_f64 v[8:9], -v[8:9], v[39:40], v[62:63]
	v_fma_f64 v[62:63], v[72:73], v[39:40], v[64:65]
	v_fma_f64 v[29:30], -v[29:30], v[39:40], v[56:57]
	v_fma_f64 v[56:57], v[76:77], v[39:40], v[58:59]
	v_fma_f64 v[41:42], -v[84:85], v[39:40], v[41:42]
	v_fma_f64 v[43:44], v[82:83], v[39:40], v[43:44]
	v_fma_f64 v[58:59], -v[96:97], v[39:40], v[66:67]
	v_fma_f64 v[37:38], v[88:89], v[39:40], v[37:38]
	v_cvt_f64_f32_e32 v[64:65], v12
	v_cvt_f64_f32_e32 v[12:13], v13
	;; [unrolled: 1-line block ×6, first 2 shown]
	s_waitcnt vmcnt(3)
	v_fma_f64 v[8:9], v[60:61], v[100:101], v[8:9]
	v_fma_f64 v[39:40], v[10:11], v[100:101], v[62:63]
	;; [unrolled: 1-line block ×8, first 2 shown]
	s_waitcnt vmcnt(2)
	v_cvt_f64_f32_e32 v[62:63], v0
	v_cvt_f64_f32_e32 v[0:1], v1
	v_fma_f64 v[8:9], -v[10:11], v[102:103], v[8:9]
	v_fma_f64 v[10:11], v[60:61], v[102:103], v[39:40]
	v_fma_f64 v[29:30], -v[31:32], v[102:103], v[29:30]
	v_fma_f64 v[31:32], v[68:69], v[102:103], v[56:57]
	v_fma_f64 v[39:40], -v[74:75], v[102:103], v[41:42]
	v_fma_f64 v[41:42], v[70:71], v[102:103], v[43:44]
	v_fma_f64 v[43:44], -v[80:81], v[102:103], v[58:59]
	v_fma_f64 v[37:38], v[78:79], v[102:103], v[37:38]
	v_cvt_f64_f32_e32 v[56:57], v14
	v_cvt_f64_f32_e32 v[14:15], v15
	;; [unrolled: 1-line block ×6, first 2 shown]
	s_waitcnt vmcnt(1)
	v_fma_f64 v[8:9], v[62:63], v[4:5], v[8:9]
	v_fma_f64 v[10:11], v[0:1], v[4:5], v[10:11]
	;; [unrolled: 1-line block ×8, first 2 shown]
	v_cvt_f64_f32_e32 v[37:38], v2
	v_cvt_f64_f32_e32 v[2:3], v3
	v_fma_f64 v[0:1], -v[0:1], v[6:7], v[8:9]
	v_fma_f64 v[8:9], v[62:63], v[6:7], v[10:11]
	v_fma_f64 v[10:11], -v[12:13], v[6:7], v[29:30]
	v_fma_f64 v[12:13], v[64:65], v[6:7], v[31:32]
	;; [unrolled: 2-line block ×4, first 2 shown]
	s_waitcnt vmcnt(0)
	v_fma_f64 v[0:1], v[37:38], v[52:53], v[0:1]
	v_fma_f64 v[6:7], v[2:3], v[52:53], v[8:9]
	;; [unrolled: 1-line block ×8, first 2 shown]
	v_fma_f64 v[35:36], -v[2:3], v[54:55], v[0:1]
	v_fma_f64 v[31:32], v[37:38], v[54:55], v[6:7]
	v_fma_f64 v[41:42], -v[14:15], v[54:55], v[8:9]
	v_fma_f64 v[33:34], v[56:57], v[54:55], v[10:11]
	v_fma_f64 v[43:44], -v[60:61], v[54:55], v[12:13]
	v_fma_f64 v[39:40], v[58:59], v[54:55], v[29:30]
	v_fma_f64 v[29:30], -v[70:71], v[54:55], v[62:63]
	v_fma_f64 v[37:38], v[68:69], v[54:55], v[4:5]
	s_and_not1_b32 exec_lo, exec_lo, s10
	s_cbranch_execnz .LBB168_23
; %bb.24:
	s_or_b32 exec_lo, exec_lo, s10
.LBB168_25:
	s_delay_alu instid0(SALU_CYCLE_1)
	s_or_b32 exec_lo, exec_lo, s7
.LBB168_26:
	s_delay_alu instid0(SALU_CYCLE_1)
	s_or_b32 exec_lo, exec_lo, s6
	s_cbranch_execz .LBB168_28
	s_branch .LBB168_39
.LBB168_27:
                                        ; implicit-def: $vgpr31_vgpr32
                                        ; implicit-def: $vgpr35_vgpr36
                                        ; implicit-def: $vgpr33_vgpr34
                                        ; implicit-def: $vgpr41_vgpr42
                                        ; implicit-def: $vgpr39_vgpr40
                                        ; implicit-def: $vgpr43_vgpr44
                                        ; implicit-def: $vgpr37_vgpr38
                                        ; implicit-def: $vgpr29_vgpr30
.LBB168_28:
	v_mov_b32_e32 v31, 0
	v_mov_b32_e32 v32, 0
	s_delay_alu instid0(VALU_DEP_1)
	v_dual_mov_b32 v29, v31 :: v_dual_mov_b32 v30, v32
	v_dual_mov_b32 v36, v32 :: v_dual_mov_b32 v35, v31
	;; [unrolled: 1-line block ×7, first 2 shown]
	s_and_saveexec_b32 s1, s0
	s_cbranch_execz .LBB168_38
; %bb.29:
	v_dual_mov_b32 v29, 0 :: v_dual_add_nc_u32 v0, v51, v49
	v_mov_b32_e32 v30, 0
	v_not_b32_e32 v1, v51
	s_mov_b32 s7, 0
	s_delay_alu instid0(VALU_DEP_3) | instskip(SKIP_2) | instid1(VALU_DEP_2)
	v_subrev_nc_u32_e32 v0, s12, v0
	s_mov_b32 s6, exec_lo
	v_dual_mov_b32 v38, v30 :: v_dual_mov_b32 v37, v29
	v_add_nc_u32_e32 v0, 32, v0
	s_delay_alu instid0(VALU_DEP_1) | instskip(NEXT) | instid1(VALU_DEP_1)
	v_max_i32_e32 v0, v0, v50
	v_add3_u32 v0, v0, s12, v1
	s_delay_alu instid0(VALU_DEP_1) | instskip(NEXT) | instid1(VALU_DEP_1)
	v_sub_nc_u32_e32 v0, v0, v49
	v_lshrrev_b32_e32 v1, 5, v0
	s_delay_alu instid0(VALU_DEP_1) | instskip(SKIP_2) | instid1(VALU_DEP_3)
	v_dual_mov_b32 v44, v30 :: v_dual_add_nc_u32 v1, 1, v1
	v_dual_mov_b32 v43, v29 :: v_dual_mov_b32 v40, v30
	v_mov_b32_e32 v39, v29
	v_dual_mov_b32 v42, v30 :: v_dual_and_b32 v1, 3, v1
	v_dual_mov_b32 v41, v29 :: v_dual_mov_b32 v34, v30
	v_dual_mov_b32 v33, v29 :: v_dual_mov_b32 v36, v30
	;; [unrolled: 1-line block ×3, first 2 shown]
	v_mov_b32_e32 v31, v29
	v_cmpx_ne_u32_e32 0, v1
	s_cbranch_execz .LBB168_33
; %bb.30:
	v_mov_b32_e32 v31, 0
	v_dual_mov_b32 v32, 0 :: v_dual_lshlrev_b32 v1, 7, v1
	s_delay_alu instid0(VALU_DEP_1)
	v_dual_mov_b32 v29, v31 :: v_dual_mov_b32 v30, v32
	v_dual_mov_b32 v36, v32 :: v_dual_mov_b32 v35, v31
	;; [unrolled: 1-line block ×7, first 2 shown]
.LBB168_31:                             ; =>This Inner Loop Header: Depth=1
	v_ashrrev_i32_e32 v26, 31, v25
	v_add_nc_u32_e32 v1, 0xffffff80, v1
	s_delay_alu instid0(VALU_DEP_2) | instskip(NEXT) | instid1(VALU_DEP_2)
	v_lshlrev_b64 v[2:3], 2, v[25:26]
	v_cmp_eq_u32_e64 s0, 0, v1
	v_add_nc_u32_e32 v25, 32, v25
	s_delay_alu instid0(VALU_DEP_2) | instskip(NEXT) | instid1(VALU_DEP_3)
	s_or_b32 s7, s0, s7
	v_add_co_u32 v2, vcc_lo, s8, v2
	s_delay_alu instid0(VALU_DEP_4)
	v_add_co_ci_u32_e32 v3, vcc_lo, s9, v3, vcc_lo
	global_load_b32 v10, v[2:3], off
	s_clause 0x1
	global_load_b128 v[2:5], v[27:28], off
	global_load_b128 v[6:9], v[27:28], off offset:16
	s_waitcnt vmcnt(2)
	v_subrev_nc_u32_e32 v10, s12, v10
	s_waitcnt vmcnt(1)
	v_cvt_f64_f32_e32 v[83:84], v4
	v_cvt_f64_f32_e32 v[4:5], v5
	s_waitcnt vmcnt(0)
	v_cvt_f64_f32_e32 v[85:86], v6
	v_cvt_f64_f32_e32 v[6:7], v7
	v_lshlrev_b32_e32 v10, 2, v10
	v_cvt_f64_f32_e32 v[87:88], v8
	v_cvt_f64_f32_e32 v[8:9], v9
	s_delay_alu instid0(VALU_DEP_3) | instskip(NEXT) | instid1(VALU_DEP_1)
	v_ashrrev_i32_e32 v11, 31, v10
	v_lshlrev_b64 v[10:11], 4, v[10:11]
	s_waitcnt lgkmcnt(0)
	s_delay_alu instid0(VALU_DEP_1) | instskip(NEXT) | instid1(VALU_DEP_2)
	v_add_co_u32 v14, vcc_lo, s4, v10
	v_add_co_ci_u32_e32 v15, vcc_lo, s5, v11, vcc_lo
	s_clause 0x1
	global_load_b128 v[10:13], v[14:15], off
	global_load_b128 v[45:48], v[14:15], off offset:16
	s_clause 0x3
	global_load_b128 v[51:54], v[27:28], off offset:32
	global_load_b128 v[55:58], v[27:28], off offset:48
	;; [unrolled: 1-line block ×4, first 2 shown]
	s_clause 0x1
	global_load_b128 v[67:70], v[14:15], off offset:32
	global_load_b128 v[71:74], v[14:15], off offset:48
	s_clause 0x1
	global_load_b128 v[75:78], v[27:28], off offset:96
	global_load_b128 v[79:82], v[27:28], off offset:112
	v_cvt_f64_f32_e32 v[14:15], v2
	v_cvt_f64_f32_e32 v[2:3], v3
	v_add_co_u32 v27, vcc_lo, 0x1000, v27
	v_add_co_ci_u32_e32 v28, vcc_lo, 0, v28, vcc_lo
	s_waitcnt vmcnt(9)
	s_delay_alu instid0(VALU_DEP_4) | instskip(NEXT) | instid1(VALU_DEP_4)
	v_fma_f64 v[35:36], v[14:15], v[10:11], v[35:36]
	v_fma_f64 v[31:32], v[2:3], v[10:11], v[31:32]
	;; [unrolled: 1-line block ×8, first 2 shown]
	s_waitcnt vmcnt(7)
	v_cvt_f64_f32_e32 v[37:38], v51
	v_cvt_f64_f32_e32 v[51:52], v52
	;; [unrolled: 1-line block ×4, first 2 shown]
	s_waitcnt vmcnt(6)
	v_cvt_f64_f32_e32 v[91:92], v55
	v_cvt_f64_f32_e32 v[55:56], v56
	;; [unrolled: 1-line block ×4, first 2 shown]
	v_fma_f64 v[2:3], -v[2:3], v[12:13], v[35:36]
	v_fma_f64 v[14:15], v[14:15], v[12:13], v[31:32]
	v_fma_f64 v[4:5], -v[4:5], v[12:13], v[41:42]
	v_fma_f64 v[31:32], v[83:84], v[12:13], v[33:34]
	;; [unrolled: 2-line block ×4, first 2 shown]
	s_waitcnt vmcnt(5)
	v_cvt_f64_f32_e32 v[35:36], v61
	v_cvt_f64_f32_e32 v[39:40], v62
	s_waitcnt vmcnt(4)
	v_cvt_f64_f32_e32 v[41:42], v63
	v_cvt_f64_f32_e32 v[43:44], v64
	;; [unrolled: 3-line block ×3, first 2 shown]
	v_fma_f64 v[2:3], v[37:38], v[45:46], v[2:3]
	v_fma_f64 v[12:13], v[51:52], v[45:46], v[14:15]
	;; [unrolled: 1-line block ×8, first 2 shown]
	v_cvt_f64_f32_e32 v[31:32], v59
	v_cvt_f64_f32_e32 v[33:34], v60
	;; [unrolled: 1-line block ×4, first 2 shown]
	v_fma_f64 v[2:3], -v[51:52], v[47:48], v[2:3]
	v_fma_f64 v[12:13], v[37:38], v[47:48], v[12:13]
	v_fma_f64 v[4:5], -v[53:54], v[47:48], v[4:5]
	v_fma_f64 v[14:15], v[89:90], v[47:48], v[14:15]
	;; [unrolled: 2-line block ×4, first 2 shown]
	v_cvt_f64_f32_e32 v[37:38], v75
	v_cvt_f64_f32_e32 v[47:48], v76
	;; [unrolled: 1-line block ×6, first 2 shown]
	v_fma_f64 v[2:3], v[31:32], v[67:68], v[2:3]
	v_fma_f64 v[12:13], v[33:34], v[67:68], v[12:13]
	;; [unrolled: 1-line block ×8, first 2 shown]
	v_fma_f64 v[2:3], -v[33:34], v[69:70], v[2:3]
	v_fma_f64 v[12:13], v[31:32], v[69:70], v[12:13]
	v_fma_f64 v[4:5], -v[39:40], v[69:70], v[4:5]
	v_fma_f64 v[14:15], v[35:36], v[69:70], v[14:15]
	;; [unrolled: 2-line block ×4, first 2 shown]
	v_fma_f64 v[2:3], v[37:38], v[71:72], v[2:3]
	v_fma_f64 v[12:13], v[47:48], v[71:72], v[12:13]
	;; [unrolled: 1-line block ×8, first 2 shown]
	v_fma_f64 v[35:36], -v[47:48], v[73:74], v[2:3]
	v_fma_f64 v[31:32], v[37:38], v[73:74], v[12:13]
	v_fma_f64 v[41:42], -v[53:54], v[73:74], v[4:5]
	v_fma_f64 v[33:34], v[51:52], v[73:74], v[14:15]
	;; [unrolled: 2-line block ×4, first 2 shown]
	s_and_not1_b32 exec_lo, exec_lo, s7
	s_cbranch_execnz .LBB168_31
; %bb.32:
	s_or_b32 exec_lo, exec_lo, s7
.LBB168_33:
	s_delay_alu instid0(SALU_CYCLE_1) | instskip(NEXT) | instid1(SALU_CYCLE_1)
	s_or_b32 exec_lo, exec_lo, s6
	s_mov_b32 s6, exec_lo
	v_cmpx_lt_u32_e32 0x5f, v0
	s_cbranch_execz .LBB168_37
; %bb.34:
	s_mov_b32 s7, 0
.LBB168_35:                             ; =>This Inner Loop Header: Depth=1
	v_ashrrev_i32_e32 v26, 31, v25
	s_delay_alu instid0(VALU_DEP_1) | instskip(SKIP_1) | instid1(VALU_DEP_2)
	v_lshlrev_b64 v[0:1], 2, v[25:26]
	v_add_nc_u32_e32 v25, 0x80, v25
	v_add_co_u32 v0, vcc_lo, s8, v0
	s_delay_alu instid0(VALU_DEP_3)
	v_add_co_ci_u32_e32 v1, vcc_lo, s9, v1, vcc_lo
	global_load_b32 v2, v[0:1], off
	s_clause 0x1
	global_load_b128 v[12:15], v[27:28], off
	global_load_b128 v[8:11], v[27:28], off offset:16
	s_clause 0x2
	global_load_b32 v46, v[0:1], off offset:128
	global_load_b32 v45, v[0:1], off offset:256
	;; [unrolled: 1-line block ×3, first 2 shown]
	s_waitcnt vmcnt(5)
	v_subrev_nc_u32_e32 v0, s12, v2
	s_waitcnt vmcnt(4)
	v_cvt_f64_f32_e32 v[93:94], v12
	s_waitcnt vmcnt(3)
	v_cvt_f64_f32_e32 v[101:102], v8
	s_waitcnt vmcnt(2)
	v_subrev_nc_u32_e32 v8, s12, v46
	v_cvt_f64_f32_e32 v[95:96], v13
	v_lshlrev_b32_e32 v0, 2, v0
	v_cvt_f64_f32_e32 v[97:98], v14
	v_cvt_f64_f32_e32 v[99:100], v15
	;; [unrolled: 1-line block ×4, first 2 shown]
	v_ashrrev_i32_e32 v1, 31, v0
	v_cvt_f64_f32_e32 v[107:108], v11
	v_lshlrev_b32_e32 v8, 2, v8
	s_waitcnt vmcnt(1)
	v_subrev_nc_u32_e32 v45, s12, v45
	s_waitcnt vmcnt(0)
	v_subrev_nc_u32_e32 v26, s12, v26
	v_lshlrev_b64 v[0:1], 4, v[0:1]
	v_ashrrev_i32_e32 v9, 31, v8
	v_lshlrev_b32_e32 v45, 2, v45
	s_waitcnt lgkmcnt(0)
	s_delay_alu instid0(VALU_DEP_3) | instskip(NEXT) | instid1(VALU_DEP_4)
	v_add_co_u32 v47, vcc_lo, s4, v0
	v_add_co_ci_u32_e32 v48, vcc_lo, s5, v1, vcc_lo
	v_lshlrev_b64 v[8:9], 4, v[8:9]
	s_clause 0x1
	global_load_b128 v[4:7], v[47:48], off
	global_load_b128 v[0:3], v[47:48], off offset:16
	s_clause 0x3
	global_load_b128 v[51:54], v[27:28], off offset:32
	global_load_b128 v[55:58], v[27:28], off offset:48
	;; [unrolled: 1-line block ×5, first 2 shown]
	s_clause 0x1
	global_load_b128 v[71:74], v[27:28], off offset:96
	global_load_b128 v[75:78], v[27:28], off offset:112
	;; [unrolled: 1-line block ×3, first 2 shown]
	v_add_co_u32 v47, vcc_lo, v27, 0x2000
	v_add_co_ci_u32_e32 v48, vcc_lo, 0, v28, vcc_lo
	v_add_co_u32 v91, vcc_lo, 0x1000, v27
	v_add_co_ci_u32_e32 v92, vcc_lo, 0, v28, vcc_lo
	s_clause 0x1
	global_load_b128 v[83:86], v[47:48], off offset:-4096
	global_load_b128 v[87:90], v[91:92], off offset:16
	v_add_co_u32 v109, vcc_lo, s4, v8
	v_add_co_ci_u32_e32 v110, vcc_lo, s5, v9, vcc_lo
	s_clause 0x1
	global_load_b128 v[8:11], v[109:110], off
	global_load_b128 v[12:15], v[109:110], off offset:16
	s_waitcnt vmcnt(13)
	v_fma_f64 v[111:112], v[93:94], v[4:5], v[35:36]
	v_fma_f64 v[113:114], v[95:96], v[4:5], v[31:32]
	;; [unrolled: 1-line block ×8, first 2 shown]
	s_clause 0x1
	global_load_b128 v[29:32], v[91:92], off offset:32
	global_load_b128 v[33:36], v[91:92], off offset:48
	s_waitcnt vmcnt(13)
	v_cvt_f64_f32_e32 v[119:120], v51
	v_cvt_f64_f32_e32 v[51:52], v52
	;; [unrolled: 1-line block ×4, first 2 shown]
	s_waitcnt vmcnt(12)
	v_cvt_f64_f32_e32 v[123:124], v55
	v_cvt_f64_f32_e32 v[55:56], v56
	;; [unrolled: 1-line block ×4, first 2 shown]
	v_fma_f64 v[37:38], -v[95:96], v[6:7], v[111:112]
	v_fma_f64 v[93:94], v[93:94], v[6:7], v[113:114]
	v_fma_f64 v[41:42], -v[99:100], v[6:7], v[41:42]
	v_fma_f64 v[95:96], v[97:98], v[6:7], v[115:116]
	;; [unrolled: 2-line block ×4, first 2 shown]
	s_waitcnt vmcnt(11)
	v_cvt_f64_f32_e32 v[103:104], v59
	v_cvt_f64_f32_e32 v[59:60], v60
	v_cvt_f64_f32_e32 v[105:106], v61
	v_cvt_f64_f32_e32 v[61:62], v62
	s_waitcnt vmcnt(10)
	v_cvt_f64_f32_e32 v[107:108], v63
	v_cvt_f64_f32_e32 v[63:64], v64
	v_cvt_f64_f32_e32 v[111:112], v65
	v_cvt_f64_f32_e32 v[65:66], v66
	;; [unrolled: 5-line block ×3, first 2 shown]
	v_fma_f64 v[99:100], v[119:120], v[0:1], v[37:38]
	v_fma_f64 v[93:94], v[51:52], v[0:1], v[93:94]
	;; [unrolled: 1-line block ×8, first 2 shown]
	s_clause 0x1
	global_load_b128 v[4:7], v[91:92], off offset:64
	global_load_b128 v[37:40], v[91:92], off offset:80
	v_fma_f64 v[51:52], -v[51:52], v[2:3], v[99:100]
	v_fma_f64 v[93:94], v[119:120], v[2:3], v[93:94]
	v_fma_f64 v[41:42], -v[53:54], v[2:3], v[41:42]
	v_fma_f64 v[53:54], v[121:122], v[2:3], v[95:96]
	;; [unrolled: 2-line block ×4, first 2 shown]
	global_load_b128 v[0:3], v[109:110], off offset:32
	v_fma_f64 v[97:98], v[103:104], v[67:68], v[51:52]
	v_fma_f64 v[93:94], v[59:60], v[67:68], v[93:94]
	;; [unrolled: 1-line block ×8, first 2 shown]
	s_clause 0x1
	global_load_b128 v[41:44], v[91:92], off offset:96
	global_load_b128 v[51:54], v[91:92], off offset:112
	v_cvt_f64_f32_e32 v[91:92], v71
	v_cvt_f64_f32_e32 v[71:72], v72
	;; [unrolled: 1-line block ×4, first 2 shown]
	v_fma_f64 v[97:98], -v[59:60], v[69:70], v[97:98]
	v_fma_f64 v[93:94], v[103:104], v[69:70], v[93:94]
	v_fma_f64 v[99:100], -v[61:62], v[69:70], v[99:100]
	v_fma_f64 v[101:102], v[105:106], v[69:70], v[101:102]
	;; [unrolled: 2-line block ×4, first 2 shown]
	global_load_b128 v[55:58], v[109:110], off offset:48
	global_load_b128 v[59:62], v[47:48], off
	v_add_co_u32 v105, vcc_lo, 0x2000, v27
	v_add_co_ci_u32_e32 v106, vcc_lo, 0, v28, vcc_lo
	s_waitcnt vmcnt(12)
	v_cvt_f64_f32_e32 v[107:108], v85
	v_cvt_f64_f32_e32 v[85:86], v86
	s_waitcnt vmcnt(11)
	v_cvt_f64_f32_e32 v[109:110], v87
	v_cvt_f64_f32_e32 v[87:88], v88
	;; [unrolled: 1-line block ×4, first 2 shown]
	v_fma_f64 v[46:47], v[91:92], v[79:80], v[97:98]
	v_fma_f64 v[69:70], v[71:72], v[79:80], v[93:94]
	;; [unrolled: 1-line block ×8, first 2 shown]
	global_load_b128 v[63:66], v[105:106], off offset:16
	v_cvt_f64_f32_e32 v[79:80], v83
	v_cvt_f64_f32_e32 v[83:84], v84
	v_fma_f64 v[71:72], -v[71:72], v[81:82], v[46:47]
	v_fma_f64 v[69:70], v[91:92], v[81:82], v[69:70]
	v_fma_f64 v[73:74], -v[73:74], v[81:82], v[93:94]
	v_fma_f64 v[91:92], v[95:96], v[81:82], v[97:98]
	v_fma_f64 v[75:76], -v[75:76], v[81:82], v[99:100]
	v_fma_f64 v[93:94], v[115:116], v[81:82], v[101:102]
	v_fma_f64 v[77:78], -v[77:78], v[81:82], v[103:104]
	v_fma_f64 v[67:68], v[117:118], v[81:82], v[67:68]
	v_ashrrev_i32_e32 v46, 31, v45
	s_delay_alu instid0(VALU_DEP_1) | instskip(NEXT) | instid1(VALU_DEP_1)
	v_lshlrev_b64 v[45:46], 4, v[45:46]
	v_add_co_u32 v81, vcc_lo, s4, v45
	s_delay_alu instid0(VALU_DEP_2)
	v_add_co_ci_u32_e32 v82, vcc_lo, s5, v46, vcc_lo
	global_load_b128 v[45:48], v[81:82], off
	s_waitcnt vmcnt(12)
	v_fma_f64 v[95:96], v[79:80], v[8:9], v[71:72]
	v_fma_f64 v[97:98], v[83:84], v[8:9], v[69:70]
	;; [unrolled: 1-line block ×8, first 2 shown]
	s_clause 0x1
	global_load_b128 v[67:70], v[105:106], off offset:32
	global_load_b128 v[71:74], v[105:106], off offset:48
	s_waitcnt vmcnt(12)
	v_cvt_f64_f32_e32 v[101:102], v29
	v_cvt_f64_f32_e32 v[103:104], v30
	;; [unrolled: 1-line block ×4, first 2 shown]
	s_waitcnt vmcnt(11)
	v_cvt_f64_f32_e32 v[117:118], v33
	v_cvt_f64_f32_e32 v[119:120], v34
	;; [unrolled: 1-line block ×4, first 2 shown]
	v_fma_f64 v[29:30], -v[83:84], v[10:11], v[95:96]
	v_fma_f64 v[31:32], v[79:80], v[10:11], v[97:98]
	v_fma_f64 v[33:34], -v[85:86], v[10:11], v[99:100]
	v_fma_f64 v[35:36], v[107:108], v[10:11], v[91:92]
	;; [unrolled: 2-line block ×4, first 2 shown]
	global_load_b128 v[8:11], v[81:82], off offset:16
	v_fma_f64 v[85:86], v[101:102], v[12:13], v[29:30]
	v_fma_f64 v[87:88], v[103:104], v[12:13], v[31:32]
	;; [unrolled: 1-line block ×8, first 2 shown]
	s_clause 0x1
	global_load_b128 v[29:32], v[105:106], off offset:64
	global_load_b128 v[33:36], v[105:106], off offset:80
	s_waitcnt vmcnt(13)
	v_cvt_f64_f32_e32 v[83:84], v4
	v_cvt_f64_f32_e32 v[93:94], v5
	;; [unrolled: 1-line block ×4, first 2 shown]
	s_waitcnt vmcnt(12)
	v_cvt_f64_f32_e32 v[99:100], v37
	v_cvt_f64_f32_e32 v[107:108], v38
	;; [unrolled: 1-line block ×4, first 2 shown]
	global_load_b128 v[4:7], v[81:82], off offset:32
	v_fma_f64 v[37:38], -v[103:104], v[14:15], v[85:86]
	v_fma_f64 v[39:40], v[101:102], v[14:15], v[87:88]
	v_fma_f64 v[85:86], -v[115:116], v[14:15], v[89:90]
	v_fma_f64 v[87:88], v[113:114], v[14:15], v[91:92]
	;; [unrolled: 2-line block ×4, first 2 shown]
	s_waitcnt vmcnt(12)
	v_fma_f64 v[89:90], v[83:84], v[0:1], v[37:38]
	v_fma_f64 v[91:92], v[93:94], v[0:1], v[39:40]
	;; [unrolled: 1-line block ×8, first 2 shown]
	s_clause 0x1
	global_load_b128 v[12:15], v[105:106], off offset:96
	global_load_b128 v[37:40], v[105:106], off offset:112
	s_waitcnt vmcnt(13)
	v_cvt_f64_f32_e32 v[101:102], v41
	v_cvt_f64_f32_e32 v[103:104], v42
	;; [unrolled: 1-line block ×4, first 2 shown]
	s_waitcnt vmcnt(12)
	v_cvt_f64_f32_e32 v[115:116], v51
	v_cvt_f64_f32_e32 v[117:118], v52
	;; [unrolled: 1-line block ×4, first 2 shown]
	v_fma_f64 v[41:42], -v[93:94], v[2:3], v[89:90]
	v_fma_f64 v[43:44], v[83:84], v[2:3], v[91:92]
	v_fma_f64 v[51:52], -v[97:98], v[2:3], v[85:86]
	v_fma_f64 v[53:54], v[95:96], v[2:3], v[87:88]
	;; [unrolled: 2-line block ×4, first 2 shown]
	global_load_b128 v[0:3], v[81:82], off offset:48
	v_add_co_u32 v81, vcc_lo, 0x3000, v27
	v_add_co_ci_u32_e32 v82, vcc_lo, 0, v28, vcc_lo
	v_add_co_u32 v27, s0, 0x4000, v27
	s_delay_alu instid0(VALU_DEP_1)
	v_add_co_ci_u32_e64 v28, s0, 0, v28, s0
	s_waitcnt vmcnt(11)
	v_cvt_f64_f32_e32 v[93:94], v60
	v_cvt_f64_f32_e32 v[95:96], v61
	;; [unrolled: 1-line block ×3, first 2 shown]
	v_fma_f64 v[85:86], v[101:102], v[55:56], v[41:42]
	v_fma_f64 v[87:88], v[103:104], v[55:56], v[43:44]
	;; [unrolled: 1-line block ×8, first 2 shown]
	s_clause 0x1
	global_load_b128 v[41:44], v[81:82], off
	global_load_b128 v[51:54], v[81:82], off offset:16
	v_cvt_f64_f32_e32 v[83:84], v59
	v_lshlrev_b32_e32 v59, 2, v26
	s_delay_alu instid0(VALU_DEP_1)
	v_ashrrev_i32_e32 v60, 31, v59
	s_waitcnt vmcnt(12)
	v_cvt_f64_f32_e32 v[99:100], v63
	v_cvt_f64_f32_e32 v[107:108], v64
	v_cvt_f64_f32_e32 v[109:110], v65
	v_cvt_f64_f32_e32 v[111:112], v66
	v_fma_f64 v[61:62], -v[103:104], v[57:58], v[85:86]
	v_fma_f64 v[63:64], v[101:102], v[57:58], v[87:88]
	v_fma_f64 v[65:66], -v[113:114], v[57:58], v[89:90]
	v_fma_f64 v[85:86], v[105:106], v[57:58], v[91:92]
	;; [unrolled: 2-line block ×4, first 2 shown]
	v_lshlrev_b64 v[55:56], 4, v[59:60]
	s_delay_alu instid0(VALU_DEP_1) | instskip(NEXT) | instid1(VALU_DEP_2)
	v_add_co_u32 v89, vcc_lo, s4, v55
	v_add_co_ci_u32_e32 v90, vcc_lo, s5, v56, vcc_lo
	v_cmp_ge_i32_e32 vcc_lo, v25, v50
	global_load_b128 v[55:58], v[89:90], off
	s_or_b32 s7, vcc_lo, s7
	s_waitcnt vmcnt(12)
	v_fma_f64 v[91:92], v[83:84], v[45:46], v[61:62]
	v_fma_f64 v[101:102], v[93:94], v[45:46], v[63:64]
	v_fma_f64 v[103:104], v[95:96], v[45:46], v[65:66]
	v_fma_f64 v[85:86], v[97:98], v[45:46], v[85:86]
	v_fma_f64 v[75:76], v[99:100], v[45:46], v[75:76]
	v_fma_f64 v[79:80], v[107:108], v[45:46], v[79:80]
	v_fma_f64 v[77:78], v[109:110], v[45:46], v[77:78]
	v_fma_f64 v[45:46], v[111:112], v[45:46], v[87:88]
	s_clause 0x1
	global_load_b128 v[59:62], v[81:82], off offset:32
	global_load_b128 v[63:66], v[81:82], off offset:48
	s_waitcnt vmcnt(13)
	v_cvt_f64_f32_e32 v[87:88], v67
	v_cvt_f64_f32_e32 v[105:106], v68
	v_cvt_f64_f32_e32 v[113:114], v69
	v_cvt_f64_f32_e32 v[115:116], v70
	s_waitcnt vmcnt(12)
	v_cvt_f64_f32_e32 v[117:118], v71
	v_cvt_f64_f32_e32 v[119:120], v72
	v_cvt_f64_f32_e32 v[121:122], v73
	v_cvt_f64_f32_e32 v[123:124], v74
	v_fma_f64 v[67:68], -v[93:94], v[47:48], v[91:92]
	v_fma_f64 v[69:70], v[83:84], v[47:48], v[101:102]
	v_fma_f64 v[71:72], -v[97:98], v[47:48], v[103:104]
	v_fma_f64 v[73:74], v[95:96], v[47:48], v[85:86]
	v_fma_f64 v[75:76], -v[107:108], v[47:48], v[75:76]
	v_fma_f64 v[79:80], v[99:100], v[47:48], v[79:80]
	v_fma_f64 v[77:78], -v[111:112], v[47:48], v[77:78]
	v_fma_f64 v[83:84], v[109:110], v[47:48], v[45:46]
	global_load_b128 v[45:48], v[89:90], off offset:16
	s_waitcnt vmcnt(12)
	v_fma_f64 v[85:86], v[87:88], v[8:9], v[67:68]
	v_fma_f64 v[91:92], v[105:106], v[8:9], v[69:70]
	v_fma_f64 v[93:94], v[113:114], v[8:9], v[71:72]
	v_fma_f64 v[95:96], v[115:116], v[8:9], v[73:74]
	v_fma_f64 v[75:76], v[117:118], v[8:9], v[75:76]
	v_fma_f64 v[79:80], v[119:120], v[8:9], v[79:80]
	v_fma_f64 v[77:78], v[121:122], v[8:9], v[77:78]
	v_fma_f64 v[8:9], v[123:124], v[8:9], v[83:84]
	s_clause 0x1
	global_load_b128 v[67:70], v[81:82], off offset:64
	global_load_b128 v[71:74], v[81:82], off offset:80
	s_waitcnt vmcnt(13)
	v_cvt_f64_f32_e32 v[83:84], v29
	v_cvt_f64_f32_e32 v[97:98], v30
	v_cvt_f64_f32_e32 v[99:100], v31
	v_cvt_f64_f32_e32 v[101:102], v32
	s_waitcnt vmcnt(12)
	v_cvt_f64_f32_e32 v[103:104], v33
	v_cvt_f64_f32_e32 v[107:108], v34
	v_cvt_f64_f32_e32 v[109:110], v35
	v_cvt_f64_f32_e32 v[111:112], v36
	v_fma_f64 v[29:30], -v[105:106], v[10:11], v[85:86]
	v_fma_f64 v[31:32], v[87:88], v[10:11], v[91:92]
	v_fma_f64 v[33:34], -v[115:116], v[10:11], v[93:94]
	v_fma_f64 v[35:36], v[113:114], v[10:11], v[95:96]
	v_fma_f64 v[75:76], -v[119:120], v[10:11], v[75:76]
	v_fma_f64 v[79:80], v[117:118], v[10:11], v[79:80]
	v_fma_f64 v[77:78], -v[123:124], v[10:11], v[77:78]
	v_fma_f64 v[85:86], v[121:122], v[10:11], v[8:9]
	global_load_b128 v[8:11], v[89:90], off offset:32
	;; [unrolled: 31-line block ×3, first 2 shown]
	s_waitcnt vmcnt(12)
	v_fma_f64 v[87:88], v[81:82], v[0:1], v[87:88]
	v_fma_f64 v[83:84], v[12:13], v[0:1], v[83:84]
	v_fma_f64 v[89:90], v[85:86], v[0:1], v[91:92]
	v_fma_f64 v[91:92], v[14:15], v[0:1], v[93:94]
	v_fma_f64 v[75:76], v[105:106], v[0:1], v[75:76]
	v_fma_f64 v[79:80], v[37:38], v[0:1], v[79:80]
	v_fma_f64 v[77:78], v[113:114], v[0:1], v[77:78]
	v_fma_f64 v[0:1], v[39:40], v[0:1], v[95:96]
	s_waitcnt vmcnt(11)
	v_cvt_f64_f32_e32 v[93:94], v41
	v_cvt_f64_f32_e32 v[41:42], v42
	v_cvt_f64_f32_e32 v[95:96], v43
	v_cvt_f64_f32_e32 v[43:44], v44
	s_waitcnt vmcnt(10)
	v_cvt_f64_f32_e32 v[97:98], v51
	v_cvt_f64_f32_e32 v[51:52], v52
	v_cvt_f64_f32_e32 v[99:100], v53
	v_cvt_f64_f32_e32 v[53:54], v54
	v_fma_f64 v[12:13], -v[12:13], v[2:3], v[87:88]
	v_fma_f64 v[81:82], v[81:82], v[2:3], v[83:84]
	v_fma_f64 v[14:15], -v[14:15], v[2:3], v[89:90]
	v_fma_f64 v[83:84], v[85:86], v[2:3], v[91:92]
	v_fma_f64 v[37:38], -v[37:38], v[2:3], v[75:76]
	v_fma_f64 v[75:76], v[105:106], v[2:3], v[79:80]
	v_fma_f64 v[39:40], -v[39:40], v[2:3], v[77:78]
	v_fma_f64 v[0:1], v[113:114], v[2:3], v[0:1]
	s_waitcnt vmcnt(9)
	v_fma_f64 v[2:3], v[93:94], v[55:56], v[12:13]
	v_fma_f64 v[12:13], v[41:42], v[55:56], v[81:82]
	v_fma_f64 v[14:15], v[95:96], v[55:56], v[14:15]
	v_fma_f64 v[77:78], v[43:44], v[55:56], v[83:84]
	v_fma_f64 v[37:38], v[97:98], v[55:56], v[37:38]
	v_fma_f64 v[75:76], v[51:52], v[55:56], v[75:76]
	v_fma_f64 v[39:40], v[99:100], v[55:56], v[39:40]
	v_fma_f64 v[0:1], v[53:54], v[55:56], v[0:1]
	s_waitcnt vmcnt(8)
	v_cvt_f64_f32_e32 v[55:56], v59
	v_cvt_f64_f32_e32 v[59:60], v60
	v_cvt_f64_f32_e32 v[79:80], v61
	v_cvt_f64_f32_e32 v[61:62], v62
	s_waitcnt vmcnt(7)
	v_cvt_f64_f32_e32 v[81:82], v63
	v_cvt_f64_f32_e32 v[63:64], v64
	v_cvt_f64_f32_e32 v[83:84], v65
	v_cvt_f64_f32_e32 v[65:66], v66
	v_fma_f64 v[2:3], -v[41:42], v[57:58], v[2:3]
	v_fma_f64 v[12:13], v[93:94], v[57:58], v[12:13]
	v_fma_f64 v[14:15], -v[43:44], v[57:58], v[14:15]
	v_fma_f64 v[41:42], v[95:96], v[57:58], v[77:78]
	v_fma_f64 v[37:38], -v[51:52], v[57:58], v[37:38]
	v_fma_f64 v[43:44], v[97:98], v[57:58], v[75:76]
	v_fma_f64 v[39:40], -v[53:54], v[57:58], v[39:40]
	v_fma_f64 v[0:1], v[99:100], v[57:58], v[0:1]
	s_waitcnt vmcnt(6)
	v_fma_f64 v[2:3], v[55:56], v[45:46], v[2:3]
	v_fma_f64 v[12:13], v[59:60], v[45:46], v[12:13]
	v_fma_f64 v[14:15], v[79:80], v[45:46], v[14:15]
	v_fma_f64 v[41:42], v[61:62], v[45:46], v[41:42]
	v_fma_f64 v[37:38], v[81:82], v[45:46], v[37:38]
	v_fma_f64 v[43:44], v[63:64], v[45:46], v[43:44]
	v_fma_f64 v[39:40], v[83:84], v[45:46], v[39:40]
	v_fma_f64 v[0:1], v[65:66], v[45:46], v[0:1]
	s_waitcnt vmcnt(5)
	v_cvt_f64_f32_e32 v[45:46], v67
	v_cvt_f64_f32_e32 v[51:52], v68
	v_cvt_f64_f32_e32 v[53:54], v69
	v_cvt_f64_f32_e32 v[57:58], v70
	s_waitcnt vmcnt(4)
	v_cvt_f64_f32_e32 v[67:68], v71
	v_cvt_f64_f32_e32 v[69:70], v72
	v_cvt_f64_f32_e32 v[71:72], v73
	v_cvt_f64_f32_e32 v[73:74], v74
	v_fma_f64 v[2:3], -v[59:60], v[47:48], v[2:3]
	v_fma_f64 v[12:13], v[55:56], v[47:48], v[12:13]
	v_fma_f64 v[14:15], -v[61:62], v[47:48], v[14:15]
	v_fma_f64 v[41:42], v[79:80], v[47:48], v[41:42]
	v_fma_f64 v[37:38], -v[63:64], v[47:48], v[37:38]
	v_fma_f64 v[43:44], v[81:82], v[47:48], v[43:44]
	v_fma_f64 v[39:40], -v[65:66], v[47:48], v[39:40]
	v_fma_f64 v[0:1], v[83:84], v[47:48], v[0:1]
	s_waitcnt vmcnt(3)
	v_fma_f64 v[2:3], v[45:46], v[8:9], v[2:3]
	v_fma_f64 v[12:13], v[51:52], v[8:9], v[12:13]
	v_fma_f64 v[14:15], v[53:54], v[8:9], v[14:15]
	v_fma_f64 v[41:42], v[57:58], v[8:9], v[41:42]
	v_fma_f64 v[37:38], v[67:68], v[8:9], v[37:38]
	v_fma_f64 v[43:44], v[69:70], v[8:9], v[43:44]
	v_fma_f64 v[39:40], v[71:72], v[8:9], v[39:40]
	v_fma_f64 v[0:1], v[73:74], v[8:9], v[0:1]
	s_waitcnt vmcnt(2)
	v_cvt_f64_f32_e32 v[8:9], v29
	v_cvt_f64_f32_e32 v[29:30], v30
	v_cvt_f64_f32_e32 v[47:48], v31
	v_cvt_f64_f32_e32 v[55:56], v32
	s_waitcnt vmcnt(1)
	v_cvt_f64_f32_e32 v[59:60], v33
	v_cvt_f64_f32_e32 v[61:62], v34
	v_cvt_f64_f32_e32 v[63:64], v35
	v_cvt_f64_f32_e32 v[65:66], v36
	v_fma_f64 v[2:3], -v[51:52], v[10:11], v[2:3]
	v_fma_f64 v[12:13], v[45:46], v[10:11], v[12:13]
	v_fma_f64 v[14:15], -v[57:58], v[10:11], v[14:15]
	v_fma_f64 v[31:32], v[53:54], v[10:11], v[41:42]
	v_fma_f64 v[33:34], -v[69:70], v[10:11], v[37:38]
	v_fma_f64 v[35:36], v[67:68], v[10:11], v[43:44]
	v_fma_f64 v[37:38], -v[73:74], v[10:11], v[39:40]
	v_fma_f64 v[0:1], v[71:72], v[10:11], v[0:1]
	s_waitcnt vmcnt(0)
	v_fma_f64 v[2:3], v[8:9], v[4:5], v[2:3]
	v_fma_f64 v[10:11], v[29:30], v[4:5], v[12:13]
	;; [unrolled: 1-line block ×8, first 2 shown]
	v_fma_f64 v[35:36], -v[29:30], v[6:7], v[2:3]
	v_fma_f64 v[31:32], v[8:9], v[6:7], v[10:11]
	v_fma_f64 v[41:42], -v[55:56], v[6:7], v[12:13]
	v_fma_f64 v[33:34], v[47:48], v[6:7], v[14:15]
	;; [unrolled: 2-line block ×4, first 2 shown]
	s_and_not1_b32 exec_lo, exec_lo, s7
	s_cbranch_execnz .LBB168_35
; %bb.36:
	s_or_b32 exec_lo, exec_lo, s7
.LBB168_37:
	s_delay_alu instid0(SALU_CYCLE_1)
	s_or_b32 exec_lo, exec_lo, s6
.LBB168_38:
	s_delay_alu instid0(SALU_CYCLE_1)
	s_or_b32 exec_lo, exec_lo, s1
.LBB168_39:
	v_mbcnt_lo_u32_b32 v45, -1, 0
	s_delay_alu instid0(VALU_DEP_1) | instskip(SKIP_1) | instid1(VALU_DEP_2)
	v_xor_b32_e32 v0, 16, v45
	v_xor_b32_e32 v25, 8, v45
	v_cmp_gt_i32_e32 vcc_lo, 32, v0
	v_cndmask_b32_e32 v0, v45, v0, vcc_lo
	s_delay_alu instid0(VALU_DEP_3) | instskip(NEXT) | instid1(VALU_DEP_2)
	v_cmp_gt_i32_e32 vcc_lo, 32, v25
	v_lshlrev_b32_e32 v15, 2, v0
	v_cndmask_b32_e32 v25, v45, v25, vcc_lo
	ds_bpermute_b32 v0, v15, v35
	ds_bpermute_b32 v1, v15, v36
	;; [unrolled: 1-line block ×16, first 2 shown]
	s_waitcnt lgkmcnt(0)
	v_add_f64 v[0:1], v[35:36], v[0:1]
	v_add_f64 v[2:3], v[31:32], v[2:3]
	;; [unrolled: 1-line block ×6, first 2 shown]
	v_lshlrev_b32_e32 v40, 2, v25
	v_add_f64 v[12:13], v[29:30], v[12:13]
	v_add_f64 v[14:15], v[37:38], v[14:15]
	ds_bpermute_b32 v25, v40, v0
	ds_bpermute_b32 v26, v40, v1
	;; [unrolled: 1-line block ×16, first 2 shown]
	s_waitcnt lgkmcnt(14)
	v_add_f64 v[0:1], v[0:1], v[25:26]
	v_xor_b32_e32 v25, 4, v45
	s_waitcnt lgkmcnt(12)
	v_add_f64 v[2:3], v[2:3], v[27:28]
	s_waitcnt lgkmcnt(10)
	v_add_f64 v[4:5], v[4:5], v[29:30]
	;; [unrolled: 2-line block ×3, first 2 shown]
	v_cmp_gt_i32_e32 vcc_lo, 32, v25
	s_waitcnt lgkmcnt(6)
	v_add_f64 v[8:9], v[8:9], v[33:34]
	s_waitcnt lgkmcnt(4)
	v_add_f64 v[10:11], v[10:11], v[35:36]
	;; [unrolled: 2-line block ×3, first 2 shown]
	v_cndmask_b32_e32 v25, v45, v25, vcc_lo
	s_waitcnt lgkmcnt(0)
	v_add_f64 v[14:15], v[14:15], v[39:40]
	s_delay_alu instid0(VALU_DEP_2)
	v_lshlrev_b32_e32 v40, 2, v25
	ds_bpermute_b32 v25, v40, v0
	ds_bpermute_b32 v26, v40, v1
	;; [unrolled: 1-line block ×16, first 2 shown]
	s_waitcnt lgkmcnt(14)
	v_add_f64 v[0:1], v[0:1], v[25:26]
	s_waitcnt lgkmcnt(12)
	v_add_f64 v[2:3], v[2:3], v[27:28]
	;; [unrolled: 2-line block ×8, first 2 shown]
	v_xor_b32_e32 v14, 2, v45
	s_delay_alu instid0(VALU_DEP_1) | instskip(SKIP_1) | instid1(VALU_DEP_1)
	v_cmp_gt_i32_e32 vcc_lo, 32, v14
	v_cndmask_b32_e32 v14, v45, v14, vcc_lo
	v_lshlrev_b32_e32 v40, 2, v14
	ds_bpermute_b32 v14, v40, v0
	ds_bpermute_b32 v15, v40, v1
	;; [unrolled: 1-line block ×16, first 2 shown]
	s_waitcnt lgkmcnt(14)
	v_add_f64 v[0:1], v[0:1], v[14:15]
	s_waitcnt lgkmcnt(12)
	v_add_f64 v[27:28], v[2:3], v[27:28]
	;; [unrolled: 2-line block ×7, first 2 shown]
	v_xor_b32_e32 v12, 1, v45
	s_waitcnt lgkmcnt(0)
	v_add_f64 v[8:9], v[25:26], v[39:40]
	s_delay_alu instid0(VALU_DEP_2) | instskip(SKIP_2) | instid1(VALU_DEP_2)
	v_cmp_gt_i32_e32 vcc_lo, 32, v12
	v_cndmask_b32_e32 v12, v45, v12, vcc_lo
	v_cmp_eq_u32_e32 vcc_lo, 31, v49
	v_lshlrev_b32_e32 v34, 2, v12
	ds_bpermute_b32 v12, v34, v0
	ds_bpermute_b32 v13, v34, v1
	;; [unrolled: 1-line block ×16, first 2 shown]
	s_and_b32 exec_lo, exec_lo, vcc_lo
	s_cbranch_execz .LBB168_12
; %bb.40:
	s_waitcnt lgkmcnt(12)
	v_add_f64 v[27:28], v[27:28], v[39:40]
	s_waitcnt lgkmcnt(8)
	v_add_f64 v[14:15], v[14:15], v[37:38]
	;; [unrolled: 2-line block ×4, first 2 shown]
	v_add_f64 v[0:1], v[0:1], v[12:13]
	v_add_f64 v[2:3], v[2:3], v[25:26]
	;; [unrolled: 1-line block ×4, first 2 shown]
	v_cmp_eq_f64_e32 vcc_lo, 0, v[16:17]
	v_cmp_eq_f64_e64 s0, 0, v[18:19]
	s_load_b64 s[2:3], s[2:3], 0x60
	v_mul_f64 v[4:5], v[27:28], -v[22:23]
	v_mul_f64 v[6:7], v[20:21], v[27:28]
	v_mul_f64 v[27:28], v[14:15], -v[22:23]
	v_mul_f64 v[31:32], v[20:21], v[14:15]
	v_mul_f64 v[33:34], v[10:11], -v[22:23]
	v_mul_f64 v[35:36], v[20:21], v[10:11]
	v_mul_f64 v[37:38], v[8:9], -v[22:23]
	v_mul_f64 v[39:40], v[20:21], v[8:9]
	s_and_b32 s0, vcc_lo, s0
	v_fma_f64 v[12:13], v[20:21], v[0:1], v[4:5]
	v_fma_f64 v[14:15], v[22:23], v[0:1], v[6:7]
	;; [unrolled: 1-line block ×8, first 2 shown]
	v_lshlrev_b32_e32 v20, 2, v24
	s_and_saveexec_b32 s1, s0
	s_delay_alu instid0(SALU_CYCLE_1)
	s_xor_b32 s0, exec_lo, s1
	s_cbranch_execz .LBB168_42
; %bb.41:
	s_delay_alu instid0(VALU_DEP_1) | instskip(NEXT) | instid1(VALU_DEP_1)
	v_ashrrev_i32_e32 v21, 31, v20
                                        ; implicit-def: $vgpr18_vgpr19
	v_lshlrev_b64 v[16:17], 4, v[20:21]
                                        ; implicit-def: $vgpr20
	s_waitcnt lgkmcnt(0)
	s_delay_alu instid0(VALU_DEP_1) | instskip(NEXT) | instid1(VALU_DEP_2)
	v_add_co_u32 v16, vcc_lo, s2, v16
	v_add_co_ci_u32_e32 v17, vcc_lo, s3, v17, vcc_lo
	s_clause 0x3
	global_store_b128 v[16:17], v[12:15], off
	global_store_b128 v[16:17], v[8:11], off offset:16
	global_store_b128 v[16:17], v[4:7], off offset:32
	;; [unrolled: 1-line block ×3, first 2 shown]
                                        ; implicit-def: $vgpr16_vgpr17
                                        ; implicit-def: $vgpr12_vgpr13
                                        ; implicit-def: $vgpr8_vgpr9
                                        ; implicit-def: $vgpr4_vgpr5
                                        ; implicit-def: $vgpr0_vgpr1
.LBB168_42:
	s_and_not1_saveexec_b32 s0, s0
	s_cbranch_execz .LBB168_12
; %bb.43:
	v_ashrrev_i32_e32 v21, 31, v20
	s_delay_alu instid0(VALU_DEP_1) | instskip(SKIP_1) | instid1(VALU_DEP_1)
	v_lshlrev_b64 v[20:21], 4, v[20:21]
	s_waitcnt lgkmcnt(0)
	v_add_co_u32 v36, vcc_lo, s2, v20
	s_delay_alu instid0(VALU_DEP_2)
	v_add_co_ci_u32_e32 v37, vcc_lo, s3, v21, vcc_lo
	s_clause 0x3
	global_load_b128 v[20:23], v[36:37], off
	global_load_b128 v[24:27], v[36:37], off offset:16
	global_load_b128 v[28:31], v[36:37], off offset:32
	;; [unrolled: 1-line block ×3, first 2 shown]
	s_waitcnt vmcnt(3)
	v_fma_f64 v[12:13], v[16:17], v[20:21], v[12:13]
	v_fma_f64 v[14:15], v[18:19], v[20:21], v[14:15]
	s_waitcnt vmcnt(2)
	v_fma_f64 v[8:9], v[16:17], v[24:25], v[8:9]
	v_fma_f64 v[10:11], v[18:19], v[24:25], v[10:11]
	;; [unrolled: 3-line block ×4, first 2 shown]
	v_fma_f64 v[0:1], -v[18:19], v[22:23], v[12:13]
	v_fma_f64 v[2:3], v[16:17], v[22:23], v[14:15]
	v_fma_f64 v[4:5], -v[18:19], v[26:27], v[8:9]
	v_fma_f64 v[6:7], v[16:17], v[26:27], v[10:11]
	;; [unrolled: 2-line block ×4, first 2 shown]
	s_clause 0x3
	global_store_b128 v[36:37], v[0:3], off
	global_store_b128 v[36:37], v[4:7], off offset:16
	global_store_b128 v[36:37], v[8:11], off offset:32
	global_store_b128 v[36:37], v[12:15], off offset:48
	s_nop 0
	s_sendmsg sendmsg(MSG_DEALLOC_VGPRS)
	s_endpgm
	.section	.rodata,"a",@progbits
	.p2align	6, 0x0
	.amdhsa_kernel _ZN9rocsparseL18bsrxmvn_4x4_kernelILj128ELj32E21rocsparse_complex_numIdEiiS1_IfES2_S2_EEvT3_20rocsparse_direction_NS_24const_host_device_scalarIT1_EES4_PKS4_PKT2_SD_SA_PKT4_PKT5_S8_PT6_21rocsparse_index_base_b
		.amdhsa_group_segment_fixed_size 2048
		.amdhsa_private_segment_fixed_size 0
		.amdhsa_kernarg_size 112
		.amdhsa_user_sgpr_count 15
		.amdhsa_user_sgpr_dispatch_ptr 1
		.amdhsa_user_sgpr_queue_ptr 0
		.amdhsa_user_sgpr_kernarg_segment_ptr 1
		.amdhsa_user_sgpr_dispatch_id 0
		.amdhsa_user_sgpr_private_segment_size 0
		.amdhsa_wavefront_size32 1
		.amdhsa_uses_dynamic_stack 0
		.amdhsa_enable_private_segment 0
		.amdhsa_system_sgpr_workgroup_id_x 1
		.amdhsa_system_sgpr_workgroup_id_y 0
		.amdhsa_system_sgpr_workgroup_id_z 0
		.amdhsa_system_sgpr_workgroup_info 0
		.amdhsa_system_vgpr_workitem_id 2
		.amdhsa_next_free_vgpr 142
		.amdhsa_next_free_sgpr 18
		.amdhsa_reserve_vcc 1
		.amdhsa_float_round_mode_32 0
		.amdhsa_float_round_mode_16_64 0
		.amdhsa_float_denorm_mode_32 3
		.amdhsa_float_denorm_mode_16_64 3
		.amdhsa_dx10_clamp 1
		.amdhsa_ieee_mode 1
		.amdhsa_fp16_overflow 0
		.amdhsa_workgroup_processor_mode 1
		.amdhsa_memory_ordered 1
		.amdhsa_forward_progress 0
		.amdhsa_shared_vgpr_count 0
		.amdhsa_exception_fp_ieee_invalid_op 0
		.amdhsa_exception_fp_denorm_src 0
		.amdhsa_exception_fp_ieee_div_zero 0
		.amdhsa_exception_fp_ieee_overflow 0
		.amdhsa_exception_fp_ieee_underflow 0
		.amdhsa_exception_fp_ieee_inexact 0
		.amdhsa_exception_int_div_zero 0
	.end_amdhsa_kernel
	.section	.text._ZN9rocsparseL18bsrxmvn_4x4_kernelILj128ELj32E21rocsparse_complex_numIdEiiS1_IfES2_S2_EEvT3_20rocsparse_direction_NS_24const_host_device_scalarIT1_EES4_PKS4_PKT2_SD_SA_PKT4_PKT5_S8_PT6_21rocsparse_index_base_b,"axG",@progbits,_ZN9rocsparseL18bsrxmvn_4x4_kernelILj128ELj32E21rocsparse_complex_numIdEiiS1_IfES2_S2_EEvT3_20rocsparse_direction_NS_24const_host_device_scalarIT1_EES4_PKS4_PKT2_SD_SA_PKT4_PKT5_S8_PT6_21rocsparse_index_base_b,comdat
.Lfunc_end168:
	.size	_ZN9rocsparseL18bsrxmvn_4x4_kernelILj128ELj32E21rocsparse_complex_numIdEiiS1_IfES2_S2_EEvT3_20rocsparse_direction_NS_24const_host_device_scalarIT1_EES4_PKS4_PKT2_SD_SA_PKT4_PKT5_S8_PT6_21rocsparse_index_base_b, .Lfunc_end168-_ZN9rocsparseL18bsrxmvn_4x4_kernelILj128ELj32E21rocsparse_complex_numIdEiiS1_IfES2_S2_EEvT3_20rocsparse_direction_NS_24const_host_device_scalarIT1_EES4_PKS4_PKT2_SD_SA_PKT4_PKT5_S8_PT6_21rocsparse_index_base_b
                                        ; -- End function
	.section	.AMDGPU.csdata,"",@progbits
; Kernel info:
; codeLenInByte = 12000
; NumSgprs: 20
; NumVgprs: 142
; ScratchSize: 0
; MemoryBound: 0
; FloatMode: 240
; IeeeMode: 1
; LDSByteSize: 2048 bytes/workgroup (compile time only)
; SGPRBlocks: 2
; VGPRBlocks: 17
; NumSGPRsForWavesPerEU: 20
; NumVGPRsForWavesPerEU: 142
; Occupancy: 10
; WaveLimiterHint : 1
; COMPUTE_PGM_RSRC2:SCRATCH_EN: 0
; COMPUTE_PGM_RSRC2:USER_SGPR: 15
; COMPUTE_PGM_RSRC2:TRAP_HANDLER: 0
; COMPUTE_PGM_RSRC2:TGID_X_EN: 1
; COMPUTE_PGM_RSRC2:TGID_Y_EN: 0
; COMPUTE_PGM_RSRC2:TGID_Z_EN: 0
; COMPUTE_PGM_RSRC2:TIDIG_COMP_CNT: 2
	.section	.text._ZN9rocsparseL18bsrxmvn_4x4_kernelILj128ELj64E21rocsparse_complex_numIdEiiS1_IfES2_S2_EEvT3_20rocsparse_direction_NS_24const_host_device_scalarIT1_EES4_PKS4_PKT2_SD_SA_PKT4_PKT5_S8_PT6_21rocsparse_index_base_b,"axG",@progbits,_ZN9rocsparseL18bsrxmvn_4x4_kernelILj128ELj64E21rocsparse_complex_numIdEiiS1_IfES2_S2_EEvT3_20rocsparse_direction_NS_24const_host_device_scalarIT1_EES4_PKS4_PKT2_SD_SA_PKT4_PKT5_S8_PT6_21rocsparse_index_base_b,comdat
	.globl	_ZN9rocsparseL18bsrxmvn_4x4_kernelILj128ELj64E21rocsparse_complex_numIdEiiS1_IfES2_S2_EEvT3_20rocsparse_direction_NS_24const_host_device_scalarIT1_EES4_PKS4_PKT2_SD_SA_PKT4_PKT5_S8_PT6_21rocsparse_index_base_b ; -- Begin function _ZN9rocsparseL18bsrxmvn_4x4_kernelILj128ELj64E21rocsparse_complex_numIdEiiS1_IfES2_S2_EEvT3_20rocsparse_direction_NS_24const_host_device_scalarIT1_EES4_PKS4_PKT2_SD_SA_PKT4_PKT5_S8_PT6_21rocsparse_index_base_b
	.p2align	8
	.type	_ZN9rocsparseL18bsrxmvn_4x4_kernelILj128ELj64E21rocsparse_complex_numIdEiiS1_IfES2_S2_EEvT3_20rocsparse_direction_NS_24const_host_device_scalarIT1_EES4_PKS4_PKT2_SD_SA_PKT4_PKT5_S8_PT6_21rocsparse_index_base_b,@function
_ZN9rocsparseL18bsrxmvn_4x4_kernelILj128ELj64E21rocsparse_complex_numIdEiiS1_IfES2_S2_EEvT3_20rocsparse_direction_NS_24const_host_device_scalarIT1_EES4_PKS4_PKT2_SD_SA_PKT4_PKT5_S8_PT6_21rocsparse_index_base_b: ; @_ZN9rocsparseL18bsrxmvn_4x4_kernelILj128ELj64E21rocsparse_complex_numIdEiiS1_IfES2_S2_EEvT3_20rocsparse_direction_NS_24const_host_device_scalarIT1_EES4_PKS4_PKT2_SD_SA_PKT4_PKT5_S8_PT6_21rocsparse_index_base_b
; %bb.0:
	s_load_b64 s[12:13], s[2:3], 0x68
	s_load_b64 s[16:17], s[0:1], 0x4
	s_load_b128 s[8:11], s[2:3], 0x8
	v_bfe_u32 v2, v0, 10, 10
	s_mov_b64 s[0:1], src_shared_base
	s_load_b128 s[4:7], s[2:3], 0x50
	v_and_b32_e32 v1, 0x3ff, v0
	v_bfe_u32 v0, v0, 20, 10
	s_waitcnt lgkmcnt(0)
	s_bitcmp1_b32 s13, 0
	v_mul_u32_u24_e32 v2, s17, v2
	s_cselect_b32 s0, -1, 0
	v_mov_b32_e32 v23, s11
	s_and_b32 vcc_lo, s0, exec_lo
	s_cselect_b32 s13, s1, s9
	s_lshr_b32 s14, s16, 16
	v_dual_mov_b32 v4, s4 :: v_dual_mov_b32 v5, s5
	s_mul_i32 s14, s14, s17
	v_dual_mov_b32 v7, s13 :: v_dual_mov_b32 v22, s10
	v_mad_u32_u24 v2, s14, v1, v2
	s_xor_b32 s10, s0, -1
	s_delay_alu instid0(VALU_DEP_1) | instskip(SKIP_1) | instid1(VALU_DEP_2)
	v_add_lshl_u32 v0, v2, v0, 3
	v_dual_mov_b32 v2, s8 :: v_dual_mov_b32 v3, s9
	v_add_nc_u32_e32 v6, 0x400, v0
	ds_store_2addr_stride64_b64 v0, v[4:5], v[2:3] offset1:2
	v_cndmask_b32_e64 v6, s8, v6, s0
	flat_load_b64 v[20:21], v[6:7]
	s_cbranch_vccnz .LBB169_2
; %bb.1:
	v_dual_mov_b32 v2, s8 :: v_dual_mov_b32 v3, s9
	flat_load_b64 v[22:23], v[2:3] offset:8
.LBB169_2:
	s_and_b32 s8, s0, exec_lo
	s_cselect_b32 s1, s1, s5
	v_cndmask_b32_e64 v2, s4, v0, s0
	v_mov_b32_e32 v3, s1
	v_dual_mov_b32 v19, s7 :: v_dual_mov_b32 v18, s6
	s_and_not1_b32 vcc_lo, exec_lo, s10
	flat_load_b64 v[16:17], v[2:3]
	s_cbranch_vccnz .LBB169_4
; %bb.3:
	v_dual_mov_b32 v2, s4 :: v_dual_mov_b32 v3, s5
	flat_load_b64 v[18:19], v[2:3] offset:8
.LBB169_4:
	s_waitcnt vmcnt(1) lgkmcnt(1)
	v_cmp_eq_f64_e32 vcc_lo, 0, v[20:21]
	v_cmp_eq_f64_e64 s0, 0, v[22:23]
	s_delay_alu instid0(VALU_DEP_1)
	s_and_b32 s4, vcc_lo, s0
	s_mov_b32 s0, -1
	s_and_saveexec_b32 s1, s4
	s_cbranch_execz .LBB169_6
; %bb.5:
	s_waitcnt vmcnt(0) lgkmcnt(0)
	v_cmp_neq_f64_e32 vcc_lo, 1.0, v[16:17]
	v_cmp_neq_f64_e64 s0, 0, v[18:19]
	s_delay_alu instid0(VALU_DEP_1) | instskip(NEXT) | instid1(SALU_CYCLE_1)
	s_or_b32 s0, vcc_lo, s0
	s_or_not1_b32 s0, s0, exec_lo
.LBB169_6:
	s_or_b32 exec_lo, exec_lo, s1
	s_and_saveexec_b32 s1, s0
	s_cbranch_execz .LBB169_12
; %bb.7:
	s_clause 0x1
	s_load_b64 s[4:5], s[2:3], 0x20
	s_load_b64 s[0:1], s[2:3], 0x0
	v_lshrrev_b32_e32 v0, 6, v1
	s_delay_alu instid0(VALU_DEP_1)
	v_lshl_or_b32 v24, s15, 1, v0
	s_waitcnt lgkmcnt(0)
	s_cmp_lg_u64 s[4:5], 0
	s_cbranch_scc0 .LBB169_13
; %bb.8:
	s_load_b32 s6, s[2:3], 0x18
	s_mov_b32 s7, 0
                                        ; implicit-def: $vgpr0
	s_waitcnt lgkmcnt(0)
	v_cmp_gt_i32_e32 vcc_lo, s6, v24
	s_mov_b32 s6, 0
	s_and_saveexec_b32 s8, vcc_lo
	s_delay_alu instid0(SALU_CYCLE_1)
	s_xor_b32 s8, exec_lo, s8
	s_cbranch_execz .LBB169_10
; %bb.9:
	v_ashrrev_i32_e32 v25, 31, v24
	s_mov_b32 s6, exec_lo
	s_delay_alu instid0(VALU_DEP_1) | instskip(NEXT) | instid1(VALU_DEP_1)
	v_lshlrev_b64 v[2:3], 2, v[24:25]
	v_add_co_u32 v2, vcc_lo, s4, v2
	s_delay_alu instid0(VALU_DEP_2)
	v_add_co_ci_u32_e32 v3, vcc_lo, s5, v3, vcc_lo
	global_load_b32 v0, v[2:3], off
	s_waitcnt vmcnt(0)
	v_subrev_nc_u32_e32 v0, s12, v0
.LBB169_10:
	s_or_b32 exec_lo, exec_lo, s8
	s_delay_alu instid0(SALU_CYCLE_1)
	s_and_b32 vcc_lo, exec_lo, s7
	s_cbranch_vccz .LBB169_14
.LBB169_11:
	v_cmp_gt_i32_e32 vcc_lo, s0, v24
	s_and_not1_b32 s0, s6, exec_lo
	s_and_b32 s4, vcc_lo, exec_lo
	s_delay_alu instid0(SALU_CYCLE_1) | instskip(NEXT) | instid1(SALU_CYCLE_1)
	s_or_b32 s6, s0, s4
	s_and_b32 exec_lo, exec_lo, s6
	s_cbranch_execnz .LBB169_15
.LBB169_12:
	s_nop 0
	s_sendmsg sendmsg(MSG_DEALLOC_VGPRS)
	s_endpgm
.LBB169_13:
	s_mov_b32 s6, 0
                                        ; implicit-def: $vgpr0
	s_cbranch_execnz .LBB169_11
.LBB169_14:
	s_delay_alu instid0(VALU_DEP_1)
	v_mov_b32_e32 v24, v0
	s_and_b32 exec_lo, exec_lo, s6
	s_cbranch_execz .LBB169_12
.LBB169_15:
	s_load_b256 s[4:11], s[2:3], 0x28
	s_delay_alu instid0(VALU_DEP_1) | instskip(SKIP_1) | instid1(VALU_DEP_2)
	v_ashrrev_i32_e32 v25, 31, v24
	v_and_b32_e32 v49, 63, v1
	v_lshlrev_b64 v[2:3], 2, v[24:25]
	s_waitcnt lgkmcnt(0)
	s_delay_alu instid0(VALU_DEP_1) | instskip(NEXT) | instid1(VALU_DEP_2)
	v_add_co_u32 v4, vcc_lo, s4, v2
	v_add_co_ci_u32_e32 v5, vcc_lo, s5, v3, vcc_lo
	v_add_co_u32 v0, vcc_lo, s6, v2
	v_add_co_ci_u32_e32 v2, vcc_lo, s7, v3, vcc_lo
	global_load_b32 v51, v[4:5], off
	v_add_co_u32 v4, vcc_lo, v4, 4
	v_add_co_ci_u32_e32 v3, vcc_lo, 0, v5, vcc_lo
	s_cmp_eq_u64 s[6:7], 0
	s_load_b64 s[4:5], s[2:3], 0x48
	s_cselect_b32 vcc_lo, -1, 0
	s_cmp_eq_u32 s1, 1
	v_dual_cndmask_b32 v3, v2, v3 :: v_dual_cndmask_b32 v2, v0, v4
	global_load_b32 v2, v[2:3], off
	s_waitcnt vmcnt(1)
	v_subrev_nc_u32_e32 v0, s12, v51
	s_delay_alu instid0(VALU_DEP_1) | instskip(NEXT) | instid1(VALU_DEP_1)
	v_add_nc_u32_e32 v25, v0, v49
	v_ashrrev_i32_e32 v26, 31, v25
	s_waitcnt vmcnt(0)
	v_subrev_nc_u32_e32 v50, s12, v2
	s_delay_alu instid0(VALU_DEP_2) | instskip(NEXT) | instid1(VALU_DEP_2)
	v_lshlrev_b64 v[0:1], 7, v[25:26]
	v_cmp_lt_i32_e64 s0, v25, v50
	s_delay_alu instid0(VALU_DEP_2) | instskip(NEXT) | instid1(VALU_DEP_3)
	v_add_co_u32 v27, vcc_lo, s10, v0
	v_add_co_ci_u32_e32 v28, vcc_lo, s11, v1, vcc_lo
	s_cbranch_scc1 .LBB169_27
; %bb.16:
	v_mov_b32_e32 v31, 0
	v_mov_b32_e32 v32, 0
	s_delay_alu instid0(VALU_DEP_1)
	v_dual_mov_b32 v29, v31 :: v_dual_mov_b32 v30, v32
	v_dual_mov_b32 v36, v32 :: v_dual_mov_b32 v35, v31
	;; [unrolled: 1-line block ×7, first 2 shown]
	s_and_saveexec_b32 s6, s0
	s_cbranch_execz .LBB169_26
; %bb.17:
	v_dual_mov_b32 v29, 0 :: v_dual_add_nc_u32 v0, v51, v49
	v_mov_b32_e32 v46, v28
	v_not_b32_e32 v1, v51
	v_mov_b32_e32 v47, v25
	s_delay_alu instid0(VALU_DEP_4) | instskip(SKIP_2) | instid1(VALU_DEP_1)
	v_subrev_nc_u32_e32 v0, s12, v0
	s_mov_b32 s10, 0
	s_mov_b32 s7, exec_lo
	v_dual_mov_b32 v45, v27 :: v_dual_add_nc_u32 v0, 64, v0
	s_delay_alu instid0(VALU_DEP_1) | instskip(NEXT) | instid1(VALU_DEP_1)
	v_max_i32_e32 v0, v0, v50
	v_add3_u32 v0, v0, s12, v1
	s_delay_alu instid0(VALU_DEP_1) | instskip(NEXT) | instid1(VALU_DEP_1)
	v_sub_nc_u32_e32 v0, v0, v49
	v_lshrrev_b32_e32 v1, 6, v0
	s_delay_alu instid0(VALU_DEP_1) | instskip(NEXT) | instid1(VALU_DEP_1)
	v_dual_mov_b32 v30, 0 :: v_dual_add_nc_u32 v1, 1, v1
	v_mov_b32_e32 v38, v30
	v_mov_b32_e32 v44, v30
	v_dual_mov_b32 v40, v30 :: v_dual_mov_b32 v37, v29
	s_delay_alu instid0(VALU_DEP_4)
	v_and_b32_e32 v1, 3, v1
	v_mov_b32_e32 v43, v29
	v_dual_mov_b32 v39, v29 :: v_dual_mov_b32 v42, v30
	v_dual_mov_b32 v41, v29 :: v_dual_mov_b32 v34, v30
	;; [unrolled: 1-line block ×4, first 2 shown]
	v_mov_b32_e32 v31, v29
	v_cmpx_ne_u32_e32 0, v1
	s_cbranch_execz .LBB169_21
; %bb.18:
	v_dual_mov_b32 v31, 0 :: v_dual_mov_b32 v46, v28
	v_dual_mov_b32 v32, 0 :: v_dual_lshlrev_b32 v1, 7, v1
	v_mov_b32_e32 v47, v25
	v_mov_b32_e32 v45, v27
	s_delay_alu instid0(VALU_DEP_3)
	v_dual_mov_b32 v29, v31 :: v_dual_mov_b32 v34, v32
	v_dual_mov_b32 v36, v32 :: v_dual_mov_b32 v35, v31
	;; [unrolled: 1-line block ×7, first 2 shown]
.LBB169_19:                             ; =>This Inner Loop Header: Depth=1
	v_ashrrev_i32_e32 v48, 31, v47
	v_add_nc_u32_e32 v1, 0xffffff80, v1
	s_delay_alu instid0(VALU_DEP_2) | instskip(NEXT) | instid1(VALU_DEP_2)
	v_lshlrev_b64 v[2:3], 2, v[47:48]
	v_cmp_eq_u32_e64 s1, 0, v1
	v_add_nc_u32_e32 v47, 64, v47
	s_delay_alu instid0(VALU_DEP_2) | instskip(NEXT) | instid1(VALU_DEP_3)
	s_or_b32 s10, s1, s10
	v_add_co_u32 v2, vcc_lo, s8, v2
	s_delay_alu instid0(VALU_DEP_4)
	v_add_co_ci_u32_e32 v3, vcc_lo, s9, v3, vcc_lo
	global_load_b32 v14, v[2:3], off
	s_clause 0x7
	global_load_b128 v[2:5], v[45:46], off
	global_load_b128 v[6:9], v[45:46], off offset:32
	global_load_b128 v[10:13], v[45:46], off offset:64
	;; [unrolled: 1-line block ×7, first 2 shown]
	s_waitcnt vmcnt(8)
	v_subrev_nc_u32_e32 v14, s12, v14
	s_waitcnt vmcnt(6)
	v_cvt_f64_f32_e32 v[88:89], v6
	v_cvt_f64_f32_e32 v[6:7], v7
	s_waitcnt vmcnt(5)
	v_cvt_f64_f32_e32 v[90:91], v10
	v_lshlrev_b32_e32 v14, 2, v14
	v_cvt_f64_f32_e32 v[10:11], v11
	s_waitcnt vmcnt(3)
	v_cvt_f64_f32_e32 v[92:93], v56
	v_cvt_f64_f32_e32 v[56:57], v57
	;; [unrolled: 1-line block ×3, first 2 shown]
	v_ashrrev_i32_e32 v15, 31, v14
	v_cvt_f64_f32_e32 v[8:9], v9
	v_cvt_f64_f32_e32 v[96:97], v12
	v_cvt_f64_f32_e32 v[12:13], v13
	v_cvt_f64_f32_e32 v[98:99], v58
	v_lshlrev_b64 v[14:15], 4, v[14:15]
	v_cvt_f64_f32_e32 v[58:59], v59
	s_waitcnt lgkmcnt(0)
	s_delay_alu instid0(VALU_DEP_2) | instskip(NEXT) | instid1(VALU_DEP_3)
	v_add_co_u32 v14, vcc_lo, s4, v14
	v_add_co_ci_u32_e32 v15, vcc_lo, s5, v15, vcc_lo
	v_add_co_u32 v45, vcc_lo, 0x2000, v45
	s_clause 0x3
	global_load_b128 v[72:75], v[14:15], off
	global_load_b128 v[76:79], v[14:15], off offset:16
	global_load_b128 v[80:83], v[14:15], off offset:32
	;; [unrolled: 1-line block ×3, first 2 shown]
	v_cvt_f64_f32_e32 v[14:15], v2
	v_cvt_f64_f32_e32 v[2:3], v3
	v_add_co_ci_u32_e32 v46, vcc_lo, 0, v46, vcc_lo
	s_waitcnt vmcnt(3)
	s_delay_alu instid0(VALU_DEP_3) | instskip(NEXT) | instid1(VALU_DEP_3)
	v_fma_f64 v[35:36], v[14:15], v[72:73], v[35:36]
	v_fma_f64 v[31:32], v[2:3], v[72:73], v[31:32]
	;; [unrolled: 1-line block ×8, first 2 shown]
	v_cvt_f64_f32_e32 v[72:73], v4
	v_cvt_f64_f32_e32 v[4:5], v5
	v_fma_f64 v[2:3], -v[2:3], v[74:75], v[35:36]
	v_fma_f64 v[14:15], v[14:15], v[74:75], v[31:32]
	v_fma_f64 v[6:7], -v[6:7], v[74:75], v[41:42]
	v_fma_f64 v[31:32], v[88:89], v[74:75], v[33:34]
	;; [unrolled: 2-line block ×4, first 2 shown]
	v_cvt_f64_f32_e32 v[37:38], v60
	v_cvt_f64_f32_e32 v[39:40], v61
	;; [unrolled: 1-line block ×9, first 2 shown]
	s_waitcnt vmcnt(2)
	v_fma_f64 v[2:3], v[72:73], v[76:77], v[2:3]
	v_fma_f64 v[14:15], v[4:5], v[76:77], v[14:15]
	;; [unrolled: 1-line block ×8, first 2 shown]
	v_fma_f64 v[2:3], -v[4:5], v[78:79], v[2:3]
	v_fma_f64 v[4:5], v[72:73], v[78:79], v[14:15]
	v_fma_f64 v[6:7], -v[8:9], v[78:79], v[6:7]
	v_fma_f64 v[8:9], v[94:95], v[78:79], v[31:32]
	;; [unrolled: 2-line block ×4, first 2 shown]
	v_cvt_f64_f32_e32 v[31:32], v62
	v_cvt_f64_f32_e32 v[33:34], v63
	;; [unrolled: 1-line block ×7, first 2 shown]
	s_waitcnt vmcnt(1)
	v_fma_f64 v[2:3], v[37:38], v[80:81], v[2:3]
	v_fma_f64 v[4:5], v[39:40], v[80:81], v[4:5]
	;; [unrolled: 1-line block ×8, first 2 shown]
	v_fma_f64 v[2:3], -v[39:40], v[82:83], v[2:3]
	v_fma_f64 v[4:5], v[37:38], v[82:83], v[4:5]
	v_fma_f64 v[6:7], -v[43:44], v[82:83], v[6:7]
	v_fma_f64 v[8:9], v[41:42], v[82:83], v[8:9]
	;; [unrolled: 2-line block ×4, first 2 shown]
	s_waitcnt vmcnt(0)
	v_fma_f64 v[2:3], v[31:32], v[84:85], v[2:3]
	v_fma_f64 v[4:5], v[33:34], v[84:85], v[4:5]
	;; [unrolled: 1-line block ×8, first 2 shown]
	v_fma_f64 v[35:36], -v[33:34], v[86:87], v[2:3]
	v_fma_f64 v[31:32], v[31:32], v[86:87], v[4:5]
	v_fma_f64 v[41:42], -v[54:55], v[86:87], v[6:7]
	v_fma_f64 v[33:34], v[58:59], v[86:87], v[8:9]
	;; [unrolled: 2-line block ×4, first 2 shown]
	s_and_not1_b32 exec_lo, exec_lo, s10
	s_cbranch_execnz .LBB169_19
; %bb.20:
	s_or_b32 exec_lo, exec_lo, s10
.LBB169_21:
	s_delay_alu instid0(SALU_CYCLE_1) | instskip(NEXT) | instid1(SALU_CYCLE_1)
	s_or_b32 exec_lo, exec_lo, s7
	s_mov_b32 s7, exec_lo
	v_cmpx_lt_u32_e32 0xbf, v0
	s_cbranch_execz .LBB169_25
; %bb.22:
	s_mov_b32 s10, 0
.LBB169_23:                             ; =>This Inner Loop Header: Depth=1
	v_ashrrev_i32_e32 v48, 31, v47
	s_delay_alu instid0(VALU_DEP_1) | instskip(SKIP_1) | instid1(VALU_DEP_2)
	v_lshlrev_b64 v[0:1], 2, v[47:48]
	v_add_nc_u32_e32 v47, 0x100, v47
	v_add_co_u32 v68, vcc_lo, s8, v0
	s_delay_alu instid0(VALU_DEP_3)
	v_add_co_ci_u32_e32 v69, vcc_lo, s9, v1, vcc_lo
	global_load_b32 v26, v[68:69], off
	s_clause 0x7
	global_load_b128 v[12:15], v[45:46], off
	global_load_b128 v[0:3], v[45:46], off offset:48
	global_load_b128 v[8:11], v[45:46], off offset:32
	global_load_b128 v[4:7], v[45:46], off offset:16
	global_load_b128 v[52:55], v[45:46], off offset:64
	global_load_b128 v[56:59], v[45:46], off offset:112
	global_load_b128 v[60:63], v[45:46], off offset:96
	global_load_b128 v[64:67], v[45:46], off offset:80
	s_clause 0x2
	global_load_b32 v48, v[68:69], off offset:256
	global_load_b32 v140, v[68:69], off offset:512
	;; [unrolled: 1-line block ×3, first 2 shown]
	s_waitcnt vmcnt(11)
	v_subrev_nc_u32_e32 v26, s12, v26
	s_waitcnt vmcnt(10)
	v_cvt_f64_f32_e32 v[122:123], v12
	v_cvt_f64_f32_e32 v[12:13], v13
	s_waitcnt vmcnt(8)
	v_cvt_f64_f32_e32 v[124:125], v8
	v_cvt_f64_f32_e32 v[8:9], v9
	v_lshlrev_b32_e32 v68, 2, v26
	s_waitcnt vmcnt(6)
	v_cvt_f64_f32_e32 v[126:127], v52
	v_cvt_f64_f32_e32 v[52:53], v53
	s_waitcnt vmcnt(4)
	v_cvt_f64_f32_e32 v[128:129], v60
	s_waitcnt vmcnt(2)
	v_subrev_nc_u32_e32 v26, s12, v48
	v_ashrrev_i32_e32 v69, 31, v68
	v_cvt_f64_f32_e32 v[60:61], v61
	v_cvt_f64_f32_e32 v[132:133], v10
	;; [unrolled: 1-line block ×3, first 2 shown]
	v_lshlrev_b32_e32 v112, 2, v26
	v_lshlrev_b64 v[68:69], 4, v[68:69]
	v_cvt_f64_f32_e32 v[136:137], v54
	v_cvt_f64_f32_e32 v[54:55], v55
	;; [unrolled: 1-line block ×3, first 2 shown]
	v_ashrrev_i32_e32 v113, 31, v112
	v_cvt_f64_f32_e32 v[62:63], v63
	s_waitcnt lgkmcnt(0)
	v_add_co_u32 v80, vcc_lo, s4, v68
	v_add_co_ci_u32_e32 v81, vcc_lo, s5, v69, vcc_lo
	v_add_co_u32 v120, vcc_lo, 0x2000, v45
	v_add_co_ci_u32_e32 v121, vcc_lo, 0, v46, vcc_lo
	s_clause 0x3
	global_load_b128 v[68:71], v[80:81], off
	global_load_b128 v[72:75], v[80:81], off offset:16
	global_load_b128 v[76:79], v[80:81], off offset:32
	;; [unrolled: 1-line block ×3, first 2 shown]
	v_lshlrev_b64 v[112:113], 4, v[112:113]
	s_clause 0x6
	global_load_b128 v[84:87], v[120:121], off
	global_load_b128 v[88:91], v[120:121], off offset:32
	global_load_b128 v[92:95], v[120:121], off offset:64
	;; [unrolled: 1-line block ×6, first 2 shown]
	s_waitcnt vmcnt(12)
	v_subrev_nc_u32_e32 v26, s12, v140
	v_add_co_u32 v130, vcc_lo, s4, v112
	v_add_co_ci_u32_e32 v131, vcc_lo, s5, v113, vcc_lo
	s_clause 0x1
	global_load_b128 v[112:115], v[130:131], off
	global_load_b128 v[116:119], v[130:131], off offset:16
	v_lshlrev_b32_e32 v140, 2, v26
	s_waitcnt vmcnt(13)
	v_subrev_nc_u32_e32 v26, s12, v142
	s_delay_alu instid0(VALU_DEP_2)
	v_ashrrev_i32_e32 v141, 31, v140
	s_waitcnt vmcnt(12)
	v_fma_f64 v[35:36], v[122:123], v[68:69], v[35:36]
	v_fma_f64 v[31:32], v[12:13], v[68:69], v[31:32]
	;; [unrolled: 1-line block ×8, first 2 shown]
	v_cvt_f64_f32_e32 v[68:69], v14
	v_cvt_f64_f32_e32 v[14:15], v15
	v_fma_f64 v[10:11], -v[12:13], v[70:71], v[35:36]
	v_fma_f64 v[12:13], v[122:123], v[70:71], v[31:32]
	v_fma_f64 v[8:9], -v[8:9], v[70:71], v[41:42]
	v_fma_f64 v[31:32], v[124:125], v[70:71], v[33:34]
	v_fma_f64 v[33:34], -v[52:53], v[70:71], v[43:44]
	v_fma_f64 v[35:36], v[126:127], v[70:71], v[39:40]
	v_fma_f64 v[29:30], -v[60:61], v[70:71], v[29:30]
	v_fma_f64 v[37:38], v[128:129], v[70:71], v[37:38]
	v_cvt_f64_f32_e32 v[43:44], v4
	v_cvt_f64_f32_e32 v[4:5], v5
	;; [unrolled: 1-line block ×12, first 2 shown]
	s_waitcnt vmcnt(11)
	v_fma_f64 v[39:40], v[68:69], v[72:73], v[10:11]
	v_fma_f64 v[12:13], v[14:15], v[72:73], v[12:13]
	;; [unrolled: 1-line block ×8, first 2 shown]
	global_load_b128 v[8:11], v[120:121], off offset:16
	v_cvt_f64_f32_e32 v[120:121], v3
	v_fma_f64 v[39:40], -v[14:15], v[74:75], v[39:40]
	v_fma_f64 v[68:69], v[68:69], v[74:75], v[12:13]
	v_fma_f64 v[41:42], -v[134:135], v[74:75], v[41:42]
	v_fma_f64 v[72:73], v[132:133], v[74:75], v[31:32]
	;; [unrolled: 2-line block ×4, first 2 shown]
	s_clause 0x1
	global_load_b128 v[12:15], v[130:131], off offset:32
	global_load_b128 v[29:32], v[130:131], off offset:48
	v_cvt_f64_f32_e32 v[74:75], v7
	s_waitcnt vmcnt(11)
	v_cvt_f64_f32_e32 v[132:133], v84
	v_cvt_f64_f32_e32 v[84:85], v85
	s_waitcnt vmcnt(10)
	v_cvt_f64_f32_e32 v[134:135], v88
	;; [unrolled: 3-line block ×4, first 2 shown]
	v_cvt_f64_f32_e32 v[96:97], v97
	v_fma_f64 v[39:40], v[43:44], v[76:77], v[39:40]
	v_fma_f64 v[62:63], v[4:5], v[76:77], v[68:69]
	;; [unrolled: 1-line block ×8, first 2 shown]
	v_cvt_f64_f32_e32 v[72:73], v6
	v_cvt_f64_f32_e32 v[76:77], v2
	v_fma_f64 v[39:40], -v[4:5], v[78:79], v[39:40]
	v_fma_f64 v[43:44], v[43:44], v[78:79], v[62:63]
	v_fma_f64 v[41:42], -v[0:1], v[78:79], v[41:42]
	v_fma_f64 v[52:53], v[52:53], v[78:79], v[68:69]
	;; [unrolled: 2-line block ×4, first 2 shown]
	v_add_co_u32 v68, vcc_lo, 0x4000, v45
	v_add_co_ci_u32_e32 v69, vcc_lo, 0, v46, vcc_lo
	s_clause 0x1
	global_load_b128 v[0:3], v[68:69], off
	global_load_b128 v[4:7], v[68:69], off offset:32
	v_fma_f64 v[60:61], v[72:73], v[80:81], v[39:40]
	v_fma_f64 v[62:63], v[74:75], v[80:81], v[43:44]
	;; [unrolled: 1-line block ×8, first 2 shown]
	s_clause 0x4
	global_load_b128 v[33:36], v[68:69], off offset:64
	global_load_b128 v[37:40], v[68:69], off offset:96
	global_load_b128 v[41:44], v[68:69], off offset:48
	global_load_b128 v[52:55], v[68:69], off offset:112
	global_load_b128 v[56:59], v[68:69], off offset:80
	v_fma_f64 v[74:75], -v[74:75], v[82:83], v[60:61]
	v_fma_f64 v[72:73], v[72:73], v[82:83], v[62:63]
	v_fma_f64 v[120:121], -v[120:121], v[82:83], v[64:65]
	v_fma_f64 v[70:71], v[76:77], v[82:83], v[70:71]
	;; [unrolled: 2-line block ×4, first 2 shown]
	v_lshlrev_b64 v[60:61], 4, v[140:141]
	v_cvt_f64_f32_e32 v[124:125], v90
	v_cvt_f64_f32_e32 v[90:91], v91
	;; [unrolled: 1-line block ×5, first 2 shown]
	v_add_co_u32 v82, vcc_lo, s4, v60
	v_add_co_ci_u32_e32 v83, vcc_lo, s5, v61, vcc_lo
	s_clause 0x1
	global_load_b128 v[60:63], v[82:83], off
	global_load_b128 v[64:67], v[82:83], off offset:16
	v_cvt_f64_f32_e32 v[98:99], v99
	v_lshlrev_b32_e32 v140, 2, v26
	s_delay_alu instid0(VALU_DEP_1)
	v_ashrrev_i32_e32 v141, 31, v140
	s_waitcnt vmcnt(13)
	v_fma_f64 v[74:75], v[132:133], v[112:113], v[74:75]
	v_fma_f64 v[72:73], v[84:85], v[112:113], v[72:73]
	;; [unrolled: 1-line block ×8, first 2 shown]
	v_cvt_f64_f32_e32 v[112:113], v86
	v_cvt_f64_f32_e32 v[86:87], v87
	v_fma_f64 v[74:75], -v[84:85], v[114:115], v[74:75]
	v_fma_f64 v[72:73], v[132:133], v[114:115], v[72:73]
	v_fma_f64 v[84:85], -v[88:89], v[114:115], v[120:121]
	v_fma_f64 v[70:71], v[134:135], v[114:115], v[70:71]
	;; [unrolled: 2-line block ×4, first 2 shown]
	v_cvt_f64_f32_e32 v[114:115], v100
	v_cvt_f64_f32_e32 v[100:101], v101
	;; [unrolled: 1-line block ×6, first 2 shown]
	s_waitcnt vmcnt(12)
	v_fma_f64 v[74:75], v[112:113], v[116:117], v[74:75]
	v_fma_f64 v[72:73], v[86:87], v[116:117], v[72:73]
	;; [unrolled: 1-line block ×8, first 2 shown]
	global_load_b128 v[68:71], v[68:69], off offset:16
	v_cvt_f64_f32_e32 v[116:117], v108
	v_cvt_f64_f32_e32 v[108:109], v109
	s_waitcnt vmcnt(12)
	v_cvt_f64_f32_e32 v[96:97], v8
	v_cvt_f64_f32_e32 v[8:9], v9
	v_fma_f64 v[86:87], -v[86:87], v[118:119], v[74:75]
	v_fma_f64 v[112:113], v[112:113], v[118:119], v[72:73]
	v_fma_f64 v[84:85], -v[90:91], v[118:119], v[84:85]
	v_fma_f64 v[90:91], v[124:125], v[118:119], v[92:93]
	;; [unrolled: 2-line block ×4, first 2 shown]
	s_clause 0x1
	global_load_b128 v[72:75], v[82:83], off offset:32
	global_load_b128 v[76:79], v[82:83], off offset:48
	v_cvt_f64_f32_e32 v[118:119], v11
	v_cvt_f64_f32_e32 v[124:125], v110
	;; [unrolled: 1-line block ×5, first 2 shown]
	s_waitcnt vmcnt(13)
	v_fma_f64 v[82:83], v[96:97], v[12:13], v[86:87]
	v_fma_f64 v[86:87], v[8:9], v[12:13], v[112:113]
	;; [unrolled: 1-line block ×8, first 2 shown]
	v_cvt_f64_f32_e32 v[112:113], v10
	v_fma_f64 v[8:9], -v[8:9], v[14:15], v[82:83]
	v_fma_f64 v[10:11], v[96:97], v[14:15], v[86:87]
	v_fma_f64 v[80:81], -v[100:101], v[14:15], v[84:85]
	v_fma_f64 v[82:83], v[114:115], v[14:15], v[90:91]
	;; [unrolled: 2-line block ×4, first 2 shown]
	v_add_co_u32 v104, vcc_lo, 0x6000, v45
	v_add_co_ci_u32_e32 v105, vcc_lo, 0, v46, vcc_lo
	v_add_co_u32 v45, s1, 0x8000, v45
	s_delay_alu instid0(VALU_DEP_1)
	v_add_co_ci_u32_e64 v46, s1, 0, v46, s1
	s_waitcnt vmcnt(11)
	v_cvt_f64_f32_e32 v[132:133], v0
	v_cvt_f64_f32_e32 v[0:1], v1
	s_waitcnt vmcnt(10)
	v_cvt_f64_f32_e32 v[134:135], v4
	v_cvt_f64_f32_e32 v[4:5], v5
	v_fma_f64 v[100:101], v[112:113], v[29:30], v[8:9]
	v_fma_f64 v[108:109], v[118:119], v[29:30], v[10:11]
	;; [unrolled: 1-line block ×8, first 2 shown]
	s_clause 0x6
	global_load_b128 v[8:11], v[104:105], off
	global_load_b128 v[12:15], v[104:105], off offset:48
	global_load_b128 v[80:83], v[104:105], off offset:32
	;; [unrolled: 1-line block ×6, first 2 shown]
	s_waitcnt vmcnt(16)
	v_cvt_f64_f32_e32 v[136:137], v33
	v_cvt_f64_f32_e32 v[33:34], v34
	s_waitcnt vmcnt(15)
	v_cvt_f64_f32_e32 v[138:139], v37
	v_cvt_f64_f32_e32 v[37:38], v38
	v_fma_f64 v[118:119], -v[118:119], v[31:32], v[100:101]
	v_fma_f64 v[108:109], v[112:113], v[31:32], v[108:109]
	v_fma_f64 v[112:113], -v[102:103], v[31:32], v[114:115]
	v_fma_f64 v[114:115], v[122:123], v[31:32], v[116:117]
	;; [unrolled: 2-line block ×4, first 2 shown]
	v_lshlrev_b64 v[29:30], 4, v[140:141]
	v_cvt_f64_f32_e32 v[124:125], v3
	v_cvt_f64_f32_e32 v[126:127], v6
	;; [unrolled: 1-line block ×5, first 2 shown]
	v_add_co_u32 v122, vcc_lo, s4, v29
	v_add_co_ci_u32_e32 v123, vcc_lo, s5, v30, vcc_lo
	s_clause 0x1
	global_load_b128 v[29:32], v[122:123], off
	global_load_b128 v[100:103], v[122:123], off offset:16
	v_cvt_f64_f32_e32 v[130:131], v39
	v_cvt_f64_f32_e32 v[39:40], v40
	v_cmp_ge_i32_e32 vcc_lo, v47, v50
	s_or_b32 s10, vcc_lo, s10
	s_waitcnt vmcnt(13)
	v_fma_f64 v[118:119], v[132:133], v[60:61], v[118:119]
	v_fma_f64 v[108:109], v[0:1], v[60:61], v[108:109]
	v_fma_f64 v[112:113], v[134:135], v[60:61], v[112:113]
	v_fma_f64 v[114:115], v[4:5], v[60:61], v[114:115]
	v_fma_f64 v[110:111], v[136:137], v[60:61], v[110:111]
	v_fma_f64 v[116:117], v[33:34], v[60:61], v[116:117]
	v_fma_f64 v[106:107], v[138:139], v[60:61], v[106:107]
	v_fma_f64 v[60:61], v[37:38], v[60:61], v[120:121]
	v_cvt_f64_f32_e32 v[120:121], v2
	v_fma_f64 v[0:1], -v[0:1], v[62:63], v[118:119]
	v_fma_f64 v[2:3], v[132:133], v[62:63], v[108:109]
	v_fma_f64 v[4:5], -v[4:5], v[62:63], v[112:113]
	v_fma_f64 v[108:109], v[134:135], v[62:63], v[114:115]
	;; [unrolled: 2-line block ×4, first 2 shown]
	v_cvt_f64_f32_e32 v[112:113], v56
	v_cvt_f64_f32_e32 v[56:57], v57
	;; [unrolled: 1-line block ×6, first 2 shown]
	s_waitcnt vmcnt(12)
	v_fma_f64 v[62:63], v[120:121], v[64:65], v[0:1]
	v_fma_f64 v[106:107], v[124:125], v[64:65], v[2:3]
	v_fma_f64 v[4:5], v[126:127], v[64:65], v[4:5]
	v_fma_f64 v[108:109], v[6:7], v[64:65], v[108:109]
	v_fma_f64 v[33:34], v[128:129], v[64:65], v[33:34]
	v_fma_f64 v[110:111], v[35:36], v[64:65], v[110:111]
	v_fma_f64 v[37:38], v[130:131], v[64:65], v[37:38]
	v_fma_f64 v[60:61], v[39:40], v[64:65], v[60:61]
	global_load_b128 v[0:3], v[104:105], off offset:16
	v_cvt_f64_f32_e32 v[104:105], v41
	v_cvt_f64_f32_e32 v[41:42], v42
	s_waitcnt vmcnt(12)
	v_cvt_f64_f32_e32 v[64:65], v68
	v_cvt_f64_f32_e32 v[68:69], v69
	v_fma_f64 v[62:63], -v[124:125], v[66:67], v[62:63]
	v_fma_f64 v[106:107], v[120:121], v[66:67], v[106:107]
	v_fma_f64 v[116:117], -v[6:7], v[66:67], v[4:5]
	v_fma_f64 v[108:109], v[126:127], v[66:67], v[108:109]
	;; [unrolled: 2-line block ×4, first 2 shown]
	s_clause 0x1
	global_load_b128 v[4:7], v[122:123], off offset:32
	global_load_b128 v[35:38], v[122:123], off offset:48
	v_cvt_f64_f32_e32 v[120:121], v54
	v_cvt_f64_f32_e32 v[54:55], v55
	s_waitcnt vmcnt(13)
	v_fma_f64 v[62:63], v[64:65], v[72:73], v[62:63]
	v_fma_f64 v[66:67], v[68:69], v[72:73], v[106:107]
	;; [unrolled: 1-line block ×8, first 2 shown]
	v_cvt_f64_f32_e32 v[72:73], v70
	v_cvt_f64_f32_e32 v[70:71], v71
	;; [unrolled: 1-line block ×4, first 2 shown]
	v_fma_f64 v[62:63], -v[68:69], v[74:75], v[62:63]
	v_fma_f64 v[64:65], v[64:65], v[74:75], v[66:67]
	v_fma_f64 v[41:42], -v[41:42], v[74:75], v[106:107]
	v_fma_f64 v[66:67], v[104:105], v[74:75], v[108:109]
	;; [unrolled: 2-line block ×4, first 2 shown]
	s_waitcnt vmcnt(12)
	v_fma_f64 v[60:61], v[72:73], v[76:77], v[62:63]
	v_fma_f64 v[62:63], v[70:71], v[76:77], v[64:65]
	;; [unrolled: 1-line block ×8, first 2 shown]
	s_waitcnt vmcnt(11)
	v_cvt_f64_f32_e32 v[66:67], v8
	v_cvt_f64_f32_e32 v[8:9], v9
	s_waitcnt vmcnt(9)
	v_cvt_f64_f32_e32 v[68:69], v80
	v_cvt_f64_f32_e32 v[74:75], v81
	;; [unrolled: 3-line block ×4, first 2 shown]
	v_fma_f64 v[60:61], -v[70:71], v[78:79], v[60:61]
	v_fma_f64 v[62:63], v[72:73], v[78:79], v[62:63]
	v_fma_f64 v[41:42], -v[43:44], v[78:79], v[41:42]
	v_fma_f64 v[43:44], v[116:117], v[78:79], v[64:65]
	;; [unrolled: 2-line block ×4, first 2 shown]
	v_cvt_f64_f32_e32 v[64:65], v90
	v_cvt_f64_f32_e32 v[70:71], v91
	;; [unrolled: 1-line block ×4, first 2 shown]
	s_waitcnt vmcnt(4)
	v_fma_f64 v[54:55], v[66:67], v[29:30], v[60:61]
	v_fma_f64 v[58:59], v[8:9], v[29:30], v[62:63]
	;; [unrolled: 1-line block ×8, first 2 shown]
	v_cvt_f64_f32_e32 v[52:53], v10
	v_cvt_f64_f32_e32 v[10:11], v11
	;; [unrolled: 1-line block ×4, first 2 shown]
	v_fma_f64 v[8:9], -v[8:9], v[31:32], v[54:55]
	v_fma_f64 v[54:55], v[66:67], v[31:32], v[58:59]
	v_fma_f64 v[41:42], -v[74:75], v[31:32], v[41:42]
	v_fma_f64 v[43:44], v[68:69], v[31:32], v[43:44]
	;; [unrolled: 2-line block ×4, first 2 shown]
	v_cvt_f64_f32_e32 v[58:59], v12
	v_cvt_f64_f32_e32 v[12:13], v13
	;; [unrolled: 1-line block ×6, first 2 shown]
	s_waitcnt vmcnt(3)
	v_fma_f64 v[8:9], v[52:53], v[100:101], v[8:9]
	v_fma_f64 v[31:32], v[10:11], v[100:101], v[54:55]
	;; [unrolled: 1-line block ×8, first 2 shown]
	s_waitcnt vmcnt(2)
	v_cvt_f64_f32_e32 v[56:57], v0
	v_cvt_f64_f32_e32 v[0:1], v1
	v_fma_f64 v[8:9], -v[10:11], v[102:103], v[8:9]
	v_fma_f64 v[10:11], v[52:53], v[102:103], v[31:32]
	v_fma_f64 v[31:32], -v[62:63], v[102:103], v[41:42]
	v_fma_f64 v[41:42], v[60:61], v[102:103], v[43:44]
	;; [unrolled: 2-line block ×4, first 2 shown]
	v_cvt_f64_f32_e32 v[52:53], v14
	v_cvt_f64_f32_e32 v[14:15], v15
	;; [unrolled: 1-line block ×6, first 2 shown]
	s_waitcnt vmcnt(1)
	v_fma_f64 v[8:9], v[56:57], v[4:5], v[8:9]
	v_fma_f64 v[10:11], v[0:1], v[4:5], v[10:11]
	;; [unrolled: 1-line block ×8, first 2 shown]
	v_cvt_f64_f32_e32 v[29:30], v2
	v_cvt_f64_f32_e32 v[2:3], v3
	v_fma_f64 v[0:1], -v[0:1], v[6:7], v[8:9]
	v_fma_f64 v[8:9], v[56:57], v[6:7], v[10:11]
	v_fma_f64 v[10:11], -v[12:13], v[6:7], v[31:32]
	v_fma_f64 v[12:13], v[58:59], v[6:7], v[41:42]
	;; [unrolled: 2-line block ×4, first 2 shown]
	s_waitcnt vmcnt(0)
	v_fma_f64 v[0:1], v[29:30], v[35:36], v[0:1]
	v_fma_f64 v[6:7], v[2:3], v[35:36], v[8:9]
	;; [unrolled: 1-line block ×8, first 2 shown]
	v_fma_f64 v[35:36], -v[2:3], v[37:38], v[0:1]
	v_fma_f64 v[31:32], v[29:30], v[37:38], v[6:7]
	v_fma_f64 v[41:42], -v[14:15], v[37:38], v[8:9]
	v_fma_f64 v[33:34], v[52:53], v[37:38], v[10:11]
	;; [unrolled: 2-line block ×4, first 2 shown]
	s_and_not1_b32 exec_lo, exec_lo, s10
	s_cbranch_execnz .LBB169_23
; %bb.24:
	s_or_b32 exec_lo, exec_lo, s10
.LBB169_25:
	s_delay_alu instid0(SALU_CYCLE_1)
	s_or_b32 exec_lo, exec_lo, s7
.LBB169_26:
	s_delay_alu instid0(SALU_CYCLE_1)
	s_or_b32 exec_lo, exec_lo, s6
	s_cbranch_execz .LBB169_28
	s_branch .LBB169_39
.LBB169_27:
                                        ; implicit-def: $vgpr31_vgpr32
                                        ; implicit-def: $vgpr35_vgpr36
                                        ; implicit-def: $vgpr33_vgpr34
                                        ; implicit-def: $vgpr41_vgpr42
                                        ; implicit-def: $vgpr39_vgpr40
                                        ; implicit-def: $vgpr43_vgpr44
                                        ; implicit-def: $vgpr37_vgpr38
                                        ; implicit-def: $vgpr29_vgpr30
.LBB169_28:
	v_mov_b32_e32 v31, 0
	v_mov_b32_e32 v32, 0
	s_delay_alu instid0(VALU_DEP_1)
	v_dual_mov_b32 v29, v31 :: v_dual_mov_b32 v30, v32
	v_dual_mov_b32 v36, v32 :: v_dual_mov_b32 v35, v31
	;; [unrolled: 1-line block ×7, first 2 shown]
	s_and_saveexec_b32 s1, s0
	s_cbranch_execz .LBB169_38
; %bb.29:
	v_dual_mov_b32 v29, 0 :: v_dual_add_nc_u32 v0, v51, v49
	v_mov_b32_e32 v30, 0
	v_not_b32_e32 v1, v51
	s_mov_b32 s7, 0
	s_delay_alu instid0(VALU_DEP_3) | instskip(SKIP_2) | instid1(VALU_DEP_2)
	v_subrev_nc_u32_e32 v0, s12, v0
	s_mov_b32 s6, exec_lo
	v_dual_mov_b32 v38, v30 :: v_dual_mov_b32 v37, v29
	v_add_nc_u32_e32 v0, 64, v0
	s_delay_alu instid0(VALU_DEP_1) | instskip(NEXT) | instid1(VALU_DEP_1)
	v_max_i32_e32 v0, v0, v50
	v_add3_u32 v0, v0, s12, v1
	s_delay_alu instid0(VALU_DEP_1) | instskip(NEXT) | instid1(VALU_DEP_1)
	v_sub_nc_u32_e32 v0, v0, v49
	v_lshrrev_b32_e32 v1, 6, v0
	s_delay_alu instid0(VALU_DEP_1) | instskip(SKIP_2) | instid1(VALU_DEP_3)
	v_dual_mov_b32 v44, v30 :: v_dual_add_nc_u32 v1, 1, v1
	v_dual_mov_b32 v43, v29 :: v_dual_mov_b32 v40, v30
	v_mov_b32_e32 v39, v29
	v_dual_mov_b32 v42, v30 :: v_dual_and_b32 v1, 3, v1
	v_dual_mov_b32 v41, v29 :: v_dual_mov_b32 v34, v30
	v_dual_mov_b32 v33, v29 :: v_dual_mov_b32 v36, v30
	;; [unrolled: 1-line block ×3, first 2 shown]
	v_mov_b32_e32 v31, v29
	v_cmpx_ne_u32_e32 0, v1
	s_cbranch_execz .LBB169_33
; %bb.30:
	v_mov_b32_e32 v31, 0
	v_dual_mov_b32 v32, 0 :: v_dual_lshlrev_b32 v1, 7, v1
	s_delay_alu instid0(VALU_DEP_1)
	v_dual_mov_b32 v29, v31 :: v_dual_mov_b32 v30, v32
	v_dual_mov_b32 v36, v32 :: v_dual_mov_b32 v35, v31
	;; [unrolled: 1-line block ×7, first 2 shown]
.LBB169_31:                             ; =>This Inner Loop Header: Depth=1
	v_ashrrev_i32_e32 v26, 31, v25
	v_add_nc_u32_e32 v1, 0xffffff80, v1
	s_delay_alu instid0(VALU_DEP_2) | instskip(NEXT) | instid1(VALU_DEP_2)
	v_lshlrev_b64 v[2:3], 2, v[25:26]
	v_cmp_eq_u32_e64 s0, 0, v1
	v_add_nc_u32_e32 v25, 64, v25
	s_delay_alu instid0(VALU_DEP_2) | instskip(NEXT) | instid1(VALU_DEP_3)
	s_or_b32 s7, s0, s7
	v_add_co_u32 v2, vcc_lo, s8, v2
	s_delay_alu instid0(VALU_DEP_4)
	v_add_co_ci_u32_e32 v3, vcc_lo, s9, v3, vcc_lo
	global_load_b32 v10, v[2:3], off
	s_clause 0x1
	global_load_b128 v[2:5], v[27:28], off
	global_load_b128 v[6:9], v[27:28], off offset:16
	s_waitcnt vmcnt(2)
	v_subrev_nc_u32_e32 v10, s12, v10
	s_waitcnt vmcnt(1)
	v_cvt_f64_f32_e32 v[83:84], v4
	v_cvt_f64_f32_e32 v[4:5], v5
	s_waitcnt vmcnt(0)
	v_cvt_f64_f32_e32 v[85:86], v6
	v_cvt_f64_f32_e32 v[6:7], v7
	v_lshlrev_b32_e32 v10, 2, v10
	v_cvt_f64_f32_e32 v[87:88], v8
	v_cvt_f64_f32_e32 v[8:9], v9
	s_delay_alu instid0(VALU_DEP_3) | instskip(NEXT) | instid1(VALU_DEP_1)
	v_ashrrev_i32_e32 v11, 31, v10
	v_lshlrev_b64 v[10:11], 4, v[10:11]
	s_waitcnt lgkmcnt(0)
	s_delay_alu instid0(VALU_DEP_1) | instskip(NEXT) | instid1(VALU_DEP_2)
	v_add_co_u32 v14, vcc_lo, s4, v10
	v_add_co_ci_u32_e32 v15, vcc_lo, s5, v11, vcc_lo
	s_clause 0x1
	global_load_b128 v[10:13], v[14:15], off
	global_load_b128 v[45:48], v[14:15], off offset:16
	s_clause 0x3
	global_load_b128 v[51:54], v[27:28], off offset:32
	global_load_b128 v[55:58], v[27:28], off offset:48
	;; [unrolled: 1-line block ×4, first 2 shown]
	s_clause 0x1
	global_load_b128 v[67:70], v[14:15], off offset:32
	global_load_b128 v[71:74], v[14:15], off offset:48
	s_clause 0x1
	global_load_b128 v[75:78], v[27:28], off offset:96
	global_load_b128 v[79:82], v[27:28], off offset:112
	v_cvt_f64_f32_e32 v[14:15], v2
	v_cvt_f64_f32_e32 v[2:3], v3
	v_add_co_u32 v27, vcc_lo, 0x2000, v27
	v_add_co_ci_u32_e32 v28, vcc_lo, 0, v28, vcc_lo
	s_waitcnt vmcnt(9)
	s_delay_alu instid0(VALU_DEP_4) | instskip(NEXT) | instid1(VALU_DEP_4)
	v_fma_f64 v[35:36], v[14:15], v[10:11], v[35:36]
	v_fma_f64 v[31:32], v[2:3], v[10:11], v[31:32]
	;; [unrolled: 1-line block ×8, first 2 shown]
	s_waitcnt vmcnt(7)
	v_cvt_f64_f32_e32 v[37:38], v51
	v_cvt_f64_f32_e32 v[51:52], v52
	;; [unrolled: 1-line block ×4, first 2 shown]
	s_waitcnt vmcnt(6)
	v_cvt_f64_f32_e32 v[91:92], v55
	v_cvt_f64_f32_e32 v[55:56], v56
	;; [unrolled: 1-line block ×4, first 2 shown]
	v_fma_f64 v[2:3], -v[2:3], v[12:13], v[35:36]
	v_fma_f64 v[14:15], v[14:15], v[12:13], v[31:32]
	v_fma_f64 v[4:5], -v[4:5], v[12:13], v[41:42]
	v_fma_f64 v[31:32], v[83:84], v[12:13], v[33:34]
	;; [unrolled: 2-line block ×4, first 2 shown]
	s_waitcnt vmcnt(5)
	v_cvt_f64_f32_e32 v[35:36], v61
	v_cvt_f64_f32_e32 v[39:40], v62
	s_waitcnt vmcnt(4)
	v_cvt_f64_f32_e32 v[41:42], v63
	v_cvt_f64_f32_e32 v[43:44], v64
	s_waitcnt vmcnt(0)
	v_cvt_f64_f32_e32 v[61:62], v81
	v_cvt_f64_f32_e32 v[63:64], v82
	v_fma_f64 v[2:3], v[37:38], v[45:46], v[2:3]
	v_fma_f64 v[12:13], v[51:52], v[45:46], v[14:15]
	;; [unrolled: 1-line block ×8, first 2 shown]
	v_cvt_f64_f32_e32 v[31:32], v59
	v_cvt_f64_f32_e32 v[33:34], v60
	;; [unrolled: 1-line block ×4, first 2 shown]
	v_fma_f64 v[2:3], -v[51:52], v[47:48], v[2:3]
	v_fma_f64 v[12:13], v[37:38], v[47:48], v[12:13]
	v_fma_f64 v[4:5], -v[53:54], v[47:48], v[4:5]
	v_fma_f64 v[14:15], v[89:90], v[47:48], v[14:15]
	;; [unrolled: 2-line block ×4, first 2 shown]
	v_cvt_f64_f32_e32 v[37:38], v75
	v_cvt_f64_f32_e32 v[47:48], v76
	;; [unrolled: 1-line block ×6, first 2 shown]
	v_fma_f64 v[2:3], v[31:32], v[67:68], v[2:3]
	v_fma_f64 v[12:13], v[33:34], v[67:68], v[12:13]
	;; [unrolled: 1-line block ×8, first 2 shown]
	v_fma_f64 v[2:3], -v[33:34], v[69:70], v[2:3]
	v_fma_f64 v[12:13], v[31:32], v[69:70], v[12:13]
	v_fma_f64 v[4:5], -v[39:40], v[69:70], v[4:5]
	v_fma_f64 v[14:15], v[35:36], v[69:70], v[14:15]
	;; [unrolled: 2-line block ×4, first 2 shown]
	v_fma_f64 v[2:3], v[37:38], v[71:72], v[2:3]
	v_fma_f64 v[12:13], v[47:48], v[71:72], v[12:13]
	;; [unrolled: 1-line block ×8, first 2 shown]
	v_fma_f64 v[35:36], -v[47:48], v[73:74], v[2:3]
	v_fma_f64 v[31:32], v[37:38], v[73:74], v[12:13]
	v_fma_f64 v[41:42], -v[53:54], v[73:74], v[4:5]
	v_fma_f64 v[33:34], v[51:52], v[73:74], v[14:15]
	;; [unrolled: 2-line block ×4, first 2 shown]
	s_and_not1_b32 exec_lo, exec_lo, s7
	s_cbranch_execnz .LBB169_31
; %bb.32:
	s_or_b32 exec_lo, exec_lo, s7
.LBB169_33:
	s_delay_alu instid0(SALU_CYCLE_1) | instskip(NEXT) | instid1(SALU_CYCLE_1)
	s_or_b32 exec_lo, exec_lo, s6
	s_mov_b32 s6, exec_lo
	v_cmpx_lt_u32_e32 0xbf, v0
	s_cbranch_execz .LBB169_37
; %bb.34:
	s_mov_b32 s7, 0
.LBB169_35:                             ; =>This Inner Loop Header: Depth=1
	v_ashrrev_i32_e32 v26, 31, v25
	s_delay_alu instid0(VALU_DEP_1) | instskip(SKIP_1) | instid1(VALU_DEP_2)
	v_lshlrev_b64 v[0:1], 2, v[25:26]
	v_add_nc_u32_e32 v25, 0x100, v25
	v_add_co_u32 v0, vcc_lo, s8, v0
	s_delay_alu instid0(VALU_DEP_3)
	v_add_co_ci_u32_e32 v1, vcc_lo, s9, v1, vcc_lo
	global_load_b32 v2, v[0:1], off
	s_clause 0x1
	global_load_b128 v[10:13], v[27:28], off
	global_load_b128 v[45:48], v[27:28], off offset:16
	s_clause 0x2
	global_load_b32 v26, v[0:1], off offset:256
	global_load_b32 v9, v[0:1], off offset:512
	;; [unrolled: 1-line block ×3, first 2 shown]
	s_waitcnt vmcnt(5)
	v_subrev_nc_u32_e32 v0, s12, v2
	s_waitcnt vmcnt(4)
	v_cvt_f64_f32_e32 v[91:92], v10
	v_cvt_f64_f32_e32 v[93:94], v11
	s_waitcnt vmcnt(2)
	v_subrev_nc_u32_e32 v10, s12, v26
	v_cvt_f64_f32_e32 v[95:96], v12
	v_lshlrev_b32_e32 v0, 2, v0
	v_cvt_f64_f32_e32 v[97:98], v13
	v_cvt_f64_f32_e32 v[99:100], v45
	v_lshlrev_b32_e32 v10, 2, v10
	v_cvt_f64_f32_e32 v[45:46], v46
	v_ashrrev_i32_e32 v1, 31, v0
	v_cvt_f64_f32_e32 v[101:102], v47
	v_cvt_f64_f32_e32 v[47:48], v48
	v_ashrrev_i32_e32 v11, 31, v10
	s_waitcnt vmcnt(1)
	v_subrev_nc_u32_e32 v9, s12, v9
	v_lshlrev_b64 v[0:1], 4, v[0:1]
	s_waitcnt vmcnt(0)
	v_subrev_nc_u32_e32 v8, s12, v8
	v_lshlrev_b64 v[10:11], 4, v[10:11]
	s_waitcnt lgkmcnt(0)
	s_delay_alu instid0(VALU_DEP_3)
	v_add_co_u32 v14, vcc_lo, s4, v0
	v_add_co_ci_u32_e32 v15, vcc_lo, s5, v1, vcc_lo
	s_clause 0x1
	global_load_b128 v[4:7], v[14:15], off
	global_load_b128 v[0:3], v[14:15], off offset:16
	s_clause 0x3
	global_load_b128 v[51:54], v[27:28], off offset:32
	global_load_b128 v[55:58], v[27:28], off offset:48
	;; [unrolled: 1-line block ×5, first 2 shown]
	s_clause 0x1
	global_load_b128 v[71:74], v[27:28], off offset:96
	global_load_b128 v[75:78], v[27:28], off offset:112
	;; [unrolled: 1-line block ×3, first 2 shown]
	v_add_co_u32 v14, vcc_lo, 0x2000, v27
	v_add_co_ci_u32_e32 v15, vcc_lo, 0, v28, vcc_lo
	v_add_co_u32 v103, vcc_lo, s4, v10
	s_clause 0x1
	global_load_b128 v[83:86], v[14:15], off
	global_load_b128 v[87:90], v[14:15], off offset:16
	v_add_co_ci_u32_e32 v104, vcc_lo, s5, v11, vcc_lo
	global_load_b128 v[10:13], v[103:104], off
	s_waitcnt vmcnt(12)
	v_fma_f64 v[105:106], v[91:92], v[4:5], v[35:36]
	v_fma_f64 v[107:108], v[93:94], v[4:5], v[31:32]
	;; [unrolled: 1-line block ×8, first 2 shown]
	s_clause 0x1
	global_load_b128 v[29:32], v[14:15], off offset:32
	global_load_b128 v[33:36], v[14:15], off offset:48
	s_waitcnt vmcnt(12)
	v_cvt_f64_f32_e32 v[113:114], v51
	v_cvt_f64_f32_e32 v[51:52], v52
	;; [unrolled: 1-line block ×4, first 2 shown]
	s_waitcnt vmcnt(11)
	v_cvt_f64_f32_e32 v[117:118], v55
	v_cvt_f64_f32_e32 v[55:56], v56
	;; [unrolled: 1-line block ×4, first 2 shown]
	v_fma_f64 v[37:38], -v[93:94], v[6:7], v[105:106]
	v_fma_f64 v[91:92], v[91:92], v[6:7], v[107:108]
	v_fma_f64 v[41:42], -v[97:98], v[6:7], v[41:42]
	v_fma_f64 v[93:94], v[95:96], v[6:7], v[109:110]
	;; [unrolled: 2-line block ×4, first 2 shown]
	global_load_b128 v[4:7], v[103:104], off offset:16
	s_waitcnt vmcnt(11)
	v_cvt_f64_f32_e32 v[105:106], v59
	v_cvt_f64_f32_e32 v[59:60], v60
	;; [unrolled: 1-line block ×4, first 2 shown]
	s_waitcnt vmcnt(10)
	v_cvt_f64_f32_e32 v[109:110], v63
	v_cvt_f64_f32_e32 v[63:64], v64
	;; [unrolled: 1-line block ×4, first 2 shown]
	v_fma_f64 v[95:96], v[113:114], v[0:1], v[37:38]
	v_fma_f64 v[91:92], v[51:52], v[0:1], v[91:92]
	;; [unrolled: 1-line block ×8, first 2 shown]
	s_clause 0x1
	global_load_b128 v[37:40], v[14:15], off offset:64
	global_load_b128 v[41:44], v[14:15], off offset:80
	v_fma_f64 v[47:48], -v[51:52], v[2:3], v[95:96]
	v_fma_f64 v[51:52], v[113:114], v[2:3], v[91:92]
	v_fma_f64 v[53:54], -v[53:54], v[2:3], v[97:98]
	v_fma_f64 v[91:92], v[115:116], v[2:3], v[93:94]
	;; [unrolled: 2-line block ×4, first 2 shown]
	global_load_b128 v[0:3], v[103:104], off offset:32
	s_waitcnt vmcnt(10)
	v_cvt_f64_f32_e32 v[113:114], v75
	v_cvt_f64_f32_e32 v[75:76], v76
	;; [unrolled: 1-line block ×4, first 2 shown]
	v_lshlrev_b32_e32 v117, 2, v9
	s_delay_alu instid0(VALU_DEP_1)
	v_ashrrev_i32_e32 v118, 31, v117
	v_fma_f64 v[95:96], v[105:106], v[67:68], v[47:48]
	v_fma_f64 v[97:98], v[59:60], v[67:68], v[51:52]
	;; [unrolled: 1-line block ×8, first 2 shown]
	s_clause 0x1
	global_load_b128 v[45:48], v[14:15], off offset:96
	global_load_b128 v[51:54], v[14:15], off offset:112
	v_cvt_f64_f32_e32 v[14:15], v71
	v_cvt_f64_f32_e32 v[67:68], v72
	;; [unrolled: 1-line block ×4, first 2 shown]
	v_fma_f64 v[95:96], -v[59:60], v[69:70], v[95:96]
	v_fma_f64 v[97:98], v[105:106], v[69:70], v[97:98]
	v_fma_f64 v[99:100], -v[61:62], v[69:70], v[99:100]
	v_fma_f64 v[91:92], v[107:108], v[69:70], v[91:92]
	;; [unrolled: 2-line block ×4, first 2 shown]
	global_load_b128 v[55:58], v[103:104], off offset:48
	v_add_co_u32 v101, vcc_lo, 0x4000, v27
	v_add_co_ci_u32_e32 v102, vcc_lo, 0, v28, vcc_lo
	s_waitcnt vmcnt(11)
	v_cvt_f64_f32_e32 v[107:108], v85
	v_cvt_f64_f32_e32 v[85:86], v86
	s_waitcnt vmcnt(10)
	v_cvt_f64_f32_e32 v[109:110], v87
	global_load_b128 v[59:62], v[101:102], off
	v_cvt_f64_f32_e32 v[87:88], v88
	v_cvt_f64_f32_e32 v[111:112], v89
	;; [unrolled: 1-line block ×3, first 2 shown]
	v_fma_f64 v[95:96], v[14:15], v[79:80], v[95:96]
	v_fma_f64 v[97:98], v[67:68], v[79:80], v[97:98]
	;; [unrolled: 1-line block ×7, first 2 shown]
	global_load_b128 v[63:66], v[101:102], off offset:16
	v_fma_f64 v[69:70], v[77:78], v[79:80], v[69:70]
	v_cvt_f64_f32_e32 v[79:80], v83
	v_cvt_f64_f32_e32 v[83:84], v84
	v_fma_f64 v[95:96], -v[67:68], v[81:82], v[95:96]
	v_fma_f64 v[14:15], v[14:15], v[81:82], v[97:98]
	v_fma_f64 v[73:74], -v[73:74], v[81:82], v[99:100]
	v_fma_f64 v[71:72], v[71:72], v[81:82], v[91:92]
	;; [unrolled: 2-line block ×3, first 2 shown]
	v_fma_f64 v[77:78], -v[77:78], v[81:82], v[105:106]
	v_lshlrev_b64 v[67:68], 4, v[117:118]
	v_fma_f64 v[81:82], v[115:116], v[81:82], v[69:70]
	s_delay_alu instid0(VALU_DEP_2) | instskip(NEXT) | instid1(VALU_DEP_3)
	v_add_co_u32 v93, vcc_lo, s4, v67
	v_add_co_ci_u32_e32 v94, vcc_lo, s5, v68, vcc_lo
	global_load_b128 v[67:70], v[93:94], off
	s_waitcnt vmcnt(12)
	v_fma_f64 v[95:96], v[79:80], v[10:11], v[95:96]
	v_fma_f64 v[14:15], v[83:84], v[10:11], v[14:15]
	;; [unrolled: 1-line block ×7, first 2 shown]
	s_clause 0x1
	global_load_b128 v[71:74], v[101:102], off offset:32
	global_load_b128 v[75:78], v[101:102], off offset:48
	v_fma_f64 v[9:10], v[89:90], v[10:11], v[81:82]
	s_waitcnt vmcnt(13)
	v_cvt_f64_f32_e32 v[81:82], v29
	v_cvt_f64_f32_e32 v[113:114], v30
	;; [unrolled: 1-line block ×4, first 2 shown]
	s_waitcnt vmcnt(12)
	v_cvt_f64_f32_e32 v[119:120], v33
	v_cvt_f64_f32_e32 v[121:122], v34
	;; [unrolled: 1-line block ×4, first 2 shown]
	v_fma_f64 v[29:30], -v[83:84], v[12:13], v[95:96]
	v_fma_f64 v[14:15], v[79:80], v[12:13], v[14:15]
	v_fma_f64 v[31:32], -v[85:86], v[12:13], v[97:98]
	v_fma_f64 v[33:34], v[107:108], v[12:13], v[99:100]
	;; [unrolled: 2-line block ×4, first 2 shown]
	global_load_b128 v[9:12], v[93:94], off offset:16
	s_waitcnt vmcnt(12)
	v_fma_f64 v[87:88], v[81:82], v[4:5], v[29:30]
	v_fma_f64 v[13:14], v[113:114], v[4:5], v[14:15]
	;; [unrolled: 1-line block ×7, first 2 shown]
	s_clause 0x1
	global_load_b128 v[29:32], v[101:102], off offset:64
	global_load_b128 v[33:36], v[101:102], off offset:80
	v_fma_f64 v[4:5], v[125:126], v[4:5], v[85:86]
	s_waitcnt vmcnt(13)
	v_cvt_f64_f32_e32 v[85:86], v37
	v_cvt_f64_f32_e32 v[97:98], v38
	;; [unrolled: 1-line block ×4, first 2 shown]
	s_waitcnt vmcnt(12)
	v_cvt_f64_f32_e32 v[105:106], v41
	v_cvt_f64_f32_e32 v[107:108], v42
	;; [unrolled: 1-line block ×4, first 2 shown]
	v_fma_f64 v[37:38], -v[113:114], v[6:7], v[87:88]
	v_fma_f64 v[13:14], v[81:82], v[6:7], v[13:14]
	v_fma_f64 v[39:40], -v[117:118], v[6:7], v[89:90]
	v_fma_f64 v[41:42], v[115:116], v[6:7], v[91:92]
	;; [unrolled: 2-line block ×4, first 2 shown]
	global_load_b128 v[4:7], v[93:94], off offset:32
	s_waitcnt vmcnt(12)
	v_fma_f64 v[87:88], v[85:86], v[0:1], v[37:38]
	v_fma_f64 v[13:14], v[97:98], v[0:1], v[13:14]
	;; [unrolled: 1-line block ×7, first 2 shown]
	s_clause 0x1
	global_load_b128 v[37:40], v[101:102], off offset:96
	global_load_b128 v[41:44], v[101:102], off offset:112
	v_fma_f64 v[0:1], v[111:112], v[0:1], v[83:84]
	s_waitcnt vmcnt(13)
	v_cvt_f64_f32_e32 v[83:84], v45
	v_cvt_f64_f32_e32 v[101:102], v46
	;; [unrolled: 1-line block ×4, first 2 shown]
	s_waitcnt vmcnt(12)
	v_cvt_f64_f32_e32 v[117:118], v51
	v_cvt_f64_f32_e32 v[119:120], v52
	;; [unrolled: 1-line block ×4, first 2 shown]
	v_fma_f64 v[45:46], -v[97:98], v[2:3], v[87:88]
	v_fma_f64 v[13:14], v[85:86], v[2:3], v[13:14]
	v_fma_f64 v[47:48], -v[103:104], v[2:3], v[89:90]
	v_fma_f64 v[51:52], v[99:100], v[2:3], v[91:92]
	;; [unrolled: 2-line block ×3, first 2 shown]
	v_fma_f64 v[81:82], -v[111:112], v[2:3], v[81:82]
	v_add_co_u32 v87, vcc_lo, 0x6000, v27
	v_fma_f64 v[85:86], v[109:110], v[2:3], v[0:1]
	global_load_b128 v[0:3], v[93:94], off offset:48
	v_add_co_ci_u32_e32 v88, vcc_lo, 0, v28, vcc_lo
	v_add_co_u32 v27, s0, 0x8000, v27
	s_delay_alu instid0(VALU_DEP_1)
	v_add_co_ci_u32_e64 v28, s0, 0, v28, s0
	s_waitcnt vmcnt(11)
	v_cvt_f64_f32_e32 v[97:98], v60
	v_cvt_f64_f32_e32 v[99:100], v61
	;; [unrolled: 1-line block ×3, first 2 shown]
	v_fma_f64 v[89:90], v[83:84], v[55:56], v[45:46]
	v_fma_f64 v[13:14], v[101:102], v[55:56], v[13:14]
	;; [unrolled: 1-line block ×7, first 2 shown]
	s_clause 0x1
	global_load_b128 v[45:48], v[87:88], off
	global_load_b128 v[51:54], v[87:88], off offset:16
	v_fma_f64 v[55:56], v[123:124], v[55:56], v[85:86]
	v_cvt_f64_f32_e32 v[85:86], v59
	v_lshlrev_b32_e32 v59, 2, v8
	s_delay_alu instid0(VALU_DEP_1)
	v_ashrrev_i32_e32 v60, 31, v59
	s_waitcnt vmcnt(12)
	v_cvt_f64_f32_e32 v[105:106], v63
	v_cvt_f64_f32_e32 v[107:108], v64
	;; [unrolled: 1-line block ×4, first 2 shown]
	v_fma_f64 v[61:62], -v[101:102], v[57:58], v[89:90]
	v_fma_f64 v[13:14], v[83:84], v[57:58], v[13:14]
	v_fma_f64 v[63:64], -v[115:116], v[57:58], v[91:92]
	v_fma_f64 v[65:66], v[113:114], v[57:58], v[93:94]
	v_fma_f64 v[83:84], -v[119:120], v[57:58], v[95:96]
	v_fma_f64 v[79:80], v[117:118], v[57:58], v[79:80]
	v_fma_f64 v[81:82], -v[123:124], v[57:58], v[81:82]
	v_fma_f64 v[89:90], v[121:122], v[57:58], v[55:56]
	v_lshlrev_b64 v[55:56], 4, v[59:60]
	s_delay_alu instid0(VALU_DEP_1) | instskip(NEXT) | instid1(VALU_DEP_2)
	v_add_co_u32 v91, vcc_lo, s4, v55
	v_add_co_ci_u32_e32 v92, vcc_lo, s5, v56, vcc_lo
	v_cmp_ge_i32_e32 vcc_lo, v25, v50
	global_load_b128 v[55:58], v[91:92], off
	s_or_b32 s7, vcc_lo, s7
	s_waitcnt vmcnt(12)
	v_fma_f64 v[93:94], v[85:86], v[67:68], v[61:62]
	v_fma_f64 v[13:14], v[97:98], v[67:68], v[13:14]
	v_fma_f64 v[95:96], v[99:100], v[67:68], v[63:64]
	v_fma_f64 v[101:102], v[103:104], v[67:68], v[65:66]
	v_fma_f64 v[83:84], v[105:106], v[67:68], v[83:84]
	v_fma_f64 v[79:80], v[107:108], v[67:68], v[79:80]
	v_fma_f64 v[81:82], v[109:110], v[67:68], v[81:82]
	s_clause 0x1
	global_load_b128 v[59:62], v[87:88], off offset:32
	global_load_b128 v[63:66], v[87:88], off offset:48
	v_fma_f64 v[67:68], v[111:112], v[67:68], v[89:90]
	s_waitcnt vmcnt(13)
	v_cvt_f64_f32_e32 v[89:90], v71
	v_cvt_f64_f32_e32 v[113:114], v72
	v_cvt_f64_f32_e32 v[115:116], v73
	v_cvt_f64_f32_e32 v[117:118], v74
	s_waitcnt vmcnt(12)
	v_cvt_f64_f32_e32 v[119:120], v75
	v_cvt_f64_f32_e32 v[121:122], v76
	v_cvt_f64_f32_e32 v[123:124], v77
	v_cvt_f64_f32_e32 v[125:126], v78
	v_fma_f64 v[71:72], -v[97:98], v[69:70], v[93:94]
	v_fma_f64 v[13:14], v[85:86], v[69:70], v[13:14]
	v_fma_f64 v[73:74], -v[103:104], v[69:70], v[95:96]
	v_fma_f64 v[75:76], v[99:100], v[69:70], v[101:102]
	v_fma_f64 v[77:78], -v[107:108], v[69:70], v[83:84]
	v_fma_f64 v[79:80], v[105:106], v[69:70], v[79:80]
	v_fma_f64 v[81:82], -v[111:112], v[69:70], v[81:82]
	v_fma_f64 v[83:84], v[109:110], v[69:70], v[67:68]
	global_load_b128 v[67:70], v[91:92], off offset:16
	s_waitcnt vmcnt(12)
	v_fma_f64 v[85:86], v[89:90], v[9:10], v[71:72]
	v_fma_f64 v[13:14], v[113:114], v[9:10], v[13:14]
	v_fma_f64 v[93:94], v[115:116], v[9:10], v[73:74]
	v_fma_f64 v[95:96], v[117:118], v[9:10], v[75:76]
	v_fma_f64 v[97:98], v[119:120], v[9:10], v[77:78]
	v_fma_f64 v[79:80], v[121:122], v[9:10], v[79:80]
	v_fma_f64 v[81:82], v[123:124], v[9:10], v[81:82]
	s_clause 0x1
	global_load_b128 v[71:74], v[87:88], off offset:64
	global_load_b128 v[75:78], v[87:88], off offset:80
	v_fma_f64 v[8:9], v[125:126], v[9:10], v[83:84]
	s_waitcnt vmcnt(13)
	v_cvt_f64_f32_e32 v[83:84], v29
	v_cvt_f64_f32_e32 v[99:100], v30
	v_cvt_f64_f32_e32 v[101:102], v31
	v_cvt_f64_f32_e32 v[103:104], v32
	s_waitcnt vmcnt(12)
	v_cvt_f64_f32_e32 v[105:106], v33
	v_cvt_f64_f32_e32 v[33:34], v34
	v_cvt_f64_f32_e32 v[107:108], v35
	v_cvt_f64_f32_e32 v[35:36], v36
	v_fma_f64 v[29:30], -v[113:114], v[11:12], v[85:86]
	v_fma_f64 v[13:14], v[89:90], v[11:12], v[13:14]
	v_fma_f64 v[31:32], -v[117:118], v[11:12], v[93:94]
	v_fma_f64 v[85:86], v[115:116], v[11:12], v[95:96]
	v_fma_f64 v[89:90], -v[121:122], v[11:12], v[97:98]
	v_fma_f64 v[79:80], v[119:120], v[11:12], v[79:80]
	v_fma_f64 v[81:82], -v[125:126], v[11:12], v[81:82]
	v_fma_f64 v[93:94], v[123:124], v[11:12], v[8:9]
	global_load_b128 v[8:11], v[91:92], off offset:32
	;; [unrolled: 31-line block ×3, first 2 shown]
	s_waitcnt vmcnt(12)
	v_fma_f64 v[89:90], v[87:88], v[0:1], v[95:96]
	v_fma_f64 v[83:84], v[37:38], v[0:1], v[83:84]
	v_fma_f64 v[91:92], v[93:94], v[0:1], v[97:98]
	v_fma_f64 v[85:86], v[39:40], v[0:1], v[85:86]
	v_fma_f64 v[33:34], v[111:112], v[0:1], v[33:34]
	v_fma_f64 v[79:80], v[41:42], v[0:1], v[79:80]
	v_fma_f64 v[35:36], v[113:114], v[0:1], v[35:36]
	v_fma_f64 v[0:1], v[43:44], v[0:1], v[81:82]
	s_waitcnt vmcnt(11)
	v_cvt_f64_f32_e32 v[81:82], v45
	v_cvt_f64_f32_e32 v[45:46], v46
	v_cvt_f64_f32_e32 v[95:96], v47
	v_cvt_f64_f32_e32 v[47:48], v48
	s_waitcnt vmcnt(10)
	v_cvt_f64_f32_e32 v[97:98], v51
	v_cvt_f64_f32_e32 v[51:52], v52
	v_cvt_f64_f32_e32 v[99:100], v53
	v_cvt_f64_f32_e32 v[53:54], v54
	v_fma_f64 v[37:38], -v[37:38], v[2:3], v[89:90]
	v_fma_f64 v[83:84], v[87:88], v[2:3], v[83:84]
	v_fma_f64 v[39:40], -v[39:40], v[2:3], v[91:92]
	v_fma_f64 v[85:86], v[93:94], v[2:3], v[85:86]
	v_fma_f64 v[33:34], -v[41:42], v[2:3], v[33:34]
	v_fma_f64 v[41:42], v[111:112], v[2:3], v[79:80]
	v_fma_f64 v[35:36], -v[43:44], v[2:3], v[35:36]
	v_fma_f64 v[0:1], v[113:114], v[2:3], v[0:1]
	s_waitcnt vmcnt(9)
	v_fma_f64 v[2:3], v[81:82], v[55:56], v[37:38]
	v_fma_f64 v[37:38], v[45:46], v[55:56], v[83:84]
	v_fma_f64 v[39:40], v[95:96], v[55:56], v[39:40]
	v_fma_f64 v[43:44], v[47:48], v[55:56], v[85:86]
	v_fma_f64 v[33:34], v[97:98], v[55:56], v[33:34]
	v_fma_f64 v[41:42], v[51:52], v[55:56], v[41:42]
	v_fma_f64 v[35:36], v[99:100], v[55:56], v[35:36]
	v_fma_f64 v[0:1], v[53:54], v[55:56], v[0:1]
	s_waitcnt vmcnt(8)
	v_cvt_f64_f32_e32 v[55:56], v59
	v_cvt_f64_f32_e32 v[59:60], v60
	v_cvt_f64_f32_e32 v[79:80], v61
	v_cvt_f64_f32_e32 v[61:62], v62
	s_waitcnt vmcnt(7)
	v_cvt_f64_f32_e32 v[83:84], v63
	v_cvt_f64_f32_e32 v[63:64], v64
	v_cvt_f64_f32_e32 v[85:86], v65
	v_cvt_f64_f32_e32 v[65:66], v66
	v_fma_f64 v[2:3], -v[45:46], v[57:58], v[2:3]
	v_fma_f64 v[37:38], v[81:82], v[57:58], v[37:38]
	v_fma_f64 v[39:40], -v[47:48], v[57:58], v[39:40]
	v_fma_f64 v[43:44], v[95:96], v[57:58], v[43:44]
	v_fma_f64 v[33:34], -v[51:52], v[57:58], v[33:34]
	v_fma_f64 v[41:42], v[97:98], v[57:58], v[41:42]
	v_fma_f64 v[35:36], -v[53:54], v[57:58], v[35:36]
	v_fma_f64 v[0:1], v[99:100], v[57:58], v[0:1]
	;; [unrolled: 27-line block ×4, first 2 shown]
	s_waitcnt vmcnt(0)
	v_fma_f64 v[2:3], v[8:9], v[4:5], v[2:3]
	v_fma_f64 v[10:11], v[12:13], v[4:5], v[31:32]
	;; [unrolled: 1-line block ×8, first 2 shown]
	v_fma_f64 v[35:36], -v[12:13], v[6:7], v[2:3]
	v_fma_f64 v[31:32], v[8:9], v[6:7], v[10:11]
	v_fma_f64 v[41:42], -v[14:15], v[6:7], v[37:38]
	v_fma_f64 v[33:34], v[55:56], v[6:7], v[39:40]
	;; [unrolled: 2-line block ×4, first 2 shown]
	s_and_not1_b32 exec_lo, exec_lo, s7
	s_cbranch_execnz .LBB169_35
; %bb.36:
	s_or_b32 exec_lo, exec_lo, s7
.LBB169_37:
	s_delay_alu instid0(SALU_CYCLE_1)
	s_or_b32 exec_lo, exec_lo, s6
.LBB169_38:
	s_delay_alu instid0(SALU_CYCLE_1)
	s_or_b32 exec_lo, exec_lo, s1
.LBB169_39:
	v_mbcnt_lo_u32_b32 v45, -1, 0
	s_delay_alu instid0(VALU_DEP_1) | instskip(SKIP_1) | instid1(VALU_DEP_2)
	v_or_b32_e32 v0, 32, v45
	v_xor_b32_e32 v25, 16, v45
	v_cmp_gt_i32_e32 vcc_lo, 32, v0
	v_cndmask_b32_e32 v0, v45, v0, vcc_lo
	s_delay_alu instid0(VALU_DEP_3) | instskip(NEXT) | instid1(VALU_DEP_2)
	v_cmp_gt_i32_e32 vcc_lo, 32, v25
	v_lshlrev_b32_e32 v15, 2, v0
	v_cndmask_b32_e32 v25, v45, v25, vcc_lo
	ds_bpermute_b32 v0, v15, v35
	ds_bpermute_b32 v1, v15, v36
	;; [unrolled: 1-line block ×16, first 2 shown]
	s_waitcnt lgkmcnt(0)
	v_add_f64 v[0:1], v[35:36], v[0:1]
	v_add_f64 v[2:3], v[31:32], v[2:3]
	v_add_f64 v[4:5], v[41:42], v[4:5]
	v_add_f64 v[6:7], v[33:34], v[6:7]
	v_add_f64 v[8:9], v[43:44], v[8:9]
	v_add_f64 v[10:11], v[39:40], v[10:11]
	v_lshlrev_b32_e32 v40, 2, v25
	v_add_f64 v[12:13], v[29:30], v[12:13]
	v_add_f64 v[14:15], v[37:38], v[14:15]
	ds_bpermute_b32 v25, v40, v0
	ds_bpermute_b32 v26, v40, v1
	;; [unrolled: 1-line block ×16, first 2 shown]
	s_waitcnt lgkmcnt(14)
	v_add_f64 v[0:1], v[0:1], v[25:26]
	v_xor_b32_e32 v25, 8, v45
	s_waitcnt lgkmcnt(12)
	v_add_f64 v[2:3], v[2:3], v[27:28]
	s_waitcnt lgkmcnt(10)
	v_add_f64 v[4:5], v[4:5], v[29:30]
	s_waitcnt lgkmcnt(8)
	v_add_f64 v[6:7], v[6:7], v[31:32]
	v_cmp_gt_i32_e32 vcc_lo, 32, v25
	s_waitcnt lgkmcnt(6)
	v_add_f64 v[8:9], v[8:9], v[33:34]
	s_waitcnt lgkmcnt(4)
	v_add_f64 v[10:11], v[10:11], v[35:36]
	;; [unrolled: 2-line block ×3, first 2 shown]
	v_cndmask_b32_e32 v25, v45, v25, vcc_lo
	s_waitcnt lgkmcnt(0)
	v_add_f64 v[14:15], v[14:15], v[39:40]
	s_delay_alu instid0(VALU_DEP_2)
	v_lshlrev_b32_e32 v40, 2, v25
	ds_bpermute_b32 v25, v40, v0
	ds_bpermute_b32 v26, v40, v1
	;; [unrolled: 1-line block ×16, first 2 shown]
	s_waitcnt lgkmcnt(14)
	v_add_f64 v[0:1], v[0:1], v[25:26]
	v_xor_b32_e32 v25, 4, v45
	s_waitcnt lgkmcnt(12)
	v_add_f64 v[2:3], v[2:3], v[27:28]
	s_waitcnt lgkmcnt(10)
	v_add_f64 v[4:5], v[4:5], v[29:30]
	;; [unrolled: 2-line block ×3, first 2 shown]
	v_cmp_gt_i32_e32 vcc_lo, 32, v25
	s_waitcnt lgkmcnt(6)
	v_add_f64 v[8:9], v[8:9], v[33:34]
	s_waitcnt lgkmcnt(4)
	v_add_f64 v[10:11], v[10:11], v[35:36]
	;; [unrolled: 2-line block ×3, first 2 shown]
	v_cndmask_b32_e32 v25, v45, v25, vcc_lo
	s_waitcnt lgkmcnt(0)
	v_add_f64 v[14:15], v[14:15], v[39:40]
	s_delay_alu instid0(VALU_DEP_2)
	v_lshlrev_b32_e32 v40, 2, v25
	ds_bpermute_b32 v25, v40, v0
	ds_bpermute_b32 v26, v40, v1
	;; [unrolled: 1-line block ×16, first 2 shown]
	s_waitcnt lgkmcnt(14)
	v_add_f64 v[0:1], v[0:1], v[25:26]
	s_waitcnt lgkmcnt(12)
	v_add_f64 v[2:3], v[2:3], v[27:28]
	;; [unrolled: 2-line block ×8, first 2 shown]
	v_xor_b32_e32 v14, 2, v45
	s_delay_alu instid0(VALU_DEP_1) | instskip(SKIP_1) | instid1(VALU_DEP_1)
	v_cmp_gt_i32_e32 vcc_lo, 32, v14
	v_cndmask_b32_e32 v14, v45, v14, vcc_lo
	v_lshlrev_b32_e32 v40, 2, v14
	ds_bpermute_b32 v14, v40, v0
	ds_bpermute_b32 v15, v40, v1
	;; [unrolled: 1-line block ×16, first 2 shown]
	s_waitcnt lgkmcnt(14)
	v_add_f64 v[0:1], v[0:1], v[14:15]
	s_waitcnt lgkmcnt(12)
	v_add_f64 v[27:28], v[2:3], v[27:28]
	;; [unrolled: 2-line block ×7, first 2 shown]
	v_xor_b32_e32 v12, 1, v45
	s_waitcnt lgkmcnt(0)
	v_add_f64 v[8:9], v[25:26], v[39:40]
	s_delay_alu instid0(VALU_DEP_2) | instskip(SKIP_2) | instid1(VALU_DEP_2)
	v_cmp_gt_i32_e32 vcc_lo, 32, v12
	v_cndmask_b32_e32 v12, v45, v12, vcc_lo
	v_cmp_eq_u32_e32 vcc_lo, 63, v49
	v_lshlrev_b32_e32 v34, 2, v12
	ds_bpermute_b32 v12, v34, v0
	ds_bpermute_b32 v13, v34, v1
	ds_bpermute_b32 v39, v34, v27
	ds_bpermute_b32 v40, v34, v28
	ds_bpermute_b32 v25, v34, v2
	ds_bpermute_b32 v26, v34, v3
	ds_bpermute_b32 v37, v34, v14
	ds_bpermute_b32 v38, v34, v15
	ds_bpermute_b32 v29, v34, v4
	ds_bpermute_b32 v30, v34, v5
	ds_bpermute_b32 v35, v34, v10
	ds_bpermute_b32 v36, v34, v11
	ds_bpermute_b32 v31, v34, v6
	ds_bpermute_b32 v32, v34, v7
	ds_bpermute_b32 v33, v34, v8
	ds_bpermute_b32 v34, v34, v9
	s_and_b32 exec_lo, exec_lo, vcc_lo
	s_cbranch_execz .LBB169_12
; %bb.40:
	s_waitcnt lgkmcnt(12)
	v_add_f64 v[27:28], v[27:28], v[39:40]
	s_waitcnt lgkmcnt(8)
	v_add_f64 v[14:15], v[14:15], v[37:38]
	;; [unrolled: 2-line block ×4, first 2 shown]
	v_add_f64 v[0:1], v[0:1], v[12:13]
	v_add_f64 v[2:3], v[2:3], v[25:26]
	;; [unrolled: 1-line block ×4, first 2 shown]
	v_cmp_eq_f64_e32 vcc_lo, 0, v[16:17]
	v_cmp_eq_f64_e64 s0, 0, v[18:19]
	s_load_b64 s[2:3], s[2:3], 0x60
	v_mul_f64 v[4:5], v[27:28], -v[22:23]
	v_mul_f64 v[6:7], v[20:21], v[27:28]
	v_mul_f64 v[27:28], v[14:15], -v[22:23]
	v_mul_f64 v[31:32], v[20:21], v[14:15]
	;; [unrolled: 2-line block ×4, first 2 shown]
	s_and_b32 s0, vcc_lo, s0
	v_fma_f64 v[12:13], v[20:21], v[0:1], v[4:5]
	v_fma_f64 v[14:15], v[22:23], v[0:1], v[6:7]
	;; [unrolled: 1-line block ×8, first 2 shown]
	v_lshlrev_b32_e32 v20, 2, v24
	s_and_saveexec_b32 s1, s0
	s_delay_alu instid0(SALU_CYCLE_1)
	s_xor_b32 s0, exec_lo, s1
	s_cbranch_execz .LBB169_42
; %bb.41:
	s_delay_alu instid0(VALU_DEP_1) | instskip(NEXT) | instid1(VALU_DEP_1)
	v_ashrrev_i32_e32 v21, 31, v20
                                        ; implicit-def: $vgpr18_vgpr19
	v_lshlrev_b64 v[16:17], 4, v[20:21]
                                        ; implicit-def: $vgpr20
	s_waitcnt lgkmcnt(0)
	s_delay_alu instid0(VALU_DEP_1) | instskip(NEXT) | instid1(VALU_DEP_2)
	v_add_co_u32 v16, vcc_lo, s2, v16
	v_add_co_ci_u32_e32 v17, vcc_lo, s3, v17, vcc_lo
	s_clause 0x3
	global_store_b128 v[16:17], v[12:15], off
	global_store_b128 v[16:17], v[8:11], off offset:16
	global_store_b128 v[16:17], v[4:7], off offset:32
	;; [unrolled: 1-line block ×3, first 2 shown]
                                        ; implicit-def: $vgpr16_vgpr17
                                        ; implicit-def: $vgpr12_vgpr13
                                        ; implicit-def: $vgpr8_vgpr9
                                        ; implicit-def: $vgpr4_vgpr5
                                        ; implicit-def: $vgpr0_vgpr1
.LBB169_42:
	s_and_not1_saveexec_b32 s0, s0
	s_cbranch_execz .LBB169_12
; %bb.43:
	v_ashrrev_i32_e32 v21, 31, v20
	s_delay_alu instid0(VALU_DEP_1) | instskip(SKIP_1) | instid1(VALU_DEP_1)
	v_lshlrev_b64 v[20:21], 4, v[20:21]
	s_waitcnt lgkmcnt(0)
	v_add_co_u32 v36, vcc_lo, s2, v20
	s_delay_alu instid0(VALU_DEP_2)
	v_add_co_ci_u32_e32 v37, vcc_lo, s3, v21, vcc_lo
	s_clause 0x3
	global_load_b128 v[20:23], v[36:37], off
	global_load_b128 v[24:27], v[36:37], off offset:16
	global_load_b128 v[28:31], v[36:37], off offset:32
	global_load_b128 v[32:35], v[36:37], off offset:48
	s_waitcnt vmcnt(3)
	v_fma_f64 v[12:13], v[16:17], v[20:21], v[12:13]
	v_fma_f64 v[14:15], v[18:19], v[20:21], v[14:15]
	s_waitcnt vmcnt(2)
	v_fma_f64 v[8:9], v[16:17], v[24:25], v[8:9]
	v_fma_f64 v[10:11], v[18:19], v[24:25], v[10:11]
	;; [unrolled: 3-line block ×4, first 2 shown]
	v_fma_f64 v[0:1], -v[18:19], v[22:23], v[12:13]
	v_fma_f64 v[2:3], v[16:17], v[22:23], v[14:15]
	v_fma_f64 v[4:5], -v[18:19], v[26:27], v[8:9]
	v_fma_f64 v[6:7], v[16:17], v[26:27], v[10:11]
	;; [unrolled: 2-line block ×4, first 2 shown]
	s_clause 0x3
	global_store_b128 v[36:37], v[0:3], off
	global_store_b128 v[36:37], v[4:7], off offset:16
	global_store_b128 v[36:37], v[8:11], off offset:32
	;; [unrolled: 1-line block ×3, first 2 shown]
	s_nop 0
	s_sendmsg sendmsg(MSG_DEALLOC_VGPRS)
	s_endpgm
	.section	.rodata,"a",@progbits
	.p2align	6, 0x0
	.amdhsa_kernel _ZN9rocsparseL18bsrxmvn_4x4_kernelILj128ELj64E21rocsparse_complex_numIdEiiS1_IfES2_S2_EEvT3_20rocsparse_direction_NS_24const_host_device_scalarIT1_EES4_PKS4_PKT2_SD_SA_PKT4_PKT5_S8_PT6_21rocsparse_index_base_b
		.amdhsa_group_segment_fixed_size 2048
		.amdhsa_private_segment_fixed_size 0
		.amdhsa_kernarg_size 112
		.amdhsa_user_sgpr_count 15
		.amdhsa_user_sgpr_dispatch_ptr 1
		.amdhsa_user_sgpr_queue_ptr 0
		.amdhsa_user_sgpr_kernarg_segment_ptr 1
		.amdhsa_user_sgpr_dispatch_id 0
		.amdhsa_user_sgpr_private_segment_size 0
		.amdhsa_wavefront_size32 1
		.amdhsa_uses_dynamic_stack 0
		.amdhsa_enable_private_segment 0
		.amdhsa_system_sgpr_workgroup_id_x 1
		.amdhsa_system_sgpr_workgroup_id_y 0
		.amdhsa_system_sgpr_workgroup_id_z 0
		.amdhsa_system_sgpr_workgroup_info 0
		.amdhsa_system_vgpr_workitem_id 2
		.amdhsa_next_free_vgpr 143
		.amdhsa_next_free_sgpr 18
		.amdhsa_reserve_vcc 1
		.amdhsa_float_round_mode_32 0
		.amdhsa_float_round_mode_16_64 0
		.amdhsa_float_denorm_mode_32 3
		.amdhsa_float_denorm_mode_16_64 3
		.amdhsa_dx10_clamp 1
		.amdhsa_ieee_mode 1
		.amdhsa_fp16_overflow 0
		.amdhsa_workgroup_processor_mode 1
		.amdhsa_memory_ordered 1
		.amdhsa_forward_progress 0
		.amdhsa_shared_vgpr_count 0
		.amdhsa_exception_fp_ieee_invalid_op 0
		.amdhsa_exception_fp_denorm_src 0
		.amdhsa_exception_fp_ieee_div_zero 0
		.amdhsa_exception_fp_ieee_overflow 0
		.amdhsa_exception_fp_ieee_underflow 0
		.amdhsa_exception_fp_ieee_inexact 0
		.amdhsa_exception_int_div_zero 0
	.end_amdhsa_kernel
	.section	.text._ZN9rocsparseL18bsrxmvn_4x4_kernelILj128ELj64E21rocsparse_complex_numIdEiiS1_IfES2_S2_EEvT3_20rocsparse_direction_NS_24const_host_device_scalarIT1_EES4_PKS4_PKT2_SD_SA_PKT4_PKT5_S8_PT6_21rocsparse_index_base_b,"axG",@progbits,_ZN9rocsparseL18bsrxmvn_4x4_kernelILj128ELj64E21rocsparse_complex_numIdEiiS1_IfES2_S2_EEvT3_20rocsparse_direction_NS_24const_host_device_scalarIT1_EES4_PKS4_PKT2_SD_SA_PKT4_PKT5_S8_PT6_21rocsparse_index_base_b,comdat
.Lfunc_end169:
	.size	_ZN9rocsparseL18bsrxmvn_4x4_kernelILj128ELj64E21rocsparse_complex_numIdEiiS1_IfES2_S2_EEvT3_20rocsparse_direction_NS_24const_host_device_scalarIT1_EES4_PKS4_PKT2_SD_SA_PKT4_PKT5_S8_PT6_21rocsparse_index_base_b, .Lfunc_end169-_ZN9rocsparseL18bsrxmvn_4x4_kernelILj128ELj64E21rocsparse_complex_numIdEiiS1_IfES2_S2_EEvT3_20rocsparse_direction_NS_24const_host_device_scalarIT1_EES4_PKS4_PKT2_SD_SA_PKT4_PKT5_S8_PT6_21rocsparse_index_base_b
                                        ; -- End function
	.section	.AMDGPU.csdata,"",@progbits
; Kernel info:
; codeLenInByte = 12196
; NumSgprs: 20
; NumVgprs: 143
; ScratchSize: 0
; MemoryBound: 0
; FloatMode: 240
; IeeeMode: 1
; LDSByteSize: 2048 bytes/workgroup (compile time only)
; SGPRBlocks: 2
; VGPRBlocks: 17
; NumSGPRsForWavesPerEU: 20
; NumVGPRsForWavesPerEU: 143
; Occupancy: 10
; WaveLimiterHint : 1
; COMPUTE_PGM_RSRC2:SCRATCH_EN: 0
; COMPUTE_PGM_RSRC2:USER_SGPR: 15
; COMPUTE_PGM_RSRC2:TRAP_HANDLER: 0
; COMPUTE_PGM_RSRC2:TGID_X_EN: 1
; COMPUTE_PGM_RSRC2:TGID_Y_EN: 0
; COMPUTE_PGM_RSRC2:TGID_Z_EN: 0
; COMPUTE_PGM_RSRC2:TIDIG_COMP_CNT: 2
	.section	.text._ZN9rocsparseL18bsrxmvn_4x4_kernelILj128ELj4E21rocsparse_complex_numIdEliS1_IfES2_S2_EEvT3_20rocsparse_direction_NS_24const_host_device_scalarIT1_EES4_PKS4_PKT2_SD_SA_PKT4_PKT5_S8_PT6_21rocsparse_index_base_b,"axG",@progbits,_ZN9rocsparseL18bsrxmvn_4x4_kernelILj128ELj4E21rocsparse_complex_numIdEliS1_IfES2_S2_EEvT3_20rocsparse_direction_NS_24const_host_device_scalarIT1_EES4_PKS4_PKT2_SD_SA_PKT4_PKT5_S8_PT6_21rocsparse_index_base_b,comdat
	.globl	_ZN9rocsparseL18bsrxmvn_4x4_kernelILj128ELj4E21rocsparse_complex_numIdEliS1_IfES2_S2_EEvT3_20rocsparse_direction_NS_24const_host_device_scalarIT1_EES4_PKS4_PKT2_SD_SA_PKT4_PKT5_S8_PT6_21rocsparse_index_base_b ; -- Begin function _ZN9rocsparseL18bsrxmvn_4x4_kernelILj128ELj4E21rocsparse_complex_numIdEliS1_IfES2_S2_EEvT3_20rocsparse_direction_NS_24const_host_device_scalarIT1_EES4_PKS4_PKT2_SD_SA_PKT4_PKT5_S8_PT6_21rocsparse_index_base_b
	.p2align	8
	.type	_ZN9rocsparseL18bsrxmvn_4x4_kernelILj128ELj4E21rocsparse_complex_numIdEliS1_IfES2_S2_EEvT3_20rocsparse_direction_NS_24const_host_device_scalarIT1_EES4_PKS4_PKT2_SD_SA_PKT4_PKT5_S8_PT6_21rocsparse_index_base_b,@function
_ZN9rocsparseL18bsrxmvn_4x4_kernelILj128ELj4E21rocsparse_complex_numIdEliS1_IfES2_S2_EEvT3_20rocsparse_direction_NS_24const_host_device_scalarIT1_EES4_PKS4_PKT2_SD_SA_PKT4_PKT5_S8_PT6_21rocsparse_index_base_b: ; @_ZN9rocsparseL18bsrxmvn_4x4_kernelILj128ELj4E21rocsparse_complex_numIdEliS1_IfES2_S2_EEvT3_20rocsparse_direction_NS_24const_host_device_scalarIT1_EES4_PKS4_PKT2_SD_SA_PKT4_PKT5_S8_PT6_21rocsparse_index_base_b
; %bb.0:
	s_load_b64 s[12:13], s[2:3], 0x68
	s_load_b64 s[16:17], s[0:1], 0x4
	s_load_b128 s[8:11], s[2:3], 0x8
	v_bfe_u32 v2, v0, 10, 10
	s_mov_b64 s[0:1], src_shared_base
	s_load_b128 s[4:7], s[2:3], 0x50
	v_and_b32_e32 v1, 0x3ff, v0
	v_bfe_u32 v0, v0, 20, 10
	s_waitcnt lgkmcnt(0)
	s_bitcmp1_b32 s13, 0
	v_mul_u32_u24_e32 v2, s17, v2
	s_cselect_b32 s0, -1, 0
	v_mov_b32_e32 v23, s11
	s_and_b32 vcc_lo, s0, exec_lo
	s_cselect_b32 s13, s1, s9
	s_lshr_b32 s14, s16, 16
	v_dual_mov_b32 v4, s4 :: v_dual_mov_b32 v5, s5
	s_mul_i32 s14, s14, s17
	v_dual_mov_b32 v7, s13 :: v_dual_mov_b32 v22, s10
	v_mad_u32_u24 v2, s14, v1, v2
	s_xor_b32 s10, s0, -1
	s_delay_alu instid0(VALU_DEP_1) | instskip(SKIP_1) | instid1(VALU_DEP_2)
	v_add_lshl_u32 v0, v2, v0, 3
	v_dual_mov_b32 v2, s8 :: v_dual_mov_b32 v3, s9
	v_add_nc_u32_e32 v6, 0x400, v0
	ds_store_2addr_stride64_b64 v0, v[4:5], v[2:3] offset1:2
	v_cndmask_b32_e64 v6, s8, v6, s0
	flat_load_b64 v[20:21], v[6:7]
	s_cbranch_vccnz .LBB170_2
; %bb.1:
	v_dual_mov_b32 v2, s8 :: v_dual_mov_b32 v3, s9
	flat_load_b64 v[22:23], v[2:3] offset:8
.LBB170_2:
	s_and_b32 s8, s0, exec_lo
	s_cselect_b32 s1, s1, s5
	v_cndmask_b32_e64 v2, s4, v0, s0
	v_mov_b32_e32 v3, s1
	v_dual_mov_b32 v19, s7 :: v_dual_mov_b32 v18, s6
	s_and_not1_b32 vcc_lo, exec_lo, s10
	flat_load_b64 v[16:17], v[2:3]
	s_cbranch_vccnz .LBB170_4
; %bb.3:
	v_dual_mov_b32 v2, s4 :: v_dual_mov_b32 v3, s5
	flat_load_b64 v[18:19], v[2:3] offset:8
.LBB170_4:
	s_waitcnt vmcnt(1) lgkmcnt(1)
	v_cmp_eq_f64_e32 vcc_lo, 0, v[20:21]
	v_cmp_eq_f64_e64 s0, 0, v[22:23]
	s_delay_alu instid0(VALU_DEP_1)
	s_and_b32 s4, vcc_lo, s0
	s_mov_b32 s0, -1
	s_and_saveexec_b32 s1, s4
	s_cbranch_execz .LBB170_6
; %bb.5:
	s_waitcnt vmcnt(0) lgkmcnt(0)
	v_cmp_neq_f64_e32 vcc_lo, 1.0, v[16:17]
	v_cmp_neq_f64_e64 s0, 0, v[18:19]
	s_delay_alu instid0(VALU_DEP_1) | instskip(NEXT) | instid1(SALU_CYCLE_1)
	s_or_b32 s0, vcc_lo, s0
	s_or_not1_b32 s0, s0, exec_lo
.LBB170_6:
	s_or_b32 exec_lo, exec_lo, s1
	s_and_saveexec_b32 s1, s0
	s_cbranch_execz .LBB170_12
; %bb.7:
	s_clause 0x1
	s_load_b64 s[4:5], s[2:3], 0x20
	s_load_b64 s[0:1], s[2:3], 0x0
	v_lshrrev_b32_e32 v0, 2, v1
	s_delay_alu instid0(VALU_DEP_1)
	v_lshl_or_b32 v24, s15, 5, v0
	s_waitcnt lgkmcnt(0)
	s_cmp_lg_u64 s[4:5], 0
	s_cbranch_scc0 .LBB170_13
; %bb.8:
	s_load_b32 s6, s[2:3], 0x18
	s_mov_b32 s7, 0
                                        ; implicit-def: $vgpr0
	s_waitcnt lgkmcnt(0)
	v_cmp_gt_i32_e32 vcc_lo, s6, v24
	s_mov_b32 s6, 0
	s_and_saveexec_b32 s8, vcc_lo
	s_delay_alu instid0(SALU_CYCLE_1)
	s_xor_b32 s8, exec_lo, s8
	s_cbranch_execz .LBB170_10
; %bb.9:
	v_ashrrev_i32_e32 v25, 31, v24
	s_mov_b32 s6, exec_lo
	s_delay_alu instid0(VALU_DEP_1) | instskip(NEXT) | instid1(VALU_DEP_1)
	v_lshlrev_b64 v[2:3], 2, v[24:25]
	v_add_co_u32 v2, vcc_lo, s4, v2
	s_delay_alu instid0(VALU_DEP_2)
	v_add_co_ci_u32_e32 v3, vcc_lo, s5, v3, vcc_lo
	global_load_b32 v0, v[2:3], off
	s_waitcnt vmcnt(0)
	v_subrev_nc_u32_e32 v0, s12, v0
.LBB170_10:
	s_or_b32 exec_lo, exec_lo, s8
	s_delay_alu instid0(SALU_CYCLE_1)
	s_and_b32 vcc_lo, exec_lo, s7
	s_cbranch_vccz .LBB170_14
.LBB170_11:
	v_cmp_gt_i32_e32 vcc_lo, s0, v24
	s_and_not1_b32 s0, s6, exec_lo
	s_and_b32 s4, vcc_lo, exec_lo
	s_delay_alu instid0(SALU_CYCLE_1) | instskip(NEXT) | instid1(SALU_CYCLE_1)
	s_or_b32 s6, s0, s4
	s_and_b32 exec_lo, exec_lo, s6
	s_cbranch_execnz .LBB170_15
.LBB170_12:
	s_nop 0
	s_sendmsg sendmsg(MSG_DEALLOC_VGPRS)
	s_endpgm
.LBB170_13:
	s_mov_b32 s6, 0
                                        ; implicit-def: $vgpr0
	s_cbranch_execnz .LBB170_11
.LBB170_14:
	s_delay_alu instid0(VALU_DEP_1)
	v_mov_b32_e32 v24, v0
	s_and_b32 exec_lo, exec_lo, s6
	s_cbranch_execz .LBB170_12
.LBB170_15:
	s_load_b256 s[4:11], s[2:3], 0x28
	s_delay_alu instid0(VALU_DEP_1) | instskip(SKIP_1) | instid1(VALU_DEP_2)
	v_ashrrev_i32_e32 v25, 31, v24
	v_and_b32_e32 v47, 3, v1
	v_lshlrev_b64 v[2:3], 3, v[24:25]
	s_waitcnt lgkmcnt(0)
	s_delay_alu instid0(VALU_DEP_1) | instskip(NEXT) | instid1(VALU_DEP_2)
	v_add_co_u32 v4, vcc_lo, s4, v2
	v_add_co_ci_u32_e32 v5, vcc_lo, s5, v3, vcc_lo
	v_add_co_u32 v0, vcc_lo, s6, v2
	v_add_co_ci_u32_e32 v2, vcc_lo, s7, v3, vcc_lo
	s_delay_alu instid0(VALU_DEP_4)
	v_add_co_u32 v6, vcc_lo, v4, 8
	global_load_b64 v[39:40], v[4:5], off
	v_add_co_ci_u32_e32 v3, vcc_lo, 0, v5, vcc_lo
	s_cmp_eq_u64 s[6:7], 0
	s_load_b64 s[4:5], s[2:3], 0x48
	s_cselect_b32 vcc_lo, -1, 0
	s_cmp_eq_u32 s1, 1
	v_dual_cndmask_b32 v3, v2, v3 :: v_dual_cndmask_b32 v2, v0, v6
	global_load_b64 v[2:3], v[2:3], off
	s_waitcnt vmcnt(1)
	v_sub_co_u32 v0, vcc_lo, v39, s12
	v_subrev_co_ci_u32_e32 v1, vcc_lo, 0, v40, vcc_lo
	s_delay_alu instid0(VALU_DEP_2) | instskip(NEXT) | instid1(VALU_DEP_2)
	v_add_co_u32 v8, vcc_lo, v0, v47
	v_add_co_ci_u32_e32 v9, vcc_lo, 0, v1, vcc_lo
	s_delay_alu instid0(VALU_DEP_1) | instskip(SKIP_3) | instid1(VALU_DEP_3)
	v_lshlrev_b64 v[0:1], 7, v[8:9]
	s_waitcnt vmcnt(0)
	v_sub_co_u32 v10, vcc_lo, v2, s12
	v_subrev_co_ci_u32_e32 v11, vcc_lo, 0, v3, vcc_lo
	v_add_co_u32 v12, vcc_lo, s10, v0
	s_delay_alu instid0(VALU_DEP_2)
	v_cmp_lt_i64_e64 s0, v[8:9], v[10:11]
	v_add_co_ci_u32_e32 v13, vcc_lo, s11, v1, vcc_lo
	s_cbranch_scc1 .LBB170_27
; %bb.16:
	v_mov_b32_e32 v14, 0
	v_mov_b32_e32 v15, 0
	s_delay_alu instid0(VALU_DEP_1)
	v_dual_mov_b32 v30, v15 :: v_dual_mov_b32 v29, v14
	v_dual_mov_b32 v28, v15 :: v_dual_mov_b32 v27, v14
	;; [unrolled: 1-line block ×7, first 2 shown]
	s_and_saveexec_b32 s6, s0
	s_cbranch_execz .LBB170_26
; %bb.17:
	v_or_b32_e32 v0, 4, v47
	v_not_b32_e32 v3, v39
	v_not_b32_e32 v2, v40
	v_mov_b32_e32 v44, v9
	s_mov_b32 s10, 0
	v_sub_co_u32 v0, s1, v0, s12
	s_delay_alu instid0(VALU_DEP_1) | instskip(SKIP_1) | instid1(VALU_DEP_3)
	v_sub_co_ci_u32_e64 v1, null, 0, 0, s1
	v_sub_co_u32 v4, s1, s12, v47
	v_add_co_u32 v0, vcc_lo, v0, v39
	s_delay_alu instid0(VALU_DEP_3) | instskip(SKIP_2) | instid1(VALU_DEP_2)
	v_add_co_ci_u32_e32 v1, vcc_lo, v1, v40, vcc_lo
	v_sub_co_ci_u32_e64 v5, null, 0, 0, s1
	s_mov_b32 s7, exec_lo
	v_cmp_gt_i64_e32 vcc_lo, v[0:1], v[10:11]
	v_mov_b32_e32 v43, v8
	v_dual_cndmask_b32 v1, v11, v1 :: v_dual_cndmask_b32 v0, v10, v0
	v_add_co_u32 v3, vcc_lo, v4, v3
	v_add_co_ci_u32_e32 v2, vcc_lo, v5, v2, vcc_lo
	s_delay_alu instid0(VALU_DEP_2) | instskip(NEXT) | instid1(VALU_DEP_2)
	v_add_co_u32 v0, vcc_lo, v3, v0
	v_add_co_ci_u32_e32 v1, vcc_lo, v2, v1, vcc_lo
	s_delay_alu instid0(VALU_DEP_2) | instskip(SKIP_3) | instid1(VALU_DEP_4)
	v_lshrrev_b32_e32 v2, 2, v0
	v_mov_b32_e32 v25, 0
	v_mov_b32_e32 v26, 0
	v_dual_mov_b32 v42, v13 :: v_dual_mov_b32 v41, v12
	v_add_nc_u32_e32 v2, 1, v2
	s_delay_alu instid0(VALU_DEP_3)
	v_dual_mov_b32 v14, v25 :: v_dual_mov_b32 v15, v26
	v_mov_b32_e32 v36, v26
	v_mov_b32_e32 v28, v26
	;; [unrolled: 1-line block ×3, first 2 shown]
	v_dual_mov_b32 v32, v26 :: v_dual_mov_b32 v31, v25
	v_dual_mov_b32 v38, v26 :: v_dual_mov_b32 v37, v25
	;; [unrolled: 1-line block ×3, first 2 shown]
	v_dual_mov_b32 v35, v25 :: v_dual_and_b32 v2, 3, v2
	v_mov_b32_e32 v27, v25
	v_mov_b32_e32 v29, v25
	s_delay_alu instid0(VALU_DEP_3)
	v_cmpx_ne_u32_e32 0, v2
	s_cbranch_execz .LBB170_21
; %bb.18:
	v_lshlrev_b64 v[4:5], 2, v[8:9]
	v_dual_mov_b32 v3, 0 :: v_dual_mov_b32 v14, 0
	v_dual_mov_b32 v15, 0 :: v_dual_lshlrev_b32 v2, 2, v2
	v_dual_mov_b32 v44, v9 :: v_dual_mov_b32 v43, v8
	s_delay_alu instid0(VALU_DEP_4)
	v_add_co_u32 v4, vcc_lo, s8, v4
	v_add_co_ci_u32_e32 v5, vcc_lo, s9, v5, vcc_lo
	v_dual_mov_b32 v42, v13 :: v_dual_mov_b32 v41, v12
	v_dual_mov_b32 v30, v15 :: v_dual_mov_b32 v29, v14
	;; [unrolled: 1-line block ×8, first 2 shown]
.LBB170_19:                             ; =>This Inner Loop Header: Depth=1
	global_load_b32 v6, v[4:5], off
	s_clause 0x7
	global_load_b128 v[48:51], v[41:42], off
	global_load_b128 v[52:55], v[41:42], off offset:32
	global_load_b128 v[56:59], v[41:42], off offset:64
	;; [unrolled: 1-line block ×7, first 2 shown]
	v_add_co_u32 v4, s1, v4, 16
	s_delay_alu instid0(VALU_DEP_1)
	v_add_co_ci_u32_e64 v5, s1, 0, v5, s1
	s_waitcnt vmcnt(8)
	v_subrev_nc_u32_e32 v6, s12, v6
	s_waitcnt vmcnt(7)
	v_cvt_f64_f32_e32 v[45:46], v49
	s_waitcnt vmcnt(6)
	v_cvt_f64_f32_e32 v[100:101], v54
	;; [unrolled: 2-line block ×3, first 2 shown]
	v_cvt_f64_f32_e32 v[56:57], v57
	v_lshlrev_b32_e32 v6, 2, v6
	s_waitcnt vmcnt(3)
	v_cvt_f64_f32_e32 v[98:99], v64
	v_cvt_f64_f32_e32 v[64:65], v65
	;; [unrolled: 1-line block ×4, first 2 shown]
	v_ashrrev_i32_e32 v7, 31, v6
	v_cvt_f64_f32_e32 v[58:59], v59
	v_cvt_f64_f32_e32 v[104:105], v66
	;; [unrolled: 1-line block ×3, first 2 shown]
	s_delay_alu instid0(VALU_DEP_4) | instskip(SKIP_1) | instid1(VALU_DEP_1)
	v_lshlrev_b64 v[6:7], 4, v[6:7]
	s_waitcnt lgkmcnt(0)
	v_add_co_u32 v6, vcc_lo, s4, v6
	s_delay_alu instid0(VALU_DEP_2)
	v_add_co_ci_u32_e32 v7, vcc_lo, s5, v7, vcc_lo
	v_add_co_u32 v41, vcc_lo, 0x200, v41
	v_add_co_ci_u32_e32 v42, vcc_lo, 0, v42, vcc_lo
	s_clause 0x3
	global_load_b128 v[80:83], v[6:7], off
	global_load_b128 v[84:87], v[6:7], off offset:16
	global_load_b128 v[88:91], v[6:7], off offset:32
	;; [unrolled: 1-line block ×3, first 2 shown]
	v_cvt_f64_f32_e32 v[6:7], v48
	v_cvt_f64_f32_e32 v[48:49], v52
	;; [unrolled: 1-line block ×3, first 2 shown]
	v_add_co_u32 v2, vcc_lo, v2, -4
	v_add_co_ci_u32_e32 v3, vcc_lo, -1, v3, vcc_lo
	v_add_co_u32 v43, vcc_lo, v43, 4
	v_add_co_ci_u32_e32 v44, vcc_lo, 0, v44, vcc_lo
	s_delay_alu instid0(VALU_DEP_3)
	v_cmp_eq_u64_e32 vcc_lo, 0, v[2:3]
	s_or_b32 s10, vcc_lo, s10
	s_waitcnt vmcnt(3)
	v_fma_f64 v[29:30], v[6:7], v[80:81], v[29:30]
	v_fma_f64 v[14:15], v[45:46], v[80:81], v[14:15]
	;; [unrolled: 1-line block ×8, first 2 shown]
	v_cvt_f64_f32_e32 v[80:81], v50
	v_cvt_f64_f32_e32 v[50:51], v51
	v_fma_f64 v[29:30], -v[45:46], v[82:83], v[29:30]
	v_fma_f64 v[6:7], v[6:7], v[82:83], v[14:15]
	v_fma_f64 v[14:15], -v[52:53], v[82:83], v[35:36]
	v_fma_f64 v[27:28], v[48:49], v[82:83], v[27:28]
	;; [unrolled: 2-line block ×4, first 2 shown]
	v_cvt_f64_f32_e32 v[37:38], v68
	v_cvt_f64_f32_e32 v[45:46], v69
	;; [unrolled: 1-line block ×10, first 2 shown]
	s_waitcnt vmcnt(2)
	v_fma_f64 v[29:30], v[80:81], v[84:85], v[29:30]
	v_fma_f64 v[6:7], v[50:51], v[84:85], v[6:7]
	;; [unrolled: 1-line block ×8, first 2 shown]
	v_fma_f64 v[29:30], -v[50:51], v[86:87], v[29:30]
	v_fma_f64 v[6:7], v[80:81], v[86:87], v[6:7]
	v_fma_f64 v[14:15], -v[54:55], v[86:87], v[14:15]
	v_fma_f64 v[27:28], v[100:101], v[86:87], v[27:28]
	v_fma_f64 v[35:36], -v[58:59], v[86:87], v[35:36]
	v_fma_f64 v[33:34], v[102:103], v[86:87], v[33:34]
	v_fma_f64 v[25:26], -v[66:67], v[86:87], v[25:26]
	v_fma_f64 v[31:32], v[104:105], v[86:87], v[31:32]
	v_cvt_f64_f32_e32 v[50:51], v70
	v_cvt_f64_f32_e32 v[54:55], v71
	;; [unrolled: 1-line block ×6, first 2 shown]
	s_waitcnt vmcnt(1)
	v_fma_f64 v[29:30], v[37:38], v[88:89], v[29:30]
	v_fma_f64 v[6:7], v[45:46], v[88:89], v[6:7]
	;; [unrolled: 1-line block ×8, first 2 shown]
	v_fma_f64 v[29:30], -v[45:46], v[90:91], v[29:30]
	v_fma_f64 v[6:7], v[37:38], v[90:91], v[6:7]
	v_fma_f64 v[14:15], -v[52:53], v[90:91], v[14:15]
	v_fma_f64 v[27:28], v[48:49], v[90:91], v[27:28]
	;; [unrolled: 2-line block ×4, first 2 shown]
	s_waitcnt vmcnt(0)
	v_fma_f64 v[29:30], v[50:51], v[92:93], v[29:30]
	v_fma_f64 v[6:7], v[54:55], v[92:93], v[6:7]
	;; [unrolled: 1-line block ×8, first 2 shown]
	v_fma_f64 v[29:30], -v[54:55], v[94:95], v[29:30]
	v_fma_f64 v[14:15], v[50:51], v[94:95], v[6:7]
	v_fma_f64 v[35:36], -v[62:63], v[94:95], v[37:38]
	v_fma_f64 v[27:28], v[58:59], v[94:95], v[27:28]
	;; [unrolled: 2-line block ×4, first 2 shown]
	s_and_not1_b32 exec_lo, exec_lo, s10
	s_cbranch_execnz .LBB170_19
; %bb.20:
	s_or_b32 exec_lo, exec_lo, s10
.LBB170_21:
	s_delay_alu instid0(SALU_CYCLE_1) | instskip(NEXT) | instid1(SALU_CYCLE_1)
	s_or_b32 exec_lo, exec_lo, s7
	s_mov_b32 s7, exec_lo
	v_cmpx_lt_u64_e32 11, v[0:1]
	s_cbranch_execz .LBB170_25
; %bb.22:
	v_lshlrev_b64 v[0:1], 2, v[43:44]
	s_mov_b32 s10, 0
	s_delay_alu instid0(VALU_DEP_1) | instskip(NEXT) | instid1(VALU_DEP_2)
	v_add_co_u32 v0, vcc_lo, v0, s8
	v_add_co_ci_u32_e32 v1, vcc_lo, s9, v1, vcc_lo
	s_delay_alu instid0(VALU_DEP_2) | instskip(NEXT) | instid1(VALU_DEP_2)
	v_add_co_u32 v45, vcc_lo, v0, 32
	v_add_co_ci_u32_e32 v46, vcc_lo, 0, v1, vcc_lo
.LBB170_23:                             ; =>This Inner Loop Header: Depth=1
	global_load_b32 v48, v[45:46], off offset:-32
	s_clause 0x1
	global_load_b128 v[4:7], v[41:42], off
	global_load_b128 v[0:3], v[41:42], off offset:32
	global_load_b32 v105, v[45:46], off offset:-16
	s_clause 0x1
	global_load_b128 v[49:52], v[41:42], off offset:64
	global_load_b128 v[53:56], v[41:42], off offset:96
	s_clause 0x1
	global_load_b32 v133, v[45:46], off
	global_load_b32 v134, v[45:46], off offset:16
	v_add_co_u32 v45, s1, v45, 64
	s_delay_alu instid0(VALU_DEP_1)
	v_add_co_ci_u32_e64 v46, s1, 0, v46, s1
	s_waitcnt vmcnt(7)
	v_subrev_nc_u32_e32 v48, s12, v48
	s_waitcnt vmcnt(6)
	v_cvt_f64_f32_e32 v[109:110], v4
	v_cvt_f64_f32_e32 v[4:5], v5
	s_waitcnt vmcnt(4)
	v_subrev_nc_u32_e32 v105, s12, v105
	v_cvt_f64_f32_e32 v[111:112], v0
	v_lshlrev_b32_e32 v57, 2, v48
	v_cvt_f64_f32_e32 v[0:1], v1
	s_waitcnt vmcnt(3)
	v_cvt_f64_f32_e32 v[48:49], v49
	v_lshlrev_b32_e32 v105, 2, v105
	v_cvt_f64_f32_e32 v[113:114], v50
	v_ashrrev_i32_e32 v58, 31, v57
	s_waitcnt vmcnt(2)
	v_cvt_f64_f32_e32 v[115:116], v53
	v_cvt_f64_f32_e32 v[53:54], v54
	v_ashrrev_i32_e32 v106, 31, v105
	v_cvt_f64_f32_e32 v[119:120], v7
	v_lshlrev_b64 v[57:58], 4, v[57:58]
	v_cvt_f64_f32_e32 v[121:122], v2
	v_cvt_f64_f32_e32 v[123:124], v3
	v_lshlrev_b64 v[105:106], 4, v[105:106]
	v_cvt_f64_f32_e32 v[50:51], v51
	v_cvt_f64_f32_e32 v[125:126], v52
	s_waitcnt lgkmcnt(0)
	v_add_co_u32 v85, vcc_lo, s4, v57
	v_add_co_ci_u32_e32 v86, vcc_lo, s5, v58, vcc_lo
	v_add_co_u32 v117, vcc_lo, s4, v105
	v_add_co_ci_u32_e32 v118, vcc_lo, s5, v106, vcc_lo
	s_clause 0x1
	global_load_b128 v[57:60], v[85:86], off
	global_load_b128 v[61:64], v[85:86], off offset:16
	s_clause 0x3
	global_load_b128 v[65:68], v[41:42], off offset:16
	global_load_b128 v[69:72], v[41:42], off offset:48
	;; [unrolled: 1-line block ×4, first 2 shown]
	s_clause 0x1
	global_load_b128 v[81:84], v[85:86], off offset:32
	global_load_b128 v[85:88], v[85:86], off offset:48
	s_clause 0x3
	global_load_b128 v[89:92], v[41:42], off offset:512
	global_load_b128 v[93:96], v[41:42], off offset:544
	;; [unrolled: 1-line block ×4, first 2 shown]
	v_cvt_f64_f32_e32 v[127:128], v55
	v_cvt_f64_f32_e32 v[55:56], v56
	global_load_b128 v[105:108], v[117:118], off
	s_waitcnt vmcnt(12)
	v_fma_f64 v[29:30], v[109:110], v[57:58], v[29:30]
	v_fma_f64 v[14:15], v[4:5], v[57:58], v[14:15]
	v_fma_f64 v[35:36], v[111:112], v[57:58], v[35:36]
	v_fma_f64 v[27:28], v[0:1], v[57:58], v[27:28]
	v_fma_f64 v[37:38], v[48:49], v[57:58], v[37:38]
	v_fma_f64 v[33:34], v[113:114], v[57:58], v[33:34]
	v_fma_f64 v[25:26], v[115:116], v[57:58], v[25:26]
	v_fma_f64 v[31:32], v[53:54], v[57:58], v[31:32]
	v_cvt_f64_f32_e32 v[57:58], v6
	s_waitcnt vmcnt(8)
	v_cvt_f64_f32_e32 v[129:130], v73
	v_cvt_f64_f32_e32 v[73:74], v74
	s_waitcnt vmcnt(7)
	v_cvt_f64_f32_e32 v[131:132], v77
	v_cvt_f64_f32_e32 v[77:78], v78
	v_fma_f64 v[4:5], -v[4:5], v[59:60], v[29:30]
	v_fma_f64 v[6:7], v[109:110], v[59:60], v[14:15]
	v_fma_f64 v[14:15], -v[0:1], v[59:60], v[35:36]
	global_load_b128 v[0:3], v[117:118], off offset:16
	v_fma_f64 v[27:28], v[111:112], v[59:60], v[27:28]
	v_fma_f64 v[29:30], -v[113:114], v[59:60], v[37:38]
	v_fma_f64 v[33:34], v[48:49], v[59:60], v[33:34]
	v_fma_f64 v[25:26], -v[53:54], v[59:60], v[25:26]
	v_fma_f64 v[31:32], v[115:116], v[59:60], v[31:32]
	v_cvt_f64_f32_e32 v[113:114], v65
	v_cvt_f64_f32_e32 v[65:66], v66
	;; [unrolled: 1-line block ×4, first 2 shown]
	v_fma_f64 v[37:38], v[57:58], v[61:62], v[4:5]
	v_fma_f64 v[48:49], v[119:120], v[61:62], v[6:7]
	;; [unrolled: 1-line block ×8, first 2 shown]
	s_clause 0x3
	global_load_b128 v[4:7], v[41:42], off offset:528
	global_load_b128 v[25:28], v[41:42], off offset:560
	;; [unrolled: 1-line block ×4, first 2 shown]
	v_fma_f64 v[37:38], -v[119:120], v[63:64], v[37:38]
	v_fma_f64 v[57:58], v[57:58], v[63:64], v[48:49]
	v_fma_f64 v[14:15], -v[123:124], v[63:64], v[14:15]
	v_cvt_f64_f32_e32 v[119:120], v72
	v_fma_f64 v[52:53], v[121:122], v[63:64], v[52:53]
	v_fma_f64 v[59:60], -v[125:126], v[63:64], v[59:60]
	v_fma_f64 v[109:110], v[50:51], v[63:64], v[109:110]
	v_fma_f64 v[54:55], -v[55:56], v[63:64], v[111:112]
	v_fma_f64 v[61:62], v[127:128], v[63:64], v[61:62]
	global_load_b128 v[48:51], v[117:118], off offset:32
	v_cvt_f64_f32_e32 v[111:112], v71
	v_cvt_f64_f32_e32 v[121:122], v75
	;; [unrolled: 1-line block ×5, first 2 shown]
	s_waitcnt vmcnt(9)
	v_cvt_f64_f32_e32 v[125:126], v93
	v_cvt_f64_f32_e32 v[93:94], v94
	s_waitcnt vmcnt(8)
	v_cvt_f64_f32_e32 v[127:128], v97
	v_cvt_f64_f32_e32 v[97:98], v98
	v_fma_f64 v[37:38], v[113:114], v[81:82], v[37:38]
	v_fma_f64 v[56:57], v[65:66], v[81:82], v[57:58]
	;; [unrolled: 1-line block ×8, first 2 shown]
	v_cvt_f64_f32_e32 v[81:82], v67
	v_cvt_f64_f32_e32 v[109:110], v68
	v_fma_f64 v[37:38], -v[65:66], v[83:84], v[37:38]
	v_fma_f64 v[56:57], v[113:114], v[83:84], v[56:57]
	v_fma_f64 v[14:15], -v[69:70], v[83:84], v[14:15]
	v_fma_f64 v[65:66], v[115:116], v[83:84], v[52:53]
	;; [unrolled: 2-line block ×3, first 2 shown]
	v_fma_f64 v[67:68], -v[77:78], v[83:84], v[54:55]
	global_load_b128 v[52:55], v[117:118], off offset:48
	v_fma_f64 v[60:61], v[131:132], v[83:84], v[60:61]
	v_subrev_nc_u32_e32 v74, s12, v133
	v_cvt_f64_f32_e32 v[117:118], v89
	v_cvt_f64_f32_e32 v[89:90], v90
	s_waitcnt vmcnt(8)
	v_cvt_f64_f32_e32 v[129:130], v101
	v_cvt_f64_f32_e32 v[101:102], v102
	v_lshlrev_b32_e32 v74, 2, v74
	v_fma_f64 v[37:38], v[81:82], v[85:86], v[37:38]
	v_fma_f64 v[72:73], v[109:110], v[85:86], v[56:57]
	;; [unrolled: 1-line block ×8, first 2 shown]
	s_clause 0x3
	global_load_b128 v[56:59], v[41:42], off offset:1024
	global_load_b128 v[60:63], v[41:42], off offset:1056
	;; [unrolled: 1-line block ×4, first 2 shown]
	v_fma_f64 v[37:38], -v[109:110], v[87:88], v[37:38]
	v_fma_f64 v[81:82], v[81:82], v[87:88], v[72:73]
	v_fma_f64 v[14:15], -v[119:120], v[87:88], v[14:15]
	v_cvt_f64_f32_e32 v[119:120], v99
	v_fma_f64 v[77:78], v[111:112], v[87:88], v[77:78]
	v_fma_f64 v[83:84], -v[75:76], v[87:88], v[83:84]
	v_fma_f64 v[109:110], v[121:122], v[87:88], v[113:114]
	v_fma_f64 v[79:80], -v[79:80], v[87:88], v[115:116]
	v_ashrrev_i32_e32 v75, 31, v74
	v_fma_f64 v[85:86], v[123:124], v[87:88], v[85:86]
	v_cvt_f64_f32_e32 v[113:114], v95
	v_cvt_f64_f32_e32 v[115:116], v96
	;; [unrolled: 1-line block ×3, first 2 shown]
	v_lshlrev_b64 v[72:73], 4, v[74:75]
	v_cvt_f64_f32_e32 v[121:122], v103
	v_cvt_f64_f32_e32 v[103:104], v104
	s_delay_alu instid0(VALU_DEP_3) | instskip(NEXT) | instid1(VALU_DEP_4)
	v_add_co_u32 v111, vcc_lo, s4, v72
	v_add_co_ci_u32_e32 v112, vcc_lo, s5, v73, vcc_lo
	global_load_b128 v[72:75], v[111:112], off
	s_waitcnt vmcnt(12)
	v_fma_f64 v[37:38], v[117:118], v[105:106], v[37:38]
	v_fma_f64 v[81:82], v[89:90], v[105:106], v[81:82]
	;; [unrolled: 1-line block ×7, first 2 shown]
	v_cvt_f64_f32_e32 v[109:110], v92
	v_fma_f64 v[85:86], v[101:102], v[105:106], v[85:86]
	v_cvt_f64_f32_e32 v[105:106], v91
	v_fma_f64 v[37:38], -v[89:90], v[107:108], v[37:38]
	v_fma_f64 v[80:81], v[117:118], v[107:108], v[81:82]
	v_fma_f64 v[14:15], -v[93:94], v[107:108], v[14:15]
	v_fma_f64 v[89:90], v[125:126], v[107:108], v[76:77]
	;; [unrolled: 2-line block ×3, first 2 shown]
	v_fma_f64 v[91:92], -v[101:102], v[107:108], v[78:79]
	global_load_b128 v[76:79], v[111:112], off offset:16
	v_fma_f64 v[84:85], v[129:130], v[107:108], v[85:86]
	s_waitcnt vmcnt(12)
	v_fma_f64 v[37:38], v[105:106], v[0:1], v[37:38]
	v_fma_f64 v[96:97], v[109:110], v[0:1], v[80:81]
	;; [unrolled: 1-line block ×8, first 2 shown]
	s_clause 0x3
	global_load_b128 v[80:83], v[41:42], off offset:1040
	global_load_b128 v[84:87], v[41:42], off offset:1072
	;; [unrolled: 1-line block ×4, first 2 shown]
	s_waitcnt vmcnt(15)
	v_cvt_f64_f32_e32 v[125:126], v4
	v_cvt_f64_f32_e32 v[4:5], v5
	s_waitcnt vmcnt(14)
	v_cvt_f64_f32_e32 v[127:128], v25
	v_cvt_f64_f32_e32 v[25:26], v26
	;; [unrolled: 3-line block ×4, first 2 shown]
	v_fma_f64 v[37:38], -v[109:110], v[2:3], v[37:38]
	v_fma_f64 v[96:97], v[105:106], v[2:3], v[96:97]
	v_fma_f64 v[14:15], -v[115:116], v[2:3], v[14:15]
	v_cvt_f64_f32_e32 v[109:110], v7
	v_fma_f64 v[101:102], v[113:114], v[2:3], v[101:102]
	v_fma_f64 v[98:99], -v[99:100], v[2:3], v[107:108]
	v_fma_f64 v[105:106], v[119:120], v[2:3], v[117:118]
	v_fma_f64 v[103:104], -v[103:104], v[2:3], v[123:124]
	v_cvt_f64_f32_e32 v[113:114], v27
	v_fma_f64 v[107:108], v[121:122], v[2:3], v[0:1]
	global_load_b128 v[0:3], v[111:112], off offset:32
	v_cvt_f64_f32_e32 v[115:116], v28
	v_cvt_f64_f32_e32 v[117:118], v31
	;; [unrolled: 1-line block ×5, first 2 shown]
	s_waitcnt vmcnt(12)
	v_fma_f64 v[37:38], v[125:126], v[48:49], v[37:38]
	v_fma_f64 v[96:97], v[4:5], v[48:49], v[96:97]
	;; [unrolled: 1-line block ×8, first 2 shown]
	v_cvt_f64_f32_e32 v[107:108], v6
	v_fma_f64 v[27:28], -v[4:5], v[50:51], v[37:38]
	global_load_b128 v[4:7], v[111:112], off offset:48
	v_fma_f64 v[31:32], v[125:126], v[50:51], v[96:97]
	v_fma_f64 v[14:15], -v[25:26], v[50:51], v[14:15]
	v_fma_f64 v[25:26], v[127:128], v[50:51], v[100:101]
	v_fma_f64 v[29:30], -v[29:30], v[50:51], v[98:99]
	;; [unrolled: 2-line block ×3, first 2 shown]
	v_fma_f64 v[37:38], v[131:132], v[50:51], v[48:49]
	s_waitcnt vmcnt(12)
	v_fma_f64 v[96:97], v[107:108], v[52:53], v[27:28]
	v_fma_f64 v[98:99], v[109:110], v[52:53], v[31:32]
	;; [unrolled: 1-line block ×7, first 2 shown]
	s_clause 0x3
	global_load_b128 v[25:28], v[41:42], off offset:1536
	global_load_b128 v[29:32], v[41:42], off offset:1568
	;; [unrolled: 1-line block ×4, first 2 shown]
	v_fma_f64 v[37:38], v[123:124], v[52:53], v[37:38]
	v_subrev_nc_u32_e32 v52, s12, v134
	s_delay_alu instid0(VALU_DEP_1) | instskip(NEXT) | instid1(VALU_DEP_1)
	v_lshlrev_b32_e32 v52, 2, v52
	v_ashrrev_i32_e32 v53, 31, v52
	s_waitcnt vmcnt(15)
	v_cvt_f64_f32_e32 v[125:126], v56
	v_cvt_f64_f32_e32 v[56:57], v57
	s_waitcnt vmcnt(14)
	v_cvt_f64_f32_e32 v[127:128], v60
	v_cvt_f64_f32_e32 v[60:61], v61
	;; [unrolled: 3-line block ×4, first 2 shown]
	v_lshlrev_b64 v[52:53], 4, v[52:53]
	v_cvt_f64_f32_e32 v[133:134], v71
	v_fma_f64 v[96:97], -v[109:110], v[54:55], v[96:97]
	v_fma_f64 v[98:99], v[107:108], v[54:55], v[98:99]
	v_fma_f64 v[14:15], -v[115:116], v[54:55], v[14:15]
	v_fma_f64 v[100:101], v[113:114], v[54:55], v[100:101]
	;; [unrolled: 2-line block ×3, first 2 shown]
	v_fma_f64 v[106:107], -v[123:124], v[54:55], v[111:112]
	v_add_co_u32 v108, vcc_lo, s4, v52
	v_fma_f64 v[37:38], v[121:122], v[54:55], v[37:38]
	v_add_co_ci_u32_e32 v109, vcc_lo, s5, v53, vcc_lo
	v_cvt_f64_f32_e32 v[110:111], v58
	v_cvt_f64_f32_e32 v[112:113], v59
	;; [unrolled: 1-line block ×3, first 2 shown]
	global_load_b128 v[52:55], v[108:109], off
	v_cvt_f64_f32_e32 v[116:117], v63
	v_cvt_f64_f32_e32 v[118:119], v66
	v_cvt_f64_f32_e32 v[120:121], v67
	v_cvt_f64_f32_e32 v[122:123], v70
	v_add_co_u32 v43, vcc_lo, v43, 16
	v_add_co_ci_u32_e32 v44, vcc_lo, 0, v44, vcc_lo
	s_waitcnt vmcnt(12)
	v_fma_f64 v[96:97], v[125:126], v[72:73], v[96:97]
	v_fma_f64 v[98:99], v[56:57], v[72:73], v[98:99]
	v_fma_f64 v[14:15], v[127:128], v[72:73], v[14:15]
	v_fma_f64 v[100:101], v[60:61], v[72:73], v[100:101]
	v_fma_f64 v[102:103], v[129:130], v[72:73], v[102:103]
	v_fma_f64 v[104:105], v[64:65], v[72:73], v[104:105]
	v_fma_f64 v[106:107], v[131:132], v[72:73], v[106:107]
	v_fma_f64 v[37:38], v[68:69], v[72:73], v[37:38]
	v_fma_f64 v[62:63], -v[56:57], v[74:75], v[96:97]
	global_load_b128 v[56:59], v[108:109], off offset:16
	v_fma_f64 v[66:67], v[125:126], v[74:75], v[98:99]
	v_fma_f64 v[14:15], -v[60:61], v[74:75], v[14:15]
	v_fma_f64 v[60:61], v[127:128], v[74:75], v[100:101]
	v_fma_f64 v[64:65], -v[64:65], v[74:75], v[102:103]
	v_fma_f64 v[70:71], v[129:130], v[74:75], v[104:105]
	v_fma_f64 v[68:69], -v[68:69], v[74:75], v[106:107]
	v_fma_f64 v[37:38], v[131:132], v[74:75], v[37:38]
	s_waitcnt vmcnt(12)
	v_fma_f64 v[96:97], v[110:111], v[76:77], v[62:63]
	v_fma_f64 v[98:99], v[112:113], v[76:77], v[66:67]
	;; [unrolled: 1-line block ×8, first 2 shown]
	s_clause 0x3
	global_load_b128 v[60:63], v[41:42], off offset:1552
	global_load_b128 v[64:67], v[41:42], off offset:1584
	;; [unrolled: 1-line block ×4, first 2 shown]
	v_add_co_u32 v41, vcc_lo, 0x800, v41
	v_add_co_ci_u32_e32 v42, vcc_lo, 0, v42, vcc_lo
	v_cmp_ge_i64_e32 vcc_lo, v[43:44], v[10:11]
	s_waitcnt vmcnt(15)
	v_cvt_f64_f32_e32 v[124:125], v80
	v_cvt_f64_f32_e32 v[80:81], v81
	s_waitcnt vmcnt(14)
	v_cvt_f64_f32_e32 v[126:127], v84
	v_cvt_f64_f32_e32 v[84:85], v85
	;; [unrolled: 3-line block ×4, first 2 shown]
	s_or_b32 s10, vcc_lo, s10
	v_fma_f64 v[96:97], -v[112:113], v[78:79], v[96:97]
	v_cvt_f64_f32_e32 v[112:113], v90
	v_fma_f64 v[98:99], v[110:111], v[78:79], v[98:99]
	v_fma_f64 v[14:15], -v[116:117], v[78:79], v[14:15]
	v_fma_f64 v[100:101], v[114:115], v[78:79], v[100:101]
	v_fma_f64 v[102:103], -v[120:121], v[78:79], v[102:103]
	;; [unrolled: 2-line block ×3, first 2 shown]
	v_fma_f64 v[37:38], v[122:123], v[78:79], v[37:38]
	global_load_b128 v[76:79], v[108:109], off offset:32
	v_cvt_f64_f32_e32 v[110:111], v86
	v_cvt_f64_f32_e32 v[86:87], v87
	;; [unrolled: 1-line block ×5, first 2 shown]
	s_waitcnt vmcnt(12)
	v_fma_f64 v[96:97], v[124:125], v[0:1], v[96:97]
	v_fma_f64 v[98:99], v[80:81], v[0:1], v[98:99]
	;; [unrolled: 1-line block ×8, first 2 shown]
	v_cvt_f64_f32_e32 v[37:38], v82
	v_cvt_f64_f32_e32 v[82:83], v83
	v_fma_f64 v[80:81], -v[80:81], v[2:3], v[96:97]
	v_fma_f64 v[96:97], v[124:125], v[2:3], v[98:99]
	v_fma_f64 v[14:15], -v[84:85], v[2:3], v[14:15]
	v_fma_f64 v[84:85], v[126:127], v[2:3], v[100:101]
	;; [unrolled: 2-line block ×4, first 2 shown]
	global_load_b128 v[0:3], v[108:109], off offset:48
	s_waitcnt vmcnt(12)
	v_fma_f64 v[80:81], v[37:38], v[4:5], v[80:81]
	v_fma_f64 v[96:97], v[82:83], v[4:5], v[96:97]
	;; [unrolled: 1-line block ×8, first 2 shown]
	s_waitcnt vmcnt(11)
	v_cvt_f64_f32_e32 v[100:101], v25
	v_cvt_f64_f32_e32 v[25:26], v26
	s_waitcnt vmcnt(10)
	v_cvt_f64_f32_e32 v[102:103], v29
	v_cvt_f64_f32_e32 v[29:30], v30
	;; [unrolled: 3-line block ×4, first 2 shown]
	v_fma_f64 v[80:81], -v[82:83], v[6:7], v[80:81]
	v_fma_f64 v[37:38], v[37:38], v[6:7], v[96:97]
	v_fma_f64 v[14:15], -v[86:87], v[6:7], v[14:15]
	v_fma_f64 v[82:83], v[110:111], v[6:7], v[84:85]
	;; [unrolled: 2-line block ×4, first 2 shown]
	v_cvt_f64_f32_e32 v[90:91], v35
	v_cvt_f64_f32_e32 v[35:36], v36
	;; [unrolled: 1-line block ×4, first 2 shown]
	s_waitcnt vmcnt(7)
	v_fma_f64 v[6:7], v[100:101], v[52:53], v[80:81]
	v_fma_f64 v[37:38], v[25:26], v[52:53], v[37:38]
	;; [unrolled: 1-line block ×8, first 2 shown]
	v_cvt_f64_f32_e32 v[52:53], v27
	v_cvt_f64_f32_e32 v[27:28], v28
	;; [unrolled: 1-line block ×4, first 2 shown]
	v_fma_f64 v[6:7], -v[25:26], v[54:55], v[6:7]
	v_fma_f64 v[25:26], v[100:101], v[54:55], v[37:38]
	v_fma_f64 v[14:15], -v[29:30], v[54:55], v[14:15]
	v_fma_f64 v[29:30], v[102:103], v[54:55], v[80:81]
	;; [unrolled: 2-line block ×4, first 2 shown]
	s_waitcnt vmcnt(6)
	v_fma_f64 v[6:7], v[52:53], v[56:57], v[6:7]
	v_fma_f64 v[25:26], v[27:28], v[56:57], v[25:26]
	;; [unrolled: 1-line block ×8, first 2 shown]
	s_waitcnt vmcnt(5)
	v_cvt_f64_f32_e32 v[54:55], v60
	v_cvt_f64_f32_e32 v[56:57], v61
	s_waitcnt vmcnt(4)
	v_cvt_f64_f32_e32 v[60:61], v64
	v_cvt_f64_f32_e32 v[64:65], v65
	;; [unrolled: 3-line block ×4, first 2 shown]
	v_fma_f64 v[6:7], -v[27:28], v[58:59], v[6:7]
	v_fma_f64 v[25:26], v[52:53], v[58:59], v[25:26]
	v_fma_f64 v[14:15], -v[31:32], v[58:59], v[14:15]
	v_fma_f64 v[27:28], v[88:89], v[58:59], v[29:30]
	;; [unrolled: 2-line block ×4, first 2 shown]
	v_cvt_f64_f32_e32 v[35:36], v62
	v_cvt_f64_f32_e32 v[37:38], v63
	;; [unrolled: 1-line block ×8, first 2 shown]
	s_waitcnt vmcnt(1)
	v_fma_f64 v[6:7], v[54:55], v[76:77], v[6:7]
	v_fma_f64 v[25:26], v[56:57], v[76:77], v[25:26]
	;; [unrolled: 1-line block ×8, first 2 shown]
	v_fma_f64 v[6:7], -v[56:57], v[78:79], v[6:7]
	v_fma_f64 v[25:26], v[54:55], v[78:79], v[25:26]
	v_fma_f64 v[14:15], -v[64:65], v[78:79], v[14:15]
	v_fma_f64 v[27:28], v[60:61], v[78:79], v[27:28]
	;; [unrolled: 2-line block ×4, first 2 shown]
	s_waitcnt vmcnt(0)
	v_fma_f64 v[6:7], v[35:36], v[0:1], v[6:7]
	v_fma_f64 v[25:26], v[37:38], v[0:1], v[25:26]
	;; [unrolled: 1-line block ×8, first 2 shown]
	v_fma_f64 v[29:30], -v[37:38], v[2:3], v[6:7]
	v_fma_f64 v[14:15], v[35:36], v[2:3], v[25:26]
	v_fma_f64 v[35:36], -v[50:51], v[2:3], v[54:55]
	v_fma_f64 v[27:28], v[48:49], v[2:3], v[27:28]
	;; [unrolled: 2-line block ×4, first 2 shown]
	s_and_not1_b32 exec_lo, exec_lo, s10
	s_cbranch_execnz .LBB170_23
; %bb.24:
	s_or_b32 exec_lo, exec_lo, s10
.LBB170_25:
	s_delay_alu instid0(SALU_CYCLE_1)
	s_or_b32 exec_lo, exec_lo, s7
.LBB170_26:
	s_delay_alu instid0(SALU_CYCLE_1)
	s_or_b32 exec_lo, exec_lo, s6
	s_cbranch_execz .LBB170_28
	s_branch .LBB170_39
.LBB170_27:
                                        ; implicit-def: $vgpr14_vgpr15
                                        ; implicit-def: $vgpr29_vgpr30
                                        ; implicit-def: $vgpr27_vgpr28
                                        ; implicit-def: $vgpr35_vgpr36
                                        ; implicit-def: $vgpr33_vgpr34
                                        ; implicit-def: $vgpr37_vgpr38
                                        ; implicit-def: $vgpr31_vgpr32
                                        ; implicit-def: $vgpr25_vgpr26
.LBB170_28:
	v_mov_b32_e32 v14, 0
	v_mov_b32_e32 v15, 0
	s_delay_alu instid0(VALU_DEP_1)
	v_dual_mov_b32 v30, v15 :: v_dual_mov_b32 v29, v14
	v_dual_mov_b32 v28, v15 :: v_dual_mov_b32 v27, v14
	v_dual_mov_b32 v36, v15 :: v_dual_mov_b32 v35, v14
	v_dual_mov_b32 v34, v15 :: v_dual_mov_b32 v33, v14
	v_dual_mov_b32 v38, v15 :: v_dual_mov_b32 v37, v14
	v_dual_mov_b32 v32, v15 :: v_dual_mov_b32 v31, v14
	v_dual_mov_b32 v26, v15 :: v_dual_mov_b32 v25, v14
	s_and_saveexec_b32 s1, s0
	s_cbranch_execz .LBB170_38
; %bb.29:
	v_or_b32_e32 v0, 4, v47
	v_not_b32_e32 v3, v39
	v_not_b32_e32 v2, v40
	s_mov_b32 s7, 0
	s_mov_b32 s6, exec_lo
	v_sub_co_u32 v0, s0, v0, s12
	s_delay_alu instid0(VALU_DEP_1) | instskip(SKIP_1) | instid1(VALU_DEP_3)
	v_sub_co_ci_u32_e64 v1, null, 0, 0, s0
	v_sub_co_u32 v4, s0, s12, v47
	v_add_co_u32 v0, vcc_lo, v0, v39
	s_delay_alu instid0(VALU_DEP_3) | instskip(SKIP_1) | instid1(VALU_DEP_2)
	v_add_co_ci_u32_e32 v1, vcc_lo, v1, v40, vcc_lo
	v_sub_co_ci_u32_e64 v5, null, 0, 0, s0
	v_cmp_gt_i64_e32 vcc_lo, v[0:1], v[10:11]
	v_dual_cndmask_b32 v1, v11, v1 :: v_dual_cndmask_b32 v0, v10, v0
	v_add_co_u32 v3, vcc_lo, v4, v3
	s_delay_alu instid0(VALU_DEP_4) | instskip(NEXT) | instid1(VALU_DEP_2)
	v_add_co_ci_u32_e32 v2, vcc_lo, v5, v2, vcc_lo
	v_add_co_u32 v0, vcc_lo, v3, v0
	s_delay_alu instid0(VALU_DEP_2) | instskip(NEXT) | instid1(VALU_DEP_2)
	v_add_co_ci_u32_e32 v1, vcc_lo, v2, v1, vcc_lo
	v_lshrrev_b32_e32 v2, 2, v0
	v_mov_b32_e32 v25, 0
	v_mov_b32_e32 v26, 0
	s_delay_alu instid0(VALU_DEP_2) | instskip(NEXT) | instid1(VALU_DEP_2)
	v_mov_b32_e32 v14, v25
	v_dual_mov_b32 v15, v26 :: v_dual_add_nc_u32 v2, 1, v2
	v_mov_b32_e32 v34, v26
	v_mov_b32_e32 v36, v26
	;; [unrolled: 1-line block ×3, first 2 shown]
	v_dual_mov_b32 v30, v26 :: v_dual_mov_b32 v29, v25
	v_dual_mov_b32 v32, v26 :: v_dual_mov_b32 v31, v25
	;; [unrolled: 1-line block ×3, first 2 shown]
	v_dual_mov_b32 v33, v25 :: v_dual_and_b32 v2, 3, v2
	v_mov_b32_e32 v35, v25
	v_mov_b32_e32 v27, v25
	s_delay_alu instid0(VALU_DEP_3)
	v_cmpx_ne_u32_e32 0, v2
	s_cbranch_execz .LBB170_33
; %bb.30:
	v_lshlrev_b64 v[4:5], 2, v[8:9]
	v_dual_mov_b32 v3, 0 :: v_dual_mov_b32 v14, 0
	v_dual_mov_b32 v15, 0 :: v_dual_lshlrev_b32 v2, 2, v2
	s_delay_alu instid0(VALU_DEP_3) | instskip(NEXT) | instid1(VALU_DEP_4)
	v_add_co_u32 v4, vcc_lo, s8, v4
	v_add_co_ci_u32_e32 v5, vcc_lo, s9, v5, vcc_lo
	s_delay_alu instid0(VALU_DEP_3)
	v_dual_mov_b32 v30, v15 :: v_dual_mov_b32 v29, v14
	v_dual_mov_b32 v28, v15 :: v_dual_mov_b32 v27, v14
	;; [unrolled: 1-line block ×7, first 2 shown]
.LBB170_31:                             ; =>This Inner Loop Header: Depth=1
	global_load_b32 v6, v[4:5], off
	s_clause 0x1
	global_load_b128 v[39:42], v[12:13], off
	global_load_b128 v[43:46], v[12:13], off offset:16
	v_add_co_u32 v4, s0, v4, 16
	s_delay_alu instid0(VALU_DEP_1)
	v_add_co_ci_u32_e64 v5, s0, 0, v5, s0
	s_waitcnt vmcnt(2)
	v_subrev_nc_u32_e32 v6, s12, v6
	s_waitcnt vmcnt(1)
	v_cvt_f64_f32_e32 v[88:89], v41
	v_cvt_f64_f32_e32 v[41:42], v42
	s_waitcnt vmcnt(0)
	v_cvt_f64_f32_e32 v[90:91], v43
	v_cvt_f64_f32_e32 v[43:44], v44
	v_lshlrev_b32_e32 v6, 2, v6
	v_cvt_f64_f32_e32 v[92:93], v45
	v_cvt_f64_f32_e32 v[45:46], v46
	s_delay_alu instid0(VALU_DEP_3) | instskip(NEXT) | instid1(VALU_DEP_1)
	v_ashrrev_i32_e32 v7, 31, v6
	v_lshlrev_b64 v[6:7], 4, v[6:7]
	s_waitcnt lgkmcnt(0)
	s_delay_alu instid0(VALU_DEP_1) | instskip(NEXT) | instid1(VALU_DEP_2)
	v_add_co_u32 v6, vcc_lo, s4, v6
	v_add_co_ci_u32_e32 v7, vcc_lo, s5, v7, vcc_lo
	s_clause 0x1
	global_load_b128 v[48:51], v[6:7], off
	global_load_b128 v[52:55], v[6:7], off offset:16
	s_clause 0x3
	global_load_b128 v[56:59], v[12:13], off offset:32
	global_load_b128 v[60:63], v[12:13], off offset:48
	;; [unrolled: 1-line block ×4, first 2 shown]
	s_clause 0x1
	global_load_b128 v[72:75], v[6:7], off offset:32
	global_load_b128 v[76:79], v[6:7], off offset:48
	s_clause 0x1
	global_load_b128 v[80:83], v[12:13], off offset:96
	global_load_b128 v[84:87], v[12:13], off offset:112
	v_cvt_f64_f32_e32 v[6:7], v39
	v_cvt_f64_f32_e32 v[39:40], v40
	v_add_co_u32 v12, vcc_lo, 0x200, v12
	v_add_co_ci_u32_e32 v13, vcc_lo, 0, v13, vcc_lo
	v_add_co_u32 v2, vcc_lo, v2, -4
	v_add_co_ci_u32_e32 v3, vcc_lo, -1, v3, vcc_lo
	v_add_co_u32 v8, vcc_lo, v8, 4
	v_add_co_ci_u32_e32 v9, vcc_lo, 0, v9, vcc_lo
	s_delay_alu instid0(VALU_DEP_3)
	v_cmp_eq_u64_e32 vcc_lo, 0, v[2:3]
	s_or_b32 s7, vcc_lo, s7
	s_waitcnt vmcnt(9)
	v_fma_f64 v[29:30], v[6:7], v[48:49], v[29:30]
	v_fma_f64 v[14:15], v[39:40], v[48:49], v[14:15]
	;; [unrolled: 1-line block ×8, first 2 shown]
	s_waitcnt vmcnt(7)
	v_cvt_f64_f32_e32 v[48:49], v56
	v_cvt_f64_f32_e32 v[56:57], v57
	;; [unrolled: 1-line block ×4, first 2 shown]
	s_waitcnt vmcnt(6)
	v_cvt_f64_f32_e32 v[96:97], v60
	v_cvt_f64_f32_e32 v[60:61], v61
	;; [unrolled: 1-line block ×4, first 2 shown]
	v_fma_f64 v[29:30], -v[39:40], v[50:51], v[29:30]
	v_fma_f64 v[6:7], v[6:7], v[50:51], v[14:15]
	v_fma_f64 v[14:15], -v[41:42], v[50:51], v[35:36]
	v_fma_f64 v[27:28], v[88:89], v[50:51], v[27:28]
	;; [unrolled: 2-line block ×4, first 2 shown]
	s_waitcnt vmcnt(5)
	v_cvt_f64_f32_e32 v[37:38], v64
	v_cvt_f64_f32_e32 v[39:40], v65
	;; [unrolled: 1-line block ×4, first 2 shown]
	s_waitcnt vmcnt(4)
	v_cvt_f64_f32_e32 v[45:46], v68
	v_cvt_f64_f32_e32 v[50:51], v69
	;; [unrolled: 1-line block ×3, first 2 shown]
	s_waitcnt vmcnt(0)
	v_cvt_f64_f32_e32 v[66:67], v86
	v_cvt_f64_f32_e32 v[68:69], v87
	v_fma_f64 v[29:30], v[48:49], v[52:53], v[29:30]
	v_fma_f64 v[6:7], v[56:57], v[52:53], v[6:7]
	;; [unrolled: 1-line block ×8, first 2 shown]
	v_cvt_f64_f32_e32 v[52:53], v70
	v_fma_f64 v[29:30], -v[56:57], v[54:55], v[29:30]
	v_fma_f64 v[6:7], v[48:49], v[54:55], v[6:7]
	v_fma_f64 v[14:15], -v[58:59], v[54:55], v[14:15]
	v_fma_f64 v[27:28], v[94:95], v[54:55], v[27:28]
	;; [unrolled: 2-line block ×4, first 2 shown]
	v_cvt_f64_f32_e32 v[48:49], v80
	v_cvt_f64_f32_e32 v[54:55], v81
	;; [unrolled: 1-line block ×6, first 2 shown]
	v_fma_f64 v[29:30], v[37:38], v[72:73], v[29:30]
	v_fma_f64 v[6:7], v[39:40], v[72:73], v[6:7]
	;; [unrolled: 1-line block ×8, first 2 shown]
	v_fma_f64 v[29:30], -v[39:40], v[74:75], v[29:30]
	v_fma_f64 v[6:7], v[37:38], v[74:75], v[6:7]
	v_fma_f64 v[14:15], -v[43:44], v[74:75], v[14:15]
	v_fma_f64 v[27:28], v[41:42], v[74:75], v[27:28]
	;; [unrolled: 2-line block ×4, first 2 shown]
	v_fma_f64 v[29:30], v[48:49], v[76:77], v[29:30]
	v_fma_f64 v[6:7], v[54:55], v[76:77], v[6:7]
	;; [unrolled: 1-line block ×8, first 2 shown]
	v_fma_f64 v[29:30], -v[54:55], v[78:79], v[29:30]
	v_fma_f64 v[14:15], v[48:49], v[78:79], v[6:7]
	v_fma_f64 v[35:36], -v[58:59], v[78:79], v[37:38]
	v_fma_f64 v[27:28], v[56:57], v[78:79], v[27:28]
	;; [unrolled: 2-line block ×4, first 2 shown]
	s_and_not1_b32 exec_lo, exec_lo, s7
	s_cbranch_execnz .LBB170_31
; %bb.32:
	s_or_b32 exec_lo, exec_lo, s7
.LBB170_33:
	s_delay_alu instid0(SALU_CYCLE_1) | instskip(NEXT) | instid1(SALU_CYCLE_1)
	s_or_b32 exec_lo, exec_lo, s6
	s_mov_b32 s6, exec_lo
	v_cmpx_lt_u64_e32 11, v[0:1]
	s_cbranch_execz .LBB170_37
; %bb.34:
	v_lshlrev_b64 v[0:1], 2, v[8:9]
	s_mov_b32 s7, 0
	s_delay_alu instid0(VALU_DEP_1) | instskip(NEXT) | instid1(VALU_DEP_2)
	v_add_co_u32 v0, vcc_lo, v0, s8
	v_add_co_ci_u32_e32 v1, vcc_lo, s9, v1, vcc_lo
	s_delay_alu instid0(VALU_DEP_2) | instskip(NEXT) | instid1(VALU_DEP_2)
	v_add_co_u32 v0, vcc_lo, v0, 32
	v_add_co_ci_u32_e32 v1, vcc_lo, 0, v1, vcc_lo
.LBB170_35:                             ; =>This Inner Loop Header: Depth=1
	global_load_b32 v6, v[0:1], off offset:-32
	global_load_b128 v[2:5], v[12:13], off
	global_load_b32 v98, v[0:1], off offset:-16
	global_load_b128 v[39:42], v[12:13], off offset:16
	s_clause 0x1
	global_load_b32 v118, v[0:1], off
	global_load_b32 v126, v[0:1], off offset:16
	v_add_co_u32 v0, s0, v0, 64
	s_delay_alu instid0(VALU_DEP_1)
	v_add_co_ci_u32_e64 v1, s0, 0, v1, s0
	s_waitcnt vmcnt(5)
	v_subrev_nc_u32_e32 v6, s12, v6
	s_waitcnt vmcnt(4)
	v_cvt_f64_f32_e32 v[92:93], v3
	v_cvt_f64_f32_e32 v[94:95], v4
	;; [unrolled: 1-line block ×3, first 2 shown]
	s_waitcnt vmcnt(2)
	v_cvt_f64_f32_e32 v[100:101], v41
	v_lshlrev_b32_e32 v6, 2, v6
	v_cvt_f64_f32_e32 v[41:42], v42
	s_delay_alu instid0(VALU_DEP_2) | instskip(NEXT) | instid1(VALU_DEP_1)
	v_ashrrev_i32_e32 v7, 31, v6
	v_lshlrev_b64 v[6:7], 4, v[6:7]
	s_waitcnt lgkmcnt(0)
	s_delay_alu instid0(VALU_DEP_1) | instskip(NEXT) | instid1(VALU_DEP_2)
	v_add_co_u32 v6, vcc_lo, s4, v6
	v_add_co_ci_u32_e32 v7, vcc_lo, s5, v7, vcc_lo
	s_clause 0x1
	global_load_b128 v[43:46], v[6:7], off
	global_load_b128 v[48:51], v[6:7], off offset:16
	s_clause 0x3
	global_load_b128 v[52:55], v[12:13], off offset:32
	global_load_b128 v[56:59], v[12:13], off offset:48
	;; [unrolled: 1-line block ×5, first 2 shown]
	s_clause 0x1
	global_load_b128 v[72:75], v[12:13], off offset:96
	global_load_b128 v[76:79], v[12:13], off offset:112
	;; [unrolled: 1-line block ×3, first 2 shown]
	s_clause 0x1
	global_load_b128 v[84:87], v[12:13], off offset:512
	global_load_b128 v[88:91], v[12:13], off offset:528
	v_cvt_f64_f32_e32 v[6:7], v2
	v_subrev_nc_u32_e32 v2, s12, v98
	v_cvt_f64_f32_e32 v[98:99], v39
	v_cvt_f64_f32_e32 v[39:40], v40
	s_delay_alu instid0(VALU_DEP_3) | instskip(NEXT) | instid1(VALU_DEP_1)
	v_lshlrev_b32_e32 v2, 2, v2
	v_ashrrev_i32_e32 v3, 31, v2
	s_delay_alu instid0(VALU_DEP_1) | instskip(NEXT) | instid1(VALU_DEP_1)
	v_lshlrev_b64 v[2:3], 4, v[2:3]
	v_add_co_u32 v102, vcc_lo, s4, v2
	s_delay_alu instid0(VALU_DEP_2)
	v_add_co_ci_u32_e32 v103, vcc_lo, s5, v3, vcc_lo
	global_load_b128 v[2:5], v[102:103], off
	s_waitcnt vmcnt(12)
	v_fma_f64 v[104:105], v[6:7], v[43:44], v[29:30]
	v_fma_f64 v[14:15], v[92:93], v[43:44], v[14:15]
	;; [unrolled: 1-line block ×8, first 2 shown]
	s_clause 0x1
	global_load_b128 v[25:28], v[12:13], off offset:544
	global_load_b128 v[29:32], v[12:13], off offset:560
	s_waitcnt vmcnt(12)
	v_cvt_f64_f32_e32 v[110:111], v52
	v_cvt_f64_f32_e32 v[52:53], v53
	;; [unrolled: 1-line block ×4, first 2 shown]
	s_waitcnt vmcnt(11)
	v_cvt_f64_f32_e32 v[114:115], v56
	v_cvt_f64_f32_e32 v[56:57], v57
	;; [unrolled: 1-line block ×4, first 2 shown]
	v_fma_f64 v[92:93], -v[92:93], v[45:46], v[104:105]
	v_fma_f64 v[6:7], v[6:7], v[45:46], v[14:15]
	v_fma_f64 v[14:15], -v[96:97], v[45:46], v[35:36]
	v_fma_f64 v[94:95], v[94:95], v[45:46], v[106:107]
	;; [unrolled: 2-line block ×4, first 2 shown]
	global_load_b128 v[33:36], v[102:103], off offset:16
	s_waitcnt vmcnt(11)
	v_cvt_f64_f32_e32 v[100:101], v60
	v_cvt_f64_f32_e32 v[60:61], v61
	;; [unrolled: 1-line block ×4, first 2 shown]
	s_waitcnt vmcnt(10)
	v_cvt_f64_f32_e32 v[106:107], v64
	v_cvt_f64_f32_e32 v[64:65], v65
	;; [unrolled: 1-line block ×4, first 2 shown]
	v_fma_f64 v[45:46], v[110:111], v[48:49], v[92:93]
	v_fma_f64 v[6:7], v[52:53], v[48:49], v[6:7]
	;; [unrolled: 1-line block ×8, first 2 shown]
	s_clause 0x1
	global_load_b128 v[37:40], v[12:13], off offset:576
	global_load_b128 v[41:44], v[12:13], off offset:592
	v_fma_f64 v[45:46], -v[52:53], v[50:51], v[45:46]
	v_fma_f64 v[6:7], v[110:111], v[50:51], v[6:7]
	v_fma_f64 v[14:15], -v[54:55], v[50:51], v[14:15]
	v_fma_f64 v[52:53], v[112:113], v[50:51], v[92:93]
	v_fma_f64 v[54:55], -v[56:57], v[50:51], v[94:95]
	v_fma_f64 v[56:57], v[114:115], v[50:51], v[96:97]
	v_fma_f64 v[58:59], -v[58:59], v[50:51], v[98:99]
	v_fma_f64 v[92:93], v[116:117], v[50:51], v[48:49]
	global_load_b128 v[48:51], v[102:103], off offset:32
	s_waitcnt vmcnt(11)
	v_cvt_f64_f32_e32 v[112:113], v74
	v_cvt_f64_f32_e32 v[74:75], v75
	s_waitcnt vmcnt(10)
	v_cvt_f64_f32_e32 v[114:115], v76
	v_cvt_f64_f32_e32 v[76:77], v77
	;; [unrolled: 1-line block ×4, first 2 shown]
	v_fma_f64 v[45:46], v[100:101], v[68:69], v[45:46]
	v_fma_f64 v[6:7], v[60:61], v[68:69], v[6:7]
	;; [unrolled: 1-line block ×8, first 2 shown]
	s_clause 0x1
	global_load_b128 v[52:55], v[12:13], off offset:608
	global_load_b128 v[56:59], v[12:13], off offset:624
	v_cvt_f64_f32_e32 v[92:93], v72
	v_cvt_f64_f32_e32 v[72:73], v73
	v_fma_f64 v[45:46], -v[60:61], v[70:71], v[45:46]
	v_fma_f64 v[6:7], v[100:101], v[70:71], v[6:7]
	v_fma_f64 v[14:15], -v[62:63], v[70:71], v[14:15]
	v_fma_f64 v[94:95], v[104:105], v[70:71], v[94:95]
	;; [unrolled: 2-line block ×4, first 2 shown]
	global_load_b128 v[60:63], v[102:103], off offset:48
	v_subrev_nc_u32_e32 v110, s12, v118
	s_waitcnt vmcnt(11)
	v_cvt_f64_f32_e32 v[102:103], v84
	v_cvt_f64_f32_e32 v[84:85], v85
	;; [unrolled: 1-line block ×4, first 2 shown]
	v_lshlrev_b32_e32 v110, 2, v110
	s_waitcnt vmcnt(10)
	v_cvt_f64_f32_e32 v[106:107], v88
	v_cvt_f64_f32_e32 v[88:89], v89
	;; [unrolled: 1-line block ×4, first 2 shown]
	v_ashrrev_i32_e32 v111, 31, v110
	v_fma_f64 v[45:46], v[92:93], v[80:81], v[45:46]
	v_fma_f64 v[6:7], v[72:73], v[80:81], v[6:7]
	v_fma_f64 v[14:15], v[112:113], v[80:81], v[14:15]
	v_fma_f64 v[94:95], v[74:75], v[80:81], v[94:95]
	v_fma_f64 v[98:99], v[114:115], v[80:81], v[64:65]
	v_fma_f64 v[96:97], v[76:77], v[80:81], v[96:97]
	v_fma_f64 v[100:101], v[116:117], v[80:81], v[66:67]
	v_fma_f64 v[80:81], v[78:79], v[80:81], v[68:69]
	s_clause 0x1
	global_load_b128 v[64:67], v[12:13], off offset:1024
	global_load_b128 v[68:71], v[12:13], off offset:1040
	v_fma_f64 v[45:46], -v[72:73], v[82:83], v[45:46]
	v_fma_f64 v[6:7], v[92:93], v[82:83], v[6:7]
	v_fma_f64 v[14:15], -v[74:75], v[82:83], v[14:15]
	v_fma_f64 v[92:93], v[112:113], v[82:83], v[94:95]
	;; [unrolled: 2-line block ×4, first 2 shown]
	v_lshlrev_b64 v[72:73], 4, v[110:111]
	s_delay_alu instid0(VALU_DEP_1) | instskip(NEXT) | instid1(VALU_DEP_2)
	v_add_co_u32 v96, vcc_lo, s4, v72
	v_add_co_ci_u32_e32 v97, vcc_lo, s5, v73, vcc_lo
	global_load_b128 v[72:75], v[96:97], off
	s_waitcnt vmcnt(12)
	v_fma_f64 v[45:46], v[102:103], v[2:3], v[45:46]
	v_fma_f64 v[6:7], v[84:85], v[2:3], v[6:7]
	v_fma_f64 v[14:15], v[104:105], v[2:3], v[14:15]
	v_fma_f64 v[92:93], v[86:87], v[2:3], v[92:93]
	v_fma_f64 v[98:99], v[106:107], v[2:3], v[76:77]
	v_fma_f64 v[94:95], v[88:89], v[2:3], v[94:95]
	v_fma_f64 v[100:101], v[108:109], v[2:3], v[78:79]
	v_fma_f64 v[2:3], v[90:91], v[2:3], v[80:81]
	s_clause 0x1
	global_load_b128 v[76:79], v[12:13], off offset:1056
	global_load_b128 v[80:83], v[12:13], off offset:1072
	s_waitcnt vmcnt(13)
	v_cvt_f64_f32_e32 v[110:111], v25
	v_cvt_f64_f32_e32 v[112:113], v26
	v_cvt_f64_f32_e32 v[114:115], v27
	v_cvt_f64_f32_e32 v[116:117], v28
	s_waitcnt vmcnt(12)
	v_cvt_f64_f32_e32 v[118:119], v29
	v_cvt_f64_f32_e32 v[120:121], v30
	v_cvt_f64_f32_e32 v[122:123], v31
	v_cvt_f64_f32_e32 v[124:125], v32
	v_fma_f64 v[25:26], -v[84:85], v[4:5], v[45:46]
	v_fma_f64 v[6:7], v[102:103], v[4:5], v[6:7]
	v_fma_f64 v[14:15], -v[86:87], v[4:5], v[14:15]
	v_fma_f64 v[27:28], v[104:105], v[4:5], v[92:93]
	v_fma_f64 v[29:30], -v[88:89], v[4:5], v[98:99]
	v_fma_f64 v[31:32], v[106:107], v[4:5], v[94:95]
	v_fma_f64 v[45:46], -v[90:91], v[4:5], v[100:101]
	v_fma_f64 v[84:85], v[108:109], v[4:5], v[2:3]
	global_load_b128 v[2:5], v[96:97], off offset:16
	s_waitcnt vmcnt(12)
	v_fma_f64 v[86:87], v[110:111], v[33:34], v[25:26]
	v_fma_f64 v[6:7], v[112:113], v[33:34], v[6:7]
	v_fma_f64 v[14:15], v[114:115], v[33:34], v[14:15]
	v_fma_f64 v[88:89], v[116:117], v[33:34], v[27:28]
	v_fma_f64 v[90:91], v[118:119], v[33:34], v[29:30]
	v_fma_f64 v[92:93], v[120:121], v[33:34], v[31:32]
	v_fma_f64 v[45:46], v[122:123], v[33:34], v[45:46]
	v_fma_f64 v[33:34], v[124:125], v[33:34], v[84:85]
	s_clause 0x1
	global_load_b128 v[25:28], v[12:13], off offset:1088
	global_load_b128 v[29:32], v[12:13], off offset:1104
	s_waitcnt vmcnt(13)
	v_cvt_f64_f32_e32 v[84:85], v37
	v_cvt_f64_f32_e32 v[94:95], v38
	v_cvt_f64_f32_e32 v[98:99], v39
	v_cvt_f64_f32_e32 v[100:101], v40
	s_waitcnt vmcnt(12)
	v_cvt_f64_f32_e32 v[102:103], v41
	v_cvt_f64_f32_e32 v[104:105], v42
	v_cvt_f64_f32_e32 v[106:107], v43
	v_cvt_f64_f32_e32 v[108:109], v44
	v_fma_f64 v[37:38], -v[112:113], v[35:36], v[86:87]
	v_fma_f64 v[6:7], v[110:111], v[35:36], v[6:7]
	v_fma_f64 v[14:15], -v[116:117], v[35:36], v[14:15]
	v_fma_f64 v[39:40], v[114:115], v[35:36], v[88:89]
	v_fma_f64 v[41:42], -v[120:121], v[35:36], v[90:91]
	v_fma_f64 v[43:44], v[118:119], v[35:36], v[92:93]
	v_fma_f64 v[45:46], -v[124:125], v[35:36], v[45:46]
	v_fma_f64 v[86:87], v[122:123], v[35:36], v[33:34]
	global_load_b128 v[33:36], v[96:97], off offset:32
	s_waitcnt vmcnt(12)
	v_fma_f64 v[88:89], v[84:85], v[48:49], v[37:38]
	v_fma_f64 v[6:7], v[94:95], v[48:49], v[6:7]
	v_fma_f64 v[14:15], v[98:99], v[48:49], v[14:15]
	v_fma_f64 v[90:91], v[100:101], v[48:49], v[39:40]
	v_fma_f64 v[92:93], v[102:103], v[48:49], v[41:42]
	v_fma_f64 v[110:111], v[104:105], v[48:49], v[43:44]
	v_fma_f64 v[45:46], v[106:107], v[48:49], v[45:46]
	v_fma_f64 v[48:49], v[108:109], v[48:49], v[86:87]
	s_clause 0x1
	global_load_b128 v[37:40], v[12:13], off offset:1120
	global_load_b128 v[41:44], v[12:13], off offset:1136
	s_waitcnt vmcnt(13)
	v_cvt_f64_f32_e32 v[86:87], v52
	v_cvt_f64_f32_e32 v[112:113], v53
	v_cvt_f64_f32_e32 v[114:115], v54
	v_cvt_f64_f32_e32 v[116:117], v55
	s_waitcnt vmcnt(12)
	v_cvt_f64_f32_e32 v[118:119], v56
	v_cvt_f64_f32_e32 v[120:121], v57
	v_cvt_f64_f32_e32 v[122:123], v58
	v_cvt_f64_f32_e32 v[124:125], v59
	v_fma_f64 v[52:53], -v[94:95], v[50:51], v[88:89]
	v_fma_f64 v[6:7], v[84:85], v[50:51], v[6:7]
	v_fma_f64 v[14:15], -v[100:101], v[50:51], v[14:15]
	v_fma_f64 v[54:55], v[98:99], v[50:51], v[90:91]
	v_fma_f64 v[56:57], -v[104:105], v[50:51], v[92:93]
	v_fma_f64 v[58:59], v[102:103], v[50:51], v[110:111]
	v_fma_f64 v[45:46], -v[108:109], v[50:51], v[45:46]
	v_fma_f64 v[84:85], v[106:107], v[50:51], v[48:49]
	global_load_b128 v[48:51], v[96:97], off offset:48
	s_waitcnt vmcnt(12)
	v_fma_f64 v[88:89], v[86:87], v[60:61], v[52:53]
	v_fma_f64 v[6:7], v[112:113], v[60:61], v[6:7]
	;; [unrolled: 1-line block ×8, first 2 shown]
	s_clause 0x1
	global_load_b128 v[52:55], v[12:13], off offset:1536
	global_load_b128 v[56:59], v[12:13], off offset:1552
	s_waitcnt vmcnt(13)
	v_cvt_f64_f32_e32 v[84:85], v64
	v_subrev_nc_u32_e32 v64, s12, v126
	v_cvt_f64_f32_e32 v[96:97], v65
	v_cvt_f64_f32_e32 v[98:99], v66
	;; [unrolled: 1-line block ×3, first 2 shown]
	s_waitcnt vmcnt(12)
	v_cvt_f64_f32_e32 v[102:103], v68
	v_lshlrev_b32_e32 v64, 2, v64
	v_cvt_f64_f32_e32 v[104:105], v69
	v_cvt_f64_f32_e32 v[106:107], v70
	;; [unrolled: 1-line block ×3, first 2 shown]
	s_delay_alu instid0(VALU_DEP_4)
	v_ashrrev_i32_e32 v65, 31, v64
	v_fma_f64 v[66:67], -v[112:113], v[62:63], v[88:89]
	v_fma_f64 v[6:7], v[86:87], v[62:63], v[6:7]
	v_fma_f64 v[14:15], -v[116:117], v[62:63], v[14:15]
	v_fma_f64 v[68:69], v[114:115], v[62:63], v[90:91]
	;; [unrolled: 2-line block ×4, first 2 shown]
	v_lshlrev_b64 v[60:61], 4, v[64:65]
	s_delay_alu instid0(VALU_DEP_1) | instskip(NEXT) | instid1(VALU_DEP_2)
	v_add_co_u32 v90, vcc_lo, s4, v60
	v_add_co_ci_u32_e32 v91, vcc_lo, s5, v61, vcc_lo
	v_add_co_u32 v8, vcc_lo, v8, 16
	v_add_co_ci_u32_e32 v9, vcc_lo, 0, v9, vcc_lo
	global_load_b128 v[60:63], v[90:91], off
	s_waitcnt vmcnt(12)
	v_fma_f64 v[92:93], v[84:85], v[72:73], v[66:67]
	v_fma_f64 v[6:7], v[96:97], v[72:73], v[6:7]
	v_fma_f64 v[14:15], v[98:99], v[72:73], v[14:15]
	v_fma_f64 v[94:95], v[100:101], v[72:73], v[68:69]
	v_fma_f64 v[110:111], v[102:103], v[72:73], v[70:71]
	v_fma_f64 v[86:87], v[104:105], v[72:73], v[86:87]
	v_fma_f64 v[45:46], v[106:107], v[72:73], v[45:46]
	v_fma_f64 v[72:73], v[108:109], v[72:73], v[88:89]
	s_clause 0x1
	global_load_b128 v[64:67], v[12:13], off offset:1568
	global_load_b128 v[68:71], v[12:13], off offset:1584
	s_waitcnt vmcnt(13)
	v_cvt_f64_f32_e32 v[88:89], v76
	v_cvt_f64_f32_e32 v[112:113], v77
	;; [unrolled: 1-line block ×4, first 2 shown]
	s_waitcnt vmcnt(12)
	v_cvt_f64_f32_e32 v[118:119], v80
	v_cvt_f64_f32_e32 v[120:121], v81
	v_cvt_f64_f32_e32 v[122:123], v82
	v_cvt_f64_f32_e32 v[124:125], v83
	v_fma_f64 v[76:77], -v[96:97], v[74:75], v[92:93]
	v_fma_f64 v[6:7], v[84:85], v[74:75], v[6:7]
	v_fma_f64 v[14:15], -v[100:101], v[74:75], v[14:15]
	v_fma_f64 v[78:79], v[98:99], v[74:75], v[94:95]
	;; [unrolled: 2-line block ×4, first 2 shown]
	global_load_b128 v[72:75], v[90:91], off offset:16
	s_waitcnt vmcnt(12)
	v_fma_f64 v[86:87], v[88:89], v[2:3], v[76:77]
	v_fma_f64 v[6:7], v[112:113], v[2:3], v[6:7]
	;; [unrolled: 1-line block ×8, first 2 shown]
	s_clause 0x1
	global_load_b128 v[76:79], v[12:13], off offset:1600
	global_load_b128 v[80:83], v[12:13], off offset:1616
	s_waitcnt vmcnt(13)
	v_cvt_f64_f32_e32 v[84:85], v25
	v_cvt_f64_f32_e32 v[98:99], v26
	v_cvt_f64_f32_e32 v[100:101], v27
	v_cvt_f64_f32_e32 v[102:103], v28
	s_waitcnt vmcnt(12)
	v_cvt_f64_f32_e32 v[104:105], v29
	v_cvt_f64_f32_e32 v[106:107], v30
	;; [unrolled: 1-line block ×4, first 2 shown]
	v_fma_f64 v[25:26], -v[112:113], v[4:5], v[86:87]
	v_fma_f64 v[6:7], v[88:89], v[4:5], v[6:7]
	v_fma_f64 v[14:15], -v[116:117], v[4:5], v[14:15]
	v_fma_f64 v[27:28], v[114:115], v[4:5], v[92:93]
	;; [unrolled: 2-line block ×4, first 2 shown]
	global_load_b128 v[2:5], v[90:91], off offset:32
	s_waitcnt vmcnt(12)
	v_fma_f64 v[88:89], v[84:85], v[33:34], v[25:26]
	v_fma_f64 v[6:7], v[98:99], v[33:34], v[6:7]
	;; [unrolled: 1-line block ×8, first 2 shown]
	s_clause 0x1
	global_load_b128 v[25:28], v[12:13], off offset:1632
	global_load_b128 v[29:32], v[12:13], off offset:1648
	v_add_co_u32 v12, vcc_lo, 0x800, v12
	v_add_co_ci_u32_e32 v13, vcc_lo, 0, v13, vcc_lo
	v_cmp_ge_i64_e32 vcc_lo, v[8:9], v[10:11]
	s_or_b32 s7, vcc_lo, s7
	s_waitcnt vmcnt(13)
	v_cvt_f64_f32_e32 v[86:87], v37
	v_cvt_f64_f32_e32 v[112:113], v38
	;; [unrolled: 1-line block ×4, first 2 shown]
	s_waitcnt vmcnt(12)
	v_cvt_f64_f32_e32 v[118:119], v41
	v_cvt_f64_f32_e32 v[41:42], v42
	;; [unrolled: 1-line block ×4, first 2 shown]
	global_load_b128 v[37:40], v[90:91], off offset:48
	v_fma_f64 v[88:89], -v[98:99], v[35:36], v[88:89]
	v_fma_f64 v[6:7], v[84:85], v[35:36], v[6:7]
	v_fma_f64 v[14:15], -v[102:103], v[35:36], v[14:15]
	v_fma_f64 v[84:85], v[100:101], v[35:36], v[92:93]
	v_fma_f64 v[92:93], -v[106:107], v[35:36], v[94:95]
	v_fma_f64 v[94:95], v[104:105], v[35:36], v[96:97]
	v_fma_f64 v[45:46], -v[110:111], v[35:36], v[45:46]
	v_fma_f64 v[33:34], v[108:109], v[35:36], v[33:34]
	s_waitcnt vmcnt(12)
	v_fma_f64 v[35:36], v[86:87], v[48:49], v[88:89]
	v_fma_f64 v[6:7], v[112:113], v[48:49], v[6:7]
	v_fma_f64 v[14:15], v[114:115], v[48:49], v[14:15]
	v_fma_f64 v[84:85], v[116:117], v[48:49], v[84:85]
	v_fma_f64 v[88:89], v[118:119], v[48:49], v[92:93]
	v_fma_f64 v[90:91], v[41:42], v[48:49], v[94:95]
	v_fma_f64 v[45:46], v[120:121], v[48:49], v[45:46]
	v_fma_f64 v[33:34], v[43:44], v[48:49], v[33:34]
	s_waitcnt vmcnt(11)
	v_cvt_f64_f32_e32 v[48:49], v52
	v_cvt_f64_f32_e32 v[52:53], v53
	v_cvt_f64_f32_e32 v[92:93], v54
	v_cvt_f64_f32_e32 v[54:55], v55
	s_waitcnt vmcnt(10)
	v_cvt_f64_f32_e32 v[94:95], v56
	v_cvt_f64_f32_e32 v[56:57], v57
	v_cvt_f64_f32_e32 v[96:97], v58
	v_cvt_f64_f32_e32 v[58:59], v59
	v_fma_f64 v[35:36], -v[112:113], v[50:51], v[35:36]
	v_fma_f64 v[6:7], v[86:87], v[50:51], v[6:7]
	v_fma_f64 v[14:15], -v[116:117], v[50:51], v[14:15]
	v_fma_f64 v[84:85], v[114:115], v[50:51], v[84:85]
	v_fma_f64 v[41:42], -v[41:42], v[50:51], v[88:89]
	v_fma_f64 v[86:87], v[118:119], v[50:51], v[90:91]
	v_fma_f64 v[43:44], -v[43:44], v[50:51], v[45:46]
	v_fma_f64 v[33:34], v[120:121], v[50:51], v[33:34]
	s_waitcnt vmcnt(9)
	v_fma_f64 v[35:36], v[48:49], v[60:61], v[35:36]
	v_fma_f64 v[6:7], v[52:53], v[60:61], v[6:7]
	v_fma_f64 v[14:15], v[92:93], v[60:61], v[14:15]
	v_fma_f64 v[45:46], v[54:55], v[60:61], v[84:85]
	v_fma_f64 v[41:42], v[94:95], v[60:61], v[41:42]
	v_fma_f64 v[50:51], v[56:57], v[60:61], v[86:87]
	v_fma_f64 v[43:44], v[96:97], v[60:61], v[43:44]
	v_fma_f64 v[33:34], v[58:59], v[60:61], v[33:34]
	s_waitcnt vmcnt(8)
	v_cvt_f64_f32_e32 v[60:61], v64
	v_cvt_f64_f32_e32 v[64:65], v65
	v_cvt_f64_f32_e32 v[84:85], v66
	v_cvt_f64_f32_e32 v[66:67], v67
	s_waitcnt vmcnt(7)
	v_cvt_f64_f32_e32 v[86:87], v68
	v_cvt_f64_f32_e32 v[68:69], v69
	v_cvt_f64_f32_e32 v[88:89], v70
	v_cvt_f64_f32_e32 v[70:71], v71
	v_fma_f64 v[35:36], -v[52:53], v[62:63], v[35:36]
	v_fma_f64 v[6:7], v[48:49], v[62:63], v[6:7]
	v_fma_f64 v[14:15], -v[54:55], v[62:63], v[14:15]
	v_fma_f64 v[45:46], v[92:93], v[62:63], v[45:46]
	v_fma_f64 v[41:42], -v[56:57], v[62:63], v[41:42]
	v_fma_f64 v[48:49], v[94:95], v[62:63], v[50:51]
	v_fma_f64 v[43:44], -v[58:59], v[62:63], v[43:44]
	v_fma_f64 v[33:34], v[96:97], v[62:63], v[33:34]
	s_waitcnt vmcnt(6)
	v_fma_f64 v[35:36], v[60:61], v[72:73], v[35:36]
	v_fma_f64 v[6:7], v[64:65], v[72:73], v[6:7]
	v_fma_f64 v[14:15], v[84:85], v[72:73], v[14:15]
	v_fma_f64 v[45:46], v[66:67], v[72:73], v[45:46]
	v_fma_f64 v[41:42], v[86:87], v[72:73], v[41:42]
	v_fma_f64 v[48:49], v[68:69], v[72:73], v[48:49]
	v_fma_f64 v[43:44], v[88:89], v[72:73], v[43:44]
	v_fma_f64 v[33:34], v[70:71], v[72:73], v[33:34]
	s_waitcnt vmcnt(5)
	v_cvt_f64_f32_e32 v[50:51], v76
	v_cvt_f64_f32_e32 v[52:53], v77
	v_cvt_f64_f32_e32 v[54:55], v78
	v_cvt_f64_f32_e32 v[56:57], v79
	s_waitcnt vmcnt(4)
	v_cvt_f64_f32_e32 v[58:59], v80
	v_cvt_f64_f32_e32 v[62:63], v81
	v_cvt_f64_f32_e32 v[72:73], v82
	v_cvt_f64_f32_e32 v[76:77], v83
	v_fma_f64 v[35:36], -v[64:65], v[74:75], v[35:36]
	v_fma_f64 v[6:7], v[60:61], v[74:75], v[6:7]
	v_fma_f64 v[14:15], -v[66:67], v[74:75], v[14:15]
	v_fma_f64 v[45:46], v[84:85], v[74:75], v[45:46]
	v_fma_f64 v[41:42], -v[68:69], v[74:75], v[41:42]
	v_fma_f64 v[48:49], v[86:87], v[74:75], v[48:49]
	v_fma_f64 v[43:44], -v[70:71], v[74:75], v[43:44]
	v_fma_f64 v[33:34], v[88:89], v[74:75], v[33:34]
	s_waitcnt vmcnt(3)
	v_fma_f64 v[35:36], v[50:51], v[2:3], v[35:36]
	v_fma_f64 v[6:7], v[52:53], v[2:3], v[6:7]
	v_fma_f64 v[14:15], v[54:55], v[2:3], v[14:15]
	v_fma_f64 v[45:46], v[56:57], v[2:3], v[45:46]
	v_fma_f64 v[41:42], v[58:59], v[2:3], v[41:42]
	v_fma_f64 v[48:49], v[62:63], v[2:3], v[48:49]
	v_fma_f64 v[43:44], v[72:73], v[2:3], v[43:44]
	v_fma_f64 v[2:3], v[76:77], v[2:3], v[33:34]
	s_waitcnt vmcnt(2)
	v_cvt_f64_f32_e32 v[33:34], v25
	v_cvt_f64_f32_e32 v[25:26], v26
	v_cvt_f64_f32_e32 v[60:61], v27
	v_cvt_f64_f32_e32 v[27:28], v28
	s_waitcnt vmcnt(1)
	v_cvt_f64_f32_e32 v[64:65], v29
	v_cvt_f64_f32_e32 v[66:67], v30
	v_cvt_f64_f32_e32 v[68:69], v31
	v_cvt_f64_f32_e32 v[31:32], v32
	v_fma_f64 v[29:30], -v[52:53], v[4:5], v[35:36]
	v_fma_f64 v[6:7], v[50:51], v[4:5], v[6:7]
	v_fma_f64 v[14:15], -v[56:57], v[4:5], v[14:15]
	v_fma_f64 v[35:36], v[54:55], v[4:5], v[45:46]
	;; [unrolled: 2-line block ×4, first 2 shown]
	s_waitcnt vmcnt(0)
	v_fma_f64 v[4:5], v[33:34], v[37:38], v[29:30]
	v_fma_f64 v[6:7], v[25:26], v[37:38], v[6:7]
	;; [unrolled: 1-line block ×8, first 2 shown]
	v_fma_f64 v[29:30], -v[25:26], v[39:40], v[4:5]
	v_fma_f64 v[14:15], v[33:34], v[39:40], v[6:7]
	v_fma_f64 v[35:36], -v[27:28], v[39:40], v[48:49]
	v_fma_f64 v[27:28], v[60:61], v[39:40], v[50:51]
	;; [unrolled: 2-line block ×4, first 2 shown]
	s_and_not1_b32 exec_lo, exec_lo, s7
	s_cbranch_execnz .LBB170_35
; %bb.36:
	s_or_b32 exec_lo, exec_lo, s7
.LBB170_37:
	s_delay_alu instid0(SALU_CYCLE_1)
	s_or_b32 exec_lo, exec_lo, s6
.LBB170_38:
	s_delay_alu instid0(SALU_CYCLE_1)
	s_or_b32 exec_lo, exec_lo, s1
.LBB170_39:
	v_mbcnt_lo_u32_b32 v41, -1, 0
	s_delay_alu instid0(VALU_DEP_1) | instskip(NEXT) | instid1(VALU_DEP_1)
	v_xor_b32_e32 v0, 2, v41
	v_cmp_gt_i32_e32 vcc_lo, 32, v0
	v_cndmask_b32_e32 v0, v41, v0, vcc_lo
	s_delay_alu instid0(VALU_DEP_1)
	v_lshlrev_b32_e32 v40, 2, v0
	ds_bpermute_b32 v0, v40, v29
	ds_bpermute_b32 v1, v40, v30
	;; [unrolled: 1-line block ×16, first 2 shown]
	s_waitcnt lgkmcnt(0)
	v_add_f64 v[0:1], v[29:30], v[0:1]
	v_add_f64 v[29:30], v[14:15], v[2:3]
	;; [unrolled: 1-line block ×7, first 2 shown]
	v_xor_b32_e32 v12, 1, v41
	v_add_f64 v[8:9], v[31:32], v[39:40]
	s_delay_alu instid0(VALU_DEP_2) | instskip(SKIP_2) | instid1(VALU_DEP_2)
	v_cmp_gt_i32_e32 vcc_lo, 32, v12
	v_cndmask_b32_e32 v12, v41, v12, vcc_lo
	v_cmp_eq_u32_e32 vcc_lo, 3, v47
	v_lshlrev_b32_e32 v34, 2, v12
	ds_bpermute_b32 v12, v34, v0
	ds_bpermute_b32 v13, v34, v1
	;; [unrolled: 1-line block ×16, first 2 shown]
	s_and_b32 exec_lo, exec_lo, vcc_lo
	s_cbranch_execz .LBB170_12
; %bb.40:
	s_waitcnt lgkmcnt(12)
	v_add_f64 v[29:30], v[29:30], v[39:40]
	s_waitcnt lgkmcnt(8)
	v_add_f64 v[14:15], v[14:15], v[37:38]
	;; [unrolled: 2-line block ×4, first 2 shown]
	v_add_f64 v[0:1], v[0:1], v[12:13]
	v_add_f64 v[2:3], v[2:3], v[25:26]
	v_add_f64 v[25:26], v[4:5], v[27:28]
	v_add_f64 v[27:28], v[6:7], v[31:32]
	v_cmp_eq_f64_e32 vcc_lo, 0, v[16:17]
	v_cmp_eq_f64_e64 s0, 0, v[18:19]
	s_load_b64 s[2:3], s[2:3], 0x60
	v_mul_f64 v[4:5], v[29:30], -v[22:23]
	v_mul_f64 v[6:7], v[20:21], v[29:30]
	v_mul_f64 v[29:30], v[14:15], -v[22:23]
	v_mul_f64 v[31:32], v[20:21], v[14:15]
	;; [unrolled: 2-line block ×4, first 2 shown]
	s_and_b32 s0, vcc_lo, s0
	v_fma_f64 v[12:13], v[20:21], v[0:1], v[4:5]
	v_fma_f64 v[14:15], v[22:23], v[0:1], v[6:7]
	;; [unrolled: 1-line block ×8, first 2 shown]
	v_lshlrev_b32_e32 v20, 2, v24
	s_and_saveexec_b32 s1, s0
	s_delay_alu instid0(SALU_CYCLE_1)
	s_xor_b32 s0, exec_lo, s1
	s_cbranch_execz .LBB170_42
; %bb.41:
	s_delay_alu instid0(VALU_DEP_1) | instskip(NEXT) | instid1(VALU_DEP_1)
	v_ashrrev_i32_e32 v21, 31, v20
                                        ; implicit-def: $vgpr18_vgpr19
	v_lshlrev_b64 v[16:17], 4, v[20:21]
                                        ; implicit-def: $vgpr20
	s_waitcnt lgkmcnt(0)
	s_delay_alu instid0(VALU_DEP_1) | instskip(NEXT) | instid1(VALU_DEP_2)
	v_add_co_u32 v16, vcc_lo, s2, v16
	v_add_co_ci_u32_e32 v17, vcc_lo, s3, v17, vcc_lo
	s_clause 0x3
	global_store_b128 v[16:17], v[12:15], off
	global_store_b128 v[16:17], v[8:11], off offset:16
	global_store_b128 v[16:17], v[4:7], off offset:32
	;; [unrolled: 1-line block ×3, first 2 shown]
                                        ; implicit-def: $vgpr16_vgpr17
                                        ; implicit-def: $vgpr12_vgpr13
                                        ; implicit-def: $vgpr8_vgpr9
                                        ; implicit-def: $vgpr4_vgpr5
                                        ; implicit-def: $vgpr0_vgpr1
.LBB170_42:
	s_and_not1_saveexec_b32 s0, s0
	s_cbranch_execz .LBB170_12
; %bb.43:
	v_ashrrev_i32_e32 v21, 31, v20
	s_delay_alu instid0(VALU_DEP_1) | instskip(SKIP_1) | instid1(VALU_DEP_1)
	v_lshlrev_b64 v[20:21], 4, v[20:21]
	s_waitcnt lgkmcnt(0)
	v_add_co_u32 v36, vcc_lo, s2, v20
	s_delay_alu instid0(VALU_DEP_2)
	v_add_co_ci_u32_e32 v37, vcc_lo, s3, v21, vcc_lo
	s_clause 0x3
	global_load_b128 v[20:23], v[36:37], off
	global_load_b128 v[24:27], v[36:37], off offset:16
	global_load_b128 v[28:31], v[36:37], off offset:32
	;; [unrolled: 1-line block ×3, first 2 shown]
	s_waitcnt vmcnt(3)
	v_fma_f64 v[12:13], v[16:17], v[20:21], v[12:13]
	v_fma_f64 v[14:15], v[18:19], v[20:21], v[14:15]
	s_waitcnt vmcnt(2)
	v_fma_f64 v[8:9], v[16:17], v[24:25], v[8:9]
	v_fma_f64 v[10:11], v[18:19], v[24:25], v[10:11]
	;; [unrolled: 3-line block ×4, first 2 shown]
	v_fma_f64 v[0:1], -v[18:19], v[22:23], v[12:13]
	v_fma_f64 v[2:3], v[16:17], v[22:23], v[14:15]
	v_fma_f64 v[4:5], -v[18:19], v[26:27], v[8:9]
	v_fma_f64 v[6:7], v[16:17], v[26:27], v[10:11]
	;; [unrolled: 2-line block ×4, first 2 shown]
	s_clause 0x3
	global_store_b128 v[36:37], v[0:3], off
	global_store_b128 v[36:37], v[4:7], off offset:16
	global_store_b128 v[36:37], v[8:11], off offset:32
	global_store_b128 v[36:37], v[12:15], off offset:48
	s_nop 0
	s_sendmsg sendmsg(MSG_DEALLOC_VGPRS)
	s_endpgm
	.section	.rodata,"a",@progbits
	.p2align	6, 0x0
	.amdhsa_kernel _ZN9rocsparseL18bsrxmvn_4x4_kernelILj128ELj4E21rocsparse_complex_numIdEliS1_IfES2_S2_EEvT3_20rocsparse_direction_NS_24const_host_device_scalarIT1_EES4_PKS4_PKT2_SD_SA_PKT4_PKT5_S8_PT6_21rocsparse_index_base_b
		.amdhsa_group_segment_fixed_size 2048
		.amdhsa_private_segment_fixed_size 0
		.amdhsa_kernarg_size 112
		.amdhsa_user_sgpr_count 15
		.amdhsa_user_sgpr_dispatch_ptr 1
		.amdhsa_user_sgpr_queue_ptr 0
		.amdhsa_user_sgpr_kernarg_segment_ptr 1
		.amdhsa_user_sgpr_dispatch_id 0
		.amdhsa_user_sgpr_private_segment_size 0
		.amdhsa_wavefront_size32 1
		.amdhsa_uses_dynamic_stack 0
		.amdhsa_enable_private_segment 0
		.amdhsa_system_sgpr_workgroup_id_x 1
		.amdhsa_system_sgpr_workgroup_id_y 0
		.amdhsa_system_sgpr_workgroup_id_z 0
		.amdhsa_system_sgpr_workgroup_info 0
		.amdhsa_system_vgpr_workitem_id 2
		.amdhsa_next_free_vgpr 135
		.amdhsa_next_free_sgpr 18
		.amdhsa_reserve_vcc 1
		.amdhsa_float_round_mode_32 0
		.amdhsa_float_round_mode_16_64 0
		.amdhsa_float_denorm_mode_32 3
		.amdhsa_float_denorm_mode_16_64 3
		.amdhsa_dx10_clamp 1
		.amdhsa_ieee_mode 1
		.amdhsa_fp16_overflow 0
		.amdhsa_workgroup_processor_mode 1
		.amdhsa_memory_ordered 1
		.amdhsa_forward_progress 0
		.amdhsa_shared_vgpr_count 0
		.amdhsa_exception_fp_ieee_invalid_op 0
		.amdhsa_exception_fp_denorm_src 0
		.amdhsa_exception_fp_ieee_div_zero 0
		.amdhsa_exception_fp_ieee_overflow 0
		.amdhsa_exception_fp_ieee_underflow 0
		.amdhsa_exception_fp_ieee_inexact 0
		.amdhsa_exception_int_div_zero 0
	.end_amdhsa_kernel
	.section	.text._ZN9rocsparseL18bsrxmvn_4x4_kernelILj128ELj4E21rocsparse_complex_numIdEliS1_IfES2_S2_EEvT3_20rocsparse_direction_NS_24const_host_device_scalarIT1_EES4_PKS4_PKT2_SD_SA_PKT4_PKT5_S8_PT6_21rocsparse_index_base_b,"axG",@progbits,_ZN9rocsparseL18bsrxmvn_4x4_kernelILj128ELj4E21rocsparse_complex_numIdEliS1_IfES2_S2_EEvT3_20rocsparse_direction_NS_24const_host_device_scalarIT1_EES4_PKS4_PKT2_SD_SA_PKT4_PKT5_S8_PT6_21rocsparse_index_base_b,comdat
.Lfunc_end170:
	.size	_ZN9rocsparseL18bsrxmvn_4x4_kernelILj128ELj4E21rocsparse_complex_numIdEliS1_IfES2_S2_EEvT3_20rocsparse_direction_NS_24const_host_device_scalarIT1_EES4_PKS4_PKT2_SD_SA_PKT4_PKT5_S8_PT6_21rocsparse_index_base_b, .Lfunc_end170-_ZN9rocsparseL18bsrxmvn_4x4_kernelILj128ELj4E21rocsparse_complex_numIdEliS1_IfES2_S2_EEvT3_20rocsparse_direction_NS_24const_host_device_scalarIT1_EES4_PKS4_PKT2_SD_SA_PKT4_PKT5_S8_PT6_21rocsparse_index_base_b
                                        ; -- End function
	.section	.AMDGPU.csdata,"",@progbits
; Kernel info:
; codeLenInByte = 11412
; NumSgprs: 20
; NumVgprs: 135
; ScratchSize: 0
; MemoryBound: 0
; FloatMode: 240
; IeeeMode: 1
; LDSByteSize: 2048 bytes/workgroup (compile time only)
; SGPRBlocks: 2
; VGPRBlocks: 16
; NumSGPRsForWavesPerEU: 20
; NumVGPRsForWavesPerEU: 135
; Occupancy: 10
; WaveLimiterHint : 1
; COMPUTE_PGM_RSRC2:SCRATCH_EN: 0
; COMPUTE_PGM_RSRC2:USER_SGPR: 15
; COMPUTE_PGM_RSRC2:TRAP_HANDLER: 0
; COMPUTE_PGM_RSRC2:TGID_X_EN: 1
; COMPUTE_PGM_RSRC2:TGID_Y_EN: 0
; COMPUTE_PGM_RSRC2:TGID_Z_EN: 0
; COMPUTE_PGM_RSRC2:TIDIG_COMP_CNT: 2
	.section	.text._ZN9rocsparseL18bsrxmvn_4x4_kernelILj128ELj8E21rocsparse_complex_numIdEliS1_IfES2_S2_EEvT3_20rocsparse_direction_NS_24const_host_device_scalarIT1_EES4_PKS4_PKT2_SD_SA_PKT4_PKT5_S8_PT6_21rocsparse_index_base_b,"axG",@progbits,_ZN9rocsparseL18bsrxmvn_4x4_kernelILj128ELj8E21rocsparse_complex_numIdEliS1_IfES2_S2_EEvT3_20rocsparse_direction_NS_24const_host_device_scalarIT1_EES4_PKS4_PKT2_SD_SA_PKT4_PKT5_S8_PT6_21rocsparse_index_base_b,comdat
	.globl	_ZN9rocsparseL18bsrxmvn_4x4_kernelILj128ELj8E21rocsparse_complex_numIdEliS1_IfES2_S2_EEvT3_20rocsparse_direction_NS_24const_host_device_scalarIT1_EES4_PKS4_PKT2_SD_SA_PKT4_PKT5_S8_PT6_21rocsparse_index_base_b ; -- Begin function _ZN9rocsparseL18bsrxmvn_4x4_kernelILj128ELj8E21rocsparse_complex_numIdEliS1_IfES2_S2_EEvT3_20rocsparse_direction_NS_24const_host_device_scalarIT1_EES4_PKS4_PKT2_SD_SA_PKT4_PKT5_S8_PT6_21rocsparse_index_base_b
	.p2align	8
	.type	_ZN9rocsparseL18bsrxmvn_4x4_kernelILj128ELj8E21rocsparse_complex_numIdEliS1_IfES2_S2_EEvT3_20rocsparse_direction_NS_24const_host_device_scalarIT1_EES4_PKS4_PKT2_SD_SA_PKT4_PKT5_S8_PT6_21rocsparse_index_base_b,@function
_ZN9rocsparseL18bsrxmvn_4x4_kernelILj128ELj8E21rocsparse_complex_numIdEliS1_IfES2_S2_EEvT3_20rocsparse_direction_NS_24const_host_device_scalarIT1_EES4_PKS4_PKT2_SD_SA_PKT4_PKT5_S8_PT6_21rocsparse_index_base_b: ; @_ZN9rocsparseL18bsrxmvn_4x4_kernelILj128ELj8E21rocsparse_complex_numIdEliS1_IfES2_S2_EEvT3_20rocsparse_direction_NS_24const_host_device_scalarIT1_EES4_PKS4_PKT2_SD_SA_PKT4_PKT5_S8_PT6_21rocsparse_index_base_b
; %bb.0:
	s_load_b64 s[12:13], s[2:3], 0x68
	s_load_b64 s[16:17], s[0:1], 0x4
	s_load_b128 s[8:11], s[2:3], 0x8
	v_bfe_u32 v2, v0, 10, 10
	s_mov_b64 s[0:1], src_shared_base
	s_load_b128 s[4:7], s[2:3], 0x50
	v_and_b32_e32 v1, 0x3ff, v0
	v_bfe_u32 v0, v0, 20, 10
	s_waitcnt lgkmcnt(0)
	s_bitcmp1_b32 s13, 0
	v_mul_u32_u24_e32 v2, s17, v2
	s_cselect_b32 s0, -1, 0
	v_mov_b32_e32 v23, s11
	s_and_b32 vcc_lo, s0, exec_lo
	s_cselect_b32 s13, s1, s9
	s_lshr_b32 s14, s16, 16
	v_dual_mov_b32 v4, s4 :: v_dual_mov_b32 v5, s5
	s_mul_i32 s14, s14, s17
	v_dual_mov_b32 v7, s13 :: v_dual_mov_b32 v22, s10
	v_mad_u32_u24 v2, s14, v1, v2
	s_xor_b32 s10, s0, -1
	s_delay_alu instid0(VALU_DEP_1) | instskip(SKIP_1) | instid1(VALU_DEP_2)
	v_add_lshl_u32 v0, v2, v0, 3
	v_dual_mov_b32 v2, s8 :: v_dual_mov_b32 v3, s9
	v_add_nc_u32_e32 v6, 0x400, v0
	ds_store_2addr_stride64_b64 v0, v[4:5], v[2:3] offset1:2
	v_cndmask_b32_e64 v6, s8, v6, s0
	flat_load_b64 v[20:21], v[6:7]
	s_cbranch_vccnz .LBB171_2
; %bb.1:
	v_dual_mov_b32 v2, s8 :: v_dual_mov_b32 v3, s9
	flat_load_b64 v[22:23], v[2:3] offset:8
.LBB171_2:
	s_and_b32 s8, s0, exec_lo
	s_cselect_b32 s1, s1, s5
	v_cndmask_b32_e64 v2, s4, v0, s0
	v_mov_b32_e32 v3, s1
	v_dual_mov_b32 v19, s7 :: v_dual_mov_b32 v18, s6
	s_and_not1_b32 vcc_lo, exec_lo, s10
	flat_load_b64 v[16:17], v[2:3]
	s_cbranch_vccnz .LBB171_4
; %bb.3:
	v_dual_mov_b32 v2, s4 :: v_dual_mov_b32 v3, s5
	flat_load_b64 v[18:19], v[2:3] offset:8
.LBB171_4:
	s_waitcnt vmcnt(1) lgkmcnt(1)
	v_cmp_eq_f64_e32 vcc_lo, 0, v[20:21]
	v_cmp_eq_f64_e64 s0, 0, v[22:23]
	s_delay_alu instid0(VALU_DEP_1)
	s_and_b32 s4, vcc_lo, s0
	s_mov_b32 s0, -1
	s_and_saveexec_b32 s1, s4
	s_cbranch_execz .LBB171_6
; %bb.5:
	s_waitcnt vmcnt(0) lgkmcnt(0)
	v_cmp_neq_f64_e32 vcc_lo, 1.0, v[16:17]
	v_cmp_neq_f64_e64 s0, 0, v[18:19]
	s_delay_alu instid0(VALU_DEP_1) | instskip(NEXT) | instid1(SALU_CYCLE_1)
	s_or_b32 s0, vcc_lo, s0
	s_or_not1_b32 s0, s0, exec_lo
.LBB171_6:
	s_or_b32 exec_lo, exec_lo, s1
	s_and_saveexec_b32 s1, s0
	s_cbranch_execz .LBB171_12
; %bb.7:
	s_clause 0x1
	s_load_b64 s[4:5], s[2:3], 0x20
	s_load_b64 s[0:1], s[2:3], 0x0
	v_lshrrev_b32_e32 v0, 3, v1
	s_delay_alu instid0(VALU_DEP_1)
	v_lshl_or_b32 v24, s15, 4, v0
	s_waitcnt lgkmcnt(0)
	s_cmp_lg_u64 s[4:5], 0
	s_cbranch_scc0 .LBB171_13
; %bb.8:
	s_load_b32 s6, s[2:3], 0x18
	s_mov_b32 s7, 0
                                        ; implicit-def: $vgpr0
	s_waitcnt lgkmcnt(0)
	v_cmp_gt_i32_e32 vcc_lo, s6, v24
	s_mov_b32 s6, 0
	s_and_saveexec_b32 s8, vcc_lo
	s_delay_alu instid0(SALU_CYCLE_1)
	s_xor_b32 s8, exec_lo, s8
	s_cbranch_execz .LBB171_10
; %bb.9:
	v_ashrrev_i32_e32 v25, 31, v24
	s_mov_b32 s6, exec_lo
	s_delay_alu instid0(VALU_DEP_1) | instskip(NEXT) | instid1(VALU_DEP_1)
	v_lshlrev_b64 v[2:3], 2, v[24:25]
	v_add_co_u32 v2, vcc_lo, s4, v2
	s_delay_alu instid0(VALU_DEP_2)
	v_add_co_ci_u32_e32 v3, vcc_lo, s5, v3, vcc_lo
	global_load_b32 v0, v[2:3], off
	s_waitcnt vmcnt(0)
	v_subrev_nc_u32_e32 v0, s12, v0
.LBB171_10:
	s_or_b32 exec_lo, exec_lo, s8
	s_delay_alu instid0(SALU_CYCLE_1)
	s_and_b32 vcc_lo, exec_lo, s7
	s_cbranch_vccz .LBB171_14
.LBB171_11:
	v_cmp_gt_i32_e32 vcc_lo, s0, v24
	s_and_not1_b32 s0, s6, exec_lo
	s_and_b32 s4, vcc_lo, exec_lo
	s_delay_alu instid0(SALU_CYCLE_1) | instskip(NEXT) | instid1(SALU_CYCLE_1)
	s_or_b32 s6, s0, s4
	s_and_b32 exec_lo, exec_lo, s6
	s_cbranch_execnz .LBB171_15
.LBB171_12:
	s_nop 0
	s_sendmsg sendmsg(MSG_DEALLOC_VGPRS)
	s_endpgm
.LBB171_13:
	s_mov_b32 s6, 0
                                        ; implicit-def: $vgpr0
	s_cbranch_execnz .LBB171_11
.LBB171_14:
	s_delay_alu instid0(VALU_DEP_1)
	v_mov_b32_e32 v24, v0
	s_and_b32 exec_lo, exec_lo, s6
	s_cbranch_execz .LBB171_12
.LBB171_15:
	s_load_b256 s[4:11], s[2:3], 0x28
	s_delay_alu instid0(VALU_DEP_1) | instskip(SKIP_1) | instid1(VALU_DEP_2)
	v_ashrrev_i32_e32 v25, 31, v24
	v_and_b32_e32 v47, 7, v1
	v_lshlrev_b64 v[2:3], 3, v[24:25]
	s_waitcnt lgkmcnt(0)
	s_delay_alu instid0(VALU_DEP_1) | instskip(NEXT) | instid1(VALU_DEP_2)
	v_add_co_u32 v4, vcc_lo, s4, v2
	v_add_co_ci_u32_e32 v5, vcc_lo, s5, v3, vcc_lo
	v_add_co_u32 v0, vcc_lo, s6, v2
	v_add_co_ci_u32_e32 v2, vcc_lo, s7, v3, vcc_lo
	s_delay_alu instid0(VALU_DEP_4)
	v_add_co_u32 v6, vcc_lo, v4, 8
	global_load_b64 v[39:40], v[4:5], off
	v_add_co_ci_u32_e32 v3, vcc_lo, 0, v5, vcc_lo
	s_cmp_eq_u64 s[6:7], 0
	s_load_b64 s[4:5], s[2:3], 0x48
	s_cselect_b32 vcc_lo, -1, 0
	s_cmp_eq_u32 s1, 1
	v_dual_cndmask_b32 v3, v2, v3 :: v_dual_cndmask_b32 v2, v0, v6
	global_load_b64 v[2:3], v[2:3], off
	s_waitcnt vmcnt(1)
	v_sub_co_u32 v0, vcc_lo, v39, s12
	v_subrev_co_ci_u32_e32 v1, vcc_lo, 0, v40, vcc_lo
	s_delay_alu instid0(VALU_DEP_2) | instskip(NEXT) | instid1(VALU_DEP_2)
	v_add_co_u32 v8, vcc_lo, v0, v47
	v_add_co_ci_u32_e32 v9, vcc_lo, 0, v1, vcc_lo
	s_delay_alu instid0(VALU_DEP_1) | instskip(SKIP_3) | instid1(VALU_DEP_3)
	v_lshlrev_b64 v[0:1], 7, v[8:9]
	s_waitcnt vmcnt(0)
	v_sub_co_u32 v10, vcc_lo, v2, s12
	v_subrev_co_ci_u32_e32 v11, vcc_lo, 0, v3, vcc_lo
	v_add_co_u32 v12, vcc_lo, s10, v0
	s_delay_alu instid0(VALU_DEP_2)
	v_cmp_lt_i64_e64 s0, v[8:9], v[10:11]
	v_add_co_ci_u32_e32 v13, vcc_lo, s11, v1, vcc_lo
	s_cbranch_scc1 .LBB171_27
; %bb.16:
	v_mov_b32_e32 v14, 0
	v_mov_b32_e32 v15, 0
	s_delay_alu instid0(VALU_DEP_1)
	v_dual_mov_b32 v30, v15 :: v_dual_mov_b32 v29, v14
	v_dual_mov_b32 v28, v15 :: v_dual_mov_b32 v27, v14
	;; [unrolled: 1-line block ×7, first 2 shown]
	s_and_saveexec_b32 s6, s0
	s_cbranch_execz .LBB171_26
; %bb.17:
	v_or_b32_e32 v0, 8, v47
	v_not_b32_e32 v3, v39
	v_not_b32_e32 v2, v40
	v_mov_b32_e32 v44, v9
	s_mov_b32 s10, 0
	v_sub_co_u32 v0, s1, v0, s12
	s_delay_alu instid0(VALU_DEP_1) | instskip(SKIP_1) | instid1(VALU_DEP_3)
	v_sub_co_ci_u32_e64 v1, null, 0, 0, s1
	v_sub_co_u32 v4, s1, s12, v47
	v_add_co_u32 v0, vcc_lo, v0, v39
	s_delay_alu instid0(VALU_DEP_3) | instskip(SKIP_2) | instid1(VALU_DEP_2)
	v_add_co_ci_u32_e32 v1, vcc_lo, v1, v40, vcc_lo
	v_sub_co_ci_u32_e64 v5, null, 0, 0, s1
	s_mov_b32 s7, exec_lo
	v_cmp_gt_i64_e32 vcc_lo, v[0:1], v[10:11]
	v_mov_b32_e32 v43, v8
	v_dual_cndmask_b32 v1, v11, v1 :: v_dual_cndmask_b32 v0, v10, v0
	v_add_co_u32 v3, vcc_lo, v4, v3
	v_add_co_ci_u32_e32 v2, vcc_lo, v5, v2, vcc_lo
	s_delay_alu instid0(VALU_DEP_2) | instskip(NEXT) | instid1(VALU_DEP_2)
	v_add_co_u32 v0, vcc_lo, v3, v0
	v_add_co_ci_u32_e32 v1, vcc_lo, v2, v1, vcc_lo
	s_delay_alu instid0(VALU_DEP_2) | instskip(SKIP_3) | instid1(VALU_DEP_4)
	v_lshrrev_b32_e32 v2, 3, v0
	v_mov_b32_e32 v25, 0
	v_mov_b32_e32 v26, 0
	v_dual_mov_b32 v42, v13 :: v_dual_mov_b32 v41, v12
	v_add_nc_u32_e32 v2, 1, v2
	s_delay_alu instid0(VALU_DEP_3)
	v_dual_mov_b32 v14, v25 :: v_dual_mov_b32 v15, v26
	v_mov_b32_e32 v36, v26
	v_mov_b32_e32 v28, v26
	;; [unrolled: 1-line block ×3, first 2 shown]
	v_dual_mov_b32 v32, v26 :: v_dual_mov_b32 v31, v25
	v_dual_mov_b32 v38, v26 :: v_dual_mov_b32 v37, v25
	v_dual_mov_b32 v34, v26 :: v_dual_mov_b32 v33, v25
	v_dual_mov_b32 v35, v25 :: v_dual_and_b32 v2, 3, v2
	v_mov_b32_e32 v27, v25
	v_mov_b32_e32 v29, v25
	s_delay_alu instid0(VALU_DEP_3)
	v_cmpx_ne_u32_e32 0, v2
	s_cbranch_execz .LBB171_21
; %bb.18:
	v_lshlrev_b64 v[4:5], 2, v[8:9]
	v_dual_mov_b32 v3, 0 :: v_dual_mov_b32 v14, 0
	v_dual_mov_b32 v15, 0 :: v_dual_lshlrev_b32 v2, 2, v2
	v_dual_mov_b32 v44, v9 :: v_dual_mov_b32 v43, v8
	s_delay_alu instid0(VALU_DEP_4)
	v_add_co_u32 v4, vcc_lo, s8, v4
	v_add_co_ci_u32_e32 v5, vcc_lo, s9, v5, vcc_lo
	v_dual_mov_b32 v42, v13 :: v_dual_mov_b32 v41, v12
	v_dual_mov_b32 v30, v15 :: v_dual_mov_b32 v29, v14
	;; [unrolled: 1-line block ×8, first 2 shown]
.LBB171_19:                             ; =>This Inner Loop Header: Depth=1
	global_load_b32 v6, v[4:5], off
	s_clause 0x7
	global_load_b128 v[48:51], v[41:42], off
	global_load_b128 v[52:55], v[41:42], off offset:32
	global_load_b128 v[56:59], v[41:42], off offset:64
	;; [unrolled: 1-line block ×7, first 2 shown]
	v_add_co_u32 v4, s1, v4, 32
	s_delay_alu instid0(VALU_DEP_1)
	v_add_co_ci_u32_e64 v5, s1, 0, v5, s1
	s_waitcnt vmcnt(8)
	v_subrev_nc_u32_e32 v6, s12, v6
	s_waitcnt vmcnt(7)
	v_cvt_f64_f32_e32 v[45:46], v49
	s_waitcnt vmcnt(6)
	v_cvt_f64_f32_e32 v[100:101], v54
	;; [unrolled: 2-line block ×3, first 2 shown]
	v_cvt_f64_f32_e32 v[56:57], v57
	v_lshlrev_b32_e32 v6, 2, v6
	s_waitcnt vmcnt(3)
	v_cvt_f64_f32_e32 v[98:99], v64
	v_cvt_f64_f32_e32 v[64:65], v65
	;; [unrolled: 1-line block ×4, first 2 shown]
	v_ashrrev_i32_e32 v7, 31, v6
	v_cvt_f64_f32_e32 v[58:59], v59
	v_cvt_f64_f32_e32 v[104:105], v66
	v_cvt_f64_f32_e32 v[66:67], v67
	s_delay_alu instid0(VALU_DEP_4) | instskip(SKIP_1) | instid1(VALU_DEP_1)
	v_lshlrev_b64 v[6:7], 4, v[6:7]
	s_waitcnt lgkmcnt(0)
	v_add_co_u32 v6, vcc_lo, s4, v6
	s_delay_alu instid0(VALU_DEP_2)
	v_add_co_ci_u32_e32 v7, vcc_lo, s5, v7, vcc_lo
	v_add_co_u32 v41, vcc_lo, 0x400, v41
	v_add_co_ci_u32_e32 v42, vcc_lo, 0, v42, vcc_lo
	s_clause 0x3
	global_load_b128 v[80:83], v[6:7], off
	global_load_b128 v[84:87], v[6:7], off offset:16
	global_load_b128 v[88:91], v[6:7], off offset:32
	;; [unrolled: 1-line block ×3, first 2 shown]
	v_cvt_f64_f32_e32 v[6:7], v48
	v_cvt_f64_f32_e32 v[48:49], v52
	v_cvt_f64_f32_e32 v[52:53], v53
	v_add_co_u32 v2, vcc_lo, v2, -4
	v_add_co_ci_u32_e32 v3, vcc_lo, -1, v3, vcc_lo
	v_add_co_u32 v43, vcc_lo, v43, 8
	v_add_co_ci_u32_e32 v44, vcc_lo, 0, v44, vcc_lo
	s_delay_alu instid0(VALU_DEP_3)
	v_cmp_eq_u64_e32 vcc_lo, 0, v[2:3]
	s_or_b32 s10, vcc_lo, s10
	s_waitcnt vmcnt(3)
	v_fma_f64 v[29:30], v[6:7], v[80:81], v[29:30]
	v_fma_f64 v[14:15], v[45:46], v[80:81], v[14:15]
	;; [unrolled: 1-line block ×8, first 2 shown]
	v_cvt_f64_f32_e32 v[80:81], v50
	v_cvt_f64_f32_e32 v[50:51], v51
	v_fma_f64 v[29:30], -v[45:46], v[82:83], v[29:30]
	v_fma_f64 v[6:7], v[6:7], v[82:83], v[14:15]
	v_fma_f64 v[14:15], -v[52:53], v[82:83], v[35:36]
	v_fma_f64 v[27:28], v[48:49], v[82:83], v[27:28]
	;; [unrolled: 2-line block ×4, first 2 shown]
	v_cvt_f64_f32_e32 v[37:38], v68
	v_cvt_f64_f32_e32 v[45:46], v69
	v_cvt_f64_f32_e32 v[48:49], v60
	v_cvt_f64_f32_e32 v[52:53], v61
	v_cvt_f64_f32_e32 v[56:57], v76
	v_cvt_f64_f32_e32 v[60:61], v77
	v_cvt_f64_f32_e32 v[64:65], v72
	v_cvt_f64_f32_e32 v[68:69], v73
	v_cvt_f64_f32_e32 v[72:73], v74
	v_cvt_f64_f32_e32 v[74:75], v75
	s_waitcnt vmcnt(2)
	v_fma_f64 v[29:30], v[80:81], v[84:85], v[29:30]
	v_fma_f64 v[6:7], v[50:51], v[84:85], v[6:7]
	v_fma_f64 v[14:15], v[100:101], v[84:85], v[14:15]
	v_fma_f64 v[27:28], v[54:55], v[84:85], v[27:28]
	v_fma_f64 v[35:36], v[102:103], v[84:85], v[35:36]
	v_fma_f64 v[33:34], v[58:59], v[84:85], v[33:34]
	v_fma_f64 v[25:26], v[104:105], v[84:85], v[25:26]
	v_fma_f64 v[31:32], v[66:67], v[84:85], v[31:32]
	v_fma_f64 v[29:30], -v[50:51], v[86:87], v[29:30]
	v_fma_f64 v[6:7], v[80:81], v[86:87], v[6:7]
	v_fma_f64 v[14:15], -v[54:55], v[86:87], v[14:15]
	v_fma_f64 v[27:28], v[100:101], v[86:87], v[27:28]
	;; [unrolled: 2-line block ×4, first 2 shown]
	v_cvt_f64_f32_e32 v[50:51], v70
	v_cvt_f64_f32_e32 v[54:55], v71
	;; [unrolled: 1-line block ×6, first 2 shown]
	s_waitcnt vmcnt(1)
	v_fma_f64 v[29:30], v[37:38], v[88:89], v[29:30]
	v_fma_f64 v[6:7], v[45:46], v[88:89], v[6:7]
	;; [unrolled: 1-line block ×8, first 2 shown]
	v_fma_f64 v[29:30], -v[45:46], v[90:91], v[29:30]
	v_fma_f64 v[6:7], v[37:38], v[90:91], v[6:7]
	v_fma_f64 v[14:15], -v[52:53], v[90:91], v[14:15]
	v_fma_f64 v[27:28], v[48:49], v[90:91], v[27:28]
	;; [unrolled: 2-line block ×4, first 2 shown]
	s_waitcnt vmcnt(0)
	v_fma_f64 v[29:30], v[50:51], v[92:93], v[29:30]
	v_fma_f64 v[6:7], v[54:55], v[92:93], v[6:7]
	;; [unrolled: 1-line block ×8, first 2 shown]
	v_fma_f64 v[29:30], -v[54:55], v[94:95], v[29:30]
	v_fma_f64 v[14:15], v[50:51], v[94:95], v[6:7]
	v_fma_f64 v[35:36], -v[62:63], v[94:95], v[37:38]
	v_fma_f64 v[27:28], v[58:59], v[94:95], v[27:28]
	;; [unrolled: 2-line block ×4, first 2 shown]
	s_and_not1_b32 exec_lo, exec_lo, s10
	s_cbranch_execnz .LBB171_19
; %bb.20:
	s_or_b32 exec_lo, exec_lo, s10
.LBB171_21:
	s_delay_alu instid0(SALU_CYCLE_1) | instskip(NEXT) | instid1(SALU_CYCLE_1)
	s_or_b32 exec_lo, exec_lo, s7
	s_mov_b32 s7, exec_lo
	v_cmpx_lt_u64_e32 23, v[0:1]
	s_cbranch_execz .LBB171_25
; %bb.22:
	v_lshlrev_b64 v[0:1], 2, v[43:44]
	s_mov_b32 s10, 0
	s_delay_alu instid0(VALU_DEP_1) | instskip(NEXT) | instid1(VALU_DEP_2)
	v_add_co_u32 v0, vcc_lo, v0, s8
	v_add_co_ci_u32_e32 v1, vcc_lo, s9, v1, vcc_lo
	s_delay_alu instid0(VALU_DEP_2) | instskip(NEXT) | instid1(VALU_DEP_2)
	v_add_co_u32 v45, vcc_lo, v0, 64
	v_add_co_ci_u32_e32 v46, vcc_lo, 0, v1, vcc_lo
.LBB171_23:                             ; =>This Inner Loop Header: Depth=1
	global_load_b32 v48, v[45:46], off offset:-64
	s_clause 0x1
	global_load_b128 v[4:7], v[41:42], off
	global_load_b128 v[0:3], v[41:42], off offset:32
	global_load_b32 v105, v[45:46], off offset:-32
	s_clause 0x1
	global_load_b128 v[49:52], v[41:42], off offset:64
	global_load_b128 v[53:56], v[41:42], off offset:96
	s_clause 0x1
	global_load_b32 v133, v[45:46], off
	global_load_b32 v134, v[45:46], off offset:32
	v_add_co_u32 v45, s1, 0x80, v45
	s_delay_alu instid0(VALU_DEP_1)
	v_add_co_ci_u32_e64 v46, s1, 0, v46, s1
	s_waitcnt vmcnt(7)
	v_subrev_nc_u32_e32 v48, s12, v48
	s_waitcnt vmcnt(6)
	v_cvt_f64_f32_e32 v[109:110], v4
	v_cvt_f64_f32_e32 v[4:5], v5
	s_waitcnt vmcnt(4)
	v_subrev_nc_u32_e32 v105, s12, v105
	v_cvt_f64_f32_e32 v[111:112], v0
	v_lshlrev_b32_e32 v57, 2, v48
	v_cvt_f64_f32_e32 v[0:1], v1
	s_waitcnt vmcnt(3)
	v_cvt_f64_f32_e32 v[48:49], v49
	v_lshlrev_b32_e32 v105, 2, v105
	v_cvt_f64_f32_e32 v[113:114], v50
	v_ashrrev_i32_e32 v58, 31, v57
	s_waitcnt vmcnt(2)
	v_cvt_f64_f32_e32 v[115:116], v53
	v_cvt_f64_f32_e32 v[53:54], v54
	v_ashrrev_i32_e32 v106, 31, v105
	v_cvt_f64_f32_e32 v[119:120], v7
	v_lshlrev_b64 v[57:58], 4, v[57:58]
	v_cvt_f64_f32_e32 v[121:122], v2
	v_cvt_f64_f32_e32 v[123:124], v3
	v_lshlrev_b64 v[105:106], 4, v[105:106]
	v_cvt_f64_f32_e32 v[50:51], v51
	v_cvt_f64_f32_e32 v[125:126], v52
	s_waitcnt lgkmcnt(0)
	v_add_co_u32 v85, vcc_lo, s4, v57
	v_add_co_ci_u32_e32 v86, vcc_lo, s5, v58, vcc_lo
	v_add_co_u32 v117, vcc_lo, s4, v105
	v_add_co_ci_u32_e32 v118, vcc_lo, s5, v106, vcc_lo
	s_clause 0x1
	global_load_b128 v[57:60], v[85:86], off
	global_load_b128 v[61:64], v[85:86], off offset:16
	s_clause 0x3
	global_load_b128 v[65:68], v[41:42], off offset:16
	global_load_b128 v[69:72], v[41:42], off offset:48
	;; [unrolled: 1-line block ×4, first 2 shown]
	s_clause 0x1
	global_load_b128 v[81:84], v[85:86], off offset:32
	global_load_b128 v[85:88], v[85:86], off offset:48
	s_clause 0x3
	global_load_b128 v[89:92], v[41:42], off offset:1024
	global_load_b128 v[93:96], v[41:42], off offset:1056
	;; [unrolled: 1-line block ×4, first 2 shown]
	v_cvt_f64_f32_e32 v[127:128], v55
	v_cvt_f64_f32_e32 v[55:56], v56
	global_load_b128 v[105:108], v[117:118], off
	s_waitcnt vmcnt(12)
	v_fma_f64 v[29:30], v[109:110], v[57:58], v[29:30]
	v_fma_f64 v[14:15], v[4:5], v[57:58], v[14:15]
	;; [unrolled: 1-line block ×8, first 2 shown]
	v_cvt_f64_f32_e32 v[57:58], v6
	s_waitcnt vmcnt(8)
	v_cvt_f64_f32_e32 v[129:130], v73
	v_cvt_f64_f32_e32 v[73:74], v74
	s_waitcnt vmcnt(7)
	v_cvt_f64_f32_e32 v[131:132], v77
	v_cvt_f64_f32_e32 v[77:78], v78
	v_fma_f64 v[4:5], -v[4:5], v[59:60], v[29:30]
	v_fma_f64 v[6:7], v[109:110], v[59:60], v[14:15]
	v_fma_f64 v[14:15], -v[0:1], v[59:60], v[35:36]
	global_load_b128 v[0:3], v[117:118], off offset:16
	v_fma_f64 v[27:28], v[111:112], v[59:60], v[27:28]
	v_fma_f64 v[29:30], -v[113:114], v[59:60], v[37:38]
	v_fma_f64 v[33:34], v[48:49], v[59:60], v[33:34]
	v_fma_f64 v[25:26], -v[53:54], v[59:60], v[25:26]
	v_fma_f64 v[31:32], v[115:116], v[59:60], v[31:32]
	v_cvt_f64_f32_e32 v[113:114], v65
	v_cvt_f64_f32_e32 v[65:66], v66
	;; [unrolled: 1-line block ×4, first 2 shown]
	v_fma_f64 v[37:38], v[57:58], v[61:62], v[4:5]
	v_fma_f64 v[48:49], v[119:120], v[61:62], v[6:7]
	;; [unrolled: 1-line block ×8, first 2 shown]
	s_clause 0x3
	global_load_b128 v[4:7], v[41:42], off offset:1040
	global_load_b128 v[25:28], v[41:42], off offset:1072
	;; [unrolled: 1-line block ×4, first 2 shown]
	v_fma_f64 v[37:38], -v[119:120], v[63:64], v[37:38]
	v_fma_f64 v[57:58], v[57:58], v[63:64], v[48:49]
	v_fma_f64 v[14:15], -v[123:124], v[63:64], v[14:15]
	v_cvt_f64_f32_e32 v[119:120], v72
	v_fma_f64 v[52:53], v[121:122], v[63:64], v[52:53]
	v_fma_f64 v[59:60], -v[125:126], v[63:64], v[59:60]
	v_fma_f64 v[109:110], v[50:51], v[63:64], v[109:110]
	v_fma_f64 v[54:55], -v[55:56], v[63:64], v[111:112]
	v_fma_f64 v[61:62], v[127:128], v[63:64], v[61:62]
	global_load_b128 v[48:51], v[117:118], off offset:32
	v_cvt_f64_f32_e32 v[111:112], v71
	v_cvt_f64_f32_e32 v[121:122], v75
	;; [unrolled: 1-line block ×5, first 2 shown]
	s_waitcnt vmcnt(9)
	v_cvt_f64_f32_e32 v[125:126], v93
	v_cvt_f64_f32_e32 v[93:94], v94
	s_waitcnt vmcnt(8)
	v_cvt_f64_f32_e32 v[127:128], v97
	v_cvt_f64_f32_e32 v[97:98], v98
	v_fma_f64 v[37:38], v[113:114], v[81:82], v[37:38]
	v_fma_f64 v[56:57], v[65:66], v[81:82], v[57:58]
	;; [unrolled: 1-line block ×8, first 2 shown]
	v_cvt_f64_f32_e32 v[81:82], v67
	v_cvt_f64_f32_e32 v[109:110], v68
	v_fma_f64 v[37:38], -v[65:66], v[83:84], v[37:38]
	v_fma_f64 v[56:57], v[113:114], v[83:84], v[56:57]
	v_fma_f64 v[14:15], -v[69:70], v[83:84], v[14:15]
	v_fma_f64 v[65:66], v[115:116], v[83:84], v[52:53]
	;; [unrolled: 2-line block ×3, first 2 shown]
	v_fma_f64 v[67:68], -v[77:78], v[83:84], v[54:55]
	global_load_b128 v[52:55], v[117:118], off offset:48
	v_fma_f64 v[60:61], v[131:132], v[83:84], v[60:61]
	v_subrev_nc_u32_e32 v74, s12, v133
	v_cvt_f64_f32_e32 v[117:118], v89
	v_cvt_f64_f32_e32 v[89:90], v90
	s_waitcnt vmcnt(8)
	v_cvt_f64_f32_e32 v[129:130], v101
	v_cvt_f64_f32_e32 v[101:102], v102
	v_lshlrev_b32_e32 v74, 2, v74
	v_fma_f64 v[37:38], v[81:82], v[85:86], v[37:38]
	v_fma_f64 v[72:73], v[109:110], v[85:86], v[56:57]
	;; [unrolled: 1-line block ×8, first 2 shown]
	s_clause 0x3
	global_load_b128 v[56:59], v[41:42], off offset:2048
	global_load_b128 v[60:63], v[41:42], off offset:2080
	;; [unrolled: 1-line block ×4, first 2 shown]
	v_fma_f64 v[37:38], -v[109:110], v[87:88], v[37:38]
	v_fma_f64 v[81:82], v[81:82], v[87:88], v[72:73]
	v_fma_f64 v[14:15], -v[119:120], v[87:88], v[14:15]
	v_cvt_f64_f32_e32 v[119:120], v99
	v_fma_f64 v[77:78], v[111:112], v[87:88], v[77:78]
	v_fma_f64 v[83:84], -v[75:76], v[87:88], v[83:84]
	v_fma_f64 v[109:110], v[121:122], v[87:88], v[113:114]
	v_fma_f64 v[79:80], -v[79:80], v[87:88], v[115:116]
	v_ashrrev_i32_e32 v75, 31, v74
	v_fma_f64 v[85:86], v[123:124], v[87:88], v[85:86]
	v_cvt_f64_f32_e32 v[113:114], v95
	v_cvt_f64_f32_e32 v[115:116], v96
	;; [unrolled: 1-line block ×3, first 2 shown]
	v_lshlrev_b64 v[72:73], 4, v[74:75]
	v_cvt_f64_f32_e32 v[121:122], v103
	v_cvt_f64_f32_e32 v[103:104], v104
	s_delay_alu instid0(VALU_DEP_3) | instskip(NEXT) | instid1(VALU_DEP_4)
	v_add_co_u32 v111, vcc_lo, s4, v72
	v_add_co_ci_u32_e32 v112, vcc_lo, s5, v73, vcc_lo
	global_load_b128 v[72:75], v[111:112], off
	s_waitcnt vmcnt(12)
	v_fma_f64 v[37:38], v[117:118], v[105:106], v[37:38]
	v_fma_f64 v[81:82], v[89:90], v[105:106], v[81:82]
	;; [unrolled: 1-line block ×7, first 2 shown]
	v_cvt_f64_f32_e32 v[109:110], v92
	v_fma_f64 v[85:86], v[101:102], v[105:106], v[85:86]
	v_cvt_f64_f32_e32 v[105:106], v91
	v_fma_f64 v[37:38], -v[89:90], v[107:108], v[37:38]
	v_fma_f64 v[80:81], v[117:118], v[107:108], v[81:82]
	v_fma_f64 v[14:15], -v[93:94], v[107:108], v[14:15]
	v_fma_f64 v[89:90], v[125:126], v[107:108], v[76:77]
	;; [unrolled: 2-line block ×3, first 2 shown]
	v_fma_f64 v[91:92], -v[101:102], v[107:108], v[78:79]
	global_load_b128 v[76:79], v[111:112], off offset:16
	v_fma_f64 v[84:85], v[129:130], v[107:108], v[85:86]
	s_waitcnt vmcnt(12)
	v_fma_f64 v[37:38], v[105:106], v[0:1], v[37:38]
	v_fma_f64 v[96:97], v[109:110], v[0:1], v[80:81]
	;; [unrolled: 1-line block ×8, first 2 shown]
	s_clause 0x3
	global_load_b128 v[80:83], v[41:42], off offset:2064
	global_load_b128 v[84:87], v[41:42], off offset:2096
	;; [unrolled: 1-line block ×4, first 2 shown]
	s_waitcnt vmcnt(15)
	v_cvt_f64_f32_e32 v[125:126], v4
	v_cvt_f64_f32_e32 v[4:5], v5
	s_waitcnt vmcnt(14)
	v_cvt_f64_f32_e32 v[127:128], v25
	v_cvt_f64_f32_e32 v[25:26], v26
	;; [unrolled: 3-line block ×4, first 2 shown]
	v_fma_f64 v[37:38], -v[109:110], v[2:3], v[37:38]
	v_fma_f64 v[96:97], v[105:106], v[2:3], v[96:97]
	v_fma_f64 v[14:15], -v[115:116], v[2:3], v[14:15]
	v_cvt_f64_f32_e32 v[109:110], v7
	v_fma_f64 v[101:102], v[113:114], v[2:3], v[101:102]
	v_fma_f64 v[98:99], -v[99:100], v[2:3], v[107:108]
	v_fma_f64 v[105:106], v[119:120], v[2:3], v[117:118]
	v_fma_f64 v[103:104], -v[103:104], v[2:3], v[123:124]
	v_cvt_f64_f32_e32 v[113:114], v27
	v_fma_f64 v[107:108], v[121:122], v[2:3], v[0:1]
	global_load_b128 v[0:3], v[111:112], off offset:32
	v_cvt_f64_f32_e32 v[115:116], v28
	v_cvt_f64_f32_e32 v[117:118], v31
	v_cvt_f64_f32_e32 v[119:120], v32
	v_cvt_f64_f32_e32 v[121:122], v35
	v_cvt_f64_f32_e32 v[123:124], v36
	s_waitcnt vmcnt(12)
	v_fma_f64 v[37:38], v[125:126], v[48:49], v[37:38]
	v_fma_f64 v[96:97], v[4:5], v[48:49], v[96:97]
	;; [unrolled: 1-line block ×8, first 2 shown]
	v_cvt_f64_f32_e32 v[107:108], v6
	v_fma_f64 v[27:28], -v[4:5], v[50:51], v[37:38]
	global_load_b128 v[4:7], v[111:112], off offset:48
	v_fma_f64 v[31:32], v[125:126], v[50:51], v[96:97]
	v_fma_f64 v[14:15], -v[25:26], v[50:51], v[14:15]
	v_fma_f64 v[25:26], v[127:128], v[50:51], v[100:101]
	v_fma_f64 v[29:30], -v[29:30], v[50:51], v[98:99]
	;; [unrolled: 2-line block ×3, first 2 shown]
	v_fma_f64 v[37:38], v[131:132], v[50:51], v[48:49]
	s_waitcnt vmcnt(12)
	v_fma_f64 v[96:97], v[107:108], v[52:53], v[27:28]
	v_fma_f64 v[98:99], v[109:110], v[52:53], v[31:32]
	;; [unrolled: 1-line block ×7, first 2 shown]
	s_clause 0x3
	global_load_b128 v[25:28], v[41:42], off offset:3072
	global_load_b128 v[29:32], v[41:42], off offset:3104
	;; [unrolled: 1-line block ×4, first 2 shown]
	v_fma_f64 v[37:38], v[123:124], v[52:53], v[37:38]
	v_subrev_nc_u32_e32 v52, s12, v134
	s_delay_alu instid0(VALU_DEP_1) | instskip(NEXT) | instid1(VALU_DEP_1)
	v_lshlrev_b32_e32 v52, 2, v52
	v_ashrrev_i32_e32 v53, 31, v52
	s_waitcnt vmcnt(15)
	v_cvt_f64_f32_e32 v[125:126], v56
	v_cvt_f64_f32_e32 v[56:57], v57
	s_waitcnt vmcnt(14)
	v_cvt_f64_f32_e32 v[127:128], v60
	v_cvt_f64_f32_e32 v[60:61], v61
	;; [unrolled: 3-line block ×4, first 2 shown]
	v_lshlrev_b64 v[52:53], 4, v[52:53]
	v_cvt_f64_f32_e32 v[133:134], v71
	v_fma_f64 v[96:97], -v[109:110], v[54:55], v[96:97]
	v_fma_f64 v[98:99], v[107:108], v[54:55], v[98:99]
	v_fma_f64 v[14:15], -v[115:116], v[54:55], v[14:15]
	v_fma_f64 v[100:101], v[113:114], v[54:55], v[100:101]
	;; [unrolled: 2-line block ×3, first 2 shown]
	v_fma_f64 v[106:107], -v[123:124], v[54:55], v[111:112]
	v_add_co_u32 v108, vcc_lo, s4, v52
	v_fma_f64 v[37:38], v[121:122], v[54:55], v[37:38]
	v_add_co_ci_u32_e32 v109, vcc_lo, s5, v53, vcc_lo
	v_cvt_f64_f32_e32 v[110:111], v58
	v_cvt_f64_f32_e32 v[112:113], v59
	v_cvt_f64_f32_e32 v[114:115], v62
	global_load_b128 v[52:55], v[108:109], off
	v_cvt_f64_f32_e32 v[116:117], v63
	v_cvt_f64_f32_e32 v[118:119], v66
	;; [unrolled: 1-line block ×4, first 2 shown]
	v_add_co_u32 v43, vcc_lo, v43, 32
	v_add_co_ci_u32_e32 v44, vcc_lo, 0, v44, vcc_lo
	s_waitcnt vmcnt(12)
	v_fma_f64 v[96:97], v[125:126], v[72:73], v[96:97]
	v_fma_f64 v[98:99], v[56:57], v[72:73], v[98:99]
	;; [unrolled: 1-line block ×8, first 2 shown]
	v_fma_f64 v[62:63], -v[56:57], v[74:75], v[96:97]
	global_load_b128 v[56:59], v[108:109], off offset:16
	v_fma_f64 v[66:67], v[125:126], v[74:75], v[98:99]
	v_fma_f64 v[14:15], -v[60:61], v[74:75], v[14:15]
	v_fma_f64 v[60:61], v[127:128], v[74:75], v[100:101]
	v_fma_f64 v[64:65], -v[64:65], v[74:75], v[102:103]
	;; [unrolled: 2-line block ×3, first 2 shown]
	v_fma_f64 v[37:38], v[131:132], v[74:75], v[37:38]
	s_waitcnt vmcnt(12)
	v_fma_f64 v[96:97], v[110:111], v[76:77], v[62:63]
	v_fma_f64 v[98:99], v[112:113], v[76:77], v[66:67]
	;; [unrolled: 1-line block ×8, first 2 shown]
	s_clause 0x3
	global_load_b128 v[60:63], v[41:42], off offset:3088
	global_load_b128 v[64:67], v[41:42], off offset:3120
	;; [unrolled: 1-line block ×4, first 2 shown]
	v_add_co_u32 v41, vcc_lo, 0x1000, v41
	v_add_co_ci_u32_e32 v42, vcc_lo, 0, v42, vcc_lo
	v_cmp_ge_i64_e32 vcc_lo, v[43:44], v[10:11]
	s_waitcnt vmcnt(15)
	v_cvt_f64_f32_e32 v[124:125], v80
	v_cvt_f64_f32_e32 v[80:81], v81
	s_waitcnt vmcnt(14)
	v_cvt_f64_f32_e32 v[126:127], v84
	v_cvt_f64_f32_e32 v[84:85], v85
	;; [unrolled: 3-line block ×4, first 2 shown]
	s_or_b32 s10, vcc_lo, s10
	v_fma_f64 v[96:97], -v[112:113], v[78:79], v[96:97]
	v_cvt_f64_f32_e32 v[112:113], v90
	v_fma_f64 v[98:99], v[110:111], v[78:79], v[98:99]
	v_fma_f64 v[14:15], -v[116:117], v[78:79], v[14:15]
	v_fma_f64 v[100:101], v[114:115], v[78:79], v[100:101]
	v_fma_f64 v[102:103], -v[120:121], v[78:79], v[102:103]
	;; [unrolled: 2-line block ×3, first 2 shown]
	v_fma_f64 v[37:38], v[122:123], v[78:79], v[37:38]
	global_load_b128 v[76:79], v[108:109], off offset:32
	v_cvt_f64_f32_e32 v[110:111], v86
	v_cvt_f64_f32_e32 v[86:87], v87
	v_cvt_f64_f32_e32 v[90:91], v91
	v_cvt_f64_f32_e32 v[114:115], v94
	v_cvt_f64_f32_e32 v[94:95], v95
	s_waitcnt vmcnt(12)
	v_fma_f64 v[96:97], v[124:125], v[0:1], v[96:97]
	v_fma_f64 v[98:99], v[80:81], v[0:1], v[98:99]
	;; [unrolled: 1-line block ×8, first 2 shown]
	v_cvt_f64_f32_e32 v[37:38], v82
	v_cvt_f64_f32_e32 v[82:83], v83
	v_fma_f64 v[80:81], -v[80:81], v[2:3], v[96:97]
	v_fma_f64 v[96:97], v[124:125], v[2:3], v[98:99]
	v_fma_f64 v[14:15], -v[84:85], v[2:3], v[14:15]
	v_fma_f64 v[84:85], v[126:127], v[2:3], v[100:101]
	v_fma_f64 v[88:89], -v[88:89], v[2:3], v[102:103]
	v_fma_f64 v[98:99], v[128:129], v[2:3], v[104:105]
	v_fma_f64 v[92:93], -v[92:93], v[2:3], v[106:107]
	v_fma_f64 v[100:101], v[130:131], v[2:3], v[0:1]
	global_load_b128 v[0:3], v[108:109], off offset:48
	s_waitcnt vmcnt(12)
	v_fma_f64 v[80:81], v[37:38], v[4:5], v[80:81]
	v_fma_f64 v[96:97], v[82:83], v[4:5], v[96:97]
	;; [unrolled: 1-line block ×8, first 2 shown]
	s_waitcnt vmcnt(11)
	v_cvt_f64_f32_e32 v[100:101], v25
	v_cvt_f64_f32_e32 v[25:26], v26
	s_waitcnt vmcnt(10)
	v_cvt_f64_f32_e32 v[102:103], v29
	v_cvt_f64_f32_e32 v[29:30], v30
	;; [unrolled: 3-line block ×4, first 2 shown]
	v_fma_f64 v[80:81], -v[82:83], v[6:7], v[80:81]
	v_fma_f64 v[37:38], v[37:38], v[6:7], v[96:97]
	v_fma_f64 v[14:15], -v[86:87], v[6:7], v[14:15]
	v_fma_f64 v[82:83], v[110:111], v[6:7], v[84:85]
	;; [unrolled: 2-line block ×4, first 2 shown]
	v_cvt_f64_f32_e32 v[90:91], v35
	v_cvt_f64_f32_e32 v[35:36], v36
	;; [unrolled: 1-line block ×4, first 2 shown]
	s_waitcnt vmcnt(7)
	v_fma_f64 v[6:7], v[100:101], v[52:53], v[80:81]
	v_fma_f64 v[37:38], v[25:26], v[52:53], v[37:38]
	;; [unrolled: 1-line block ×8, first 2 shown]
	v_cvt_f64_f32_e32 v[52:53], v27
	v_cvt_f64_f32_e32 v[27:28], v28
	;; [unrolled: 1-line block ×4, first 2 shown]
	v_fma_f64 v[6:7], -v[25:26], v[54:55], v[6:7]
	v_fma_f64 v[25:26], v[100:101], v[54:55], v[37:38]
	v_fma_f64 v[14:15], -v[29:30], v[54:55], v[14:15]
	v_fma_f64 v[29:30], v[102:103], v[54:55], v[80:81]
	;; [unrolled: 2-line block ×4, first 2 shown]
	s_waitcnt vmcnt(6)
	v_fma_f64 v[6:7], v[52:53], v[56:57], v[6:7]
	v_fma_f64 v[25:26], v[27:28], v[56:57], v[25:26]
	;; [unrolled: 1-line block ×8, first 2 shown]
	s_waitcnt vmcnt(5)
	v_cvt_f64_f32_e32 v[54:55], v60
	v_cvt_f64_f32_e32 v[56:57], v61
	s_waitcnt vmcnt(4)
	v_cvt_f64_f32_e32 v[60:61], v64
	v_cvt_f64_f32_e32 v[64:65], v65
	;; [unrolled: 3-line block ×4, first 2 shown]
	v_fma_f64 v[6:7], -v[27:28], v[58:59], v[6:7]
	v_fma_f64 v[25:26], v[52:53], v[58:59], v[25:26]
	v_fma_f64 v[14:15], -v[31:32], v[58:59], v[14:15]
	v_fma_f64 v[27:28], v[88:89], v[58:59], v[29:30]
	;; [unrolled: 2-line block ×4, first 2 shown]
	v_cvt_f64_f32_e32 v[35:36], v62
	v_cvt_f64_f32_e32 v[37:38], v63
	;; [unrolled: 1-line block ×8, first 2 shown]
	s_waitcnt vmcnt(1)
	v_fma_f64 v[6:7], v[54:55], v[76:77], v[6:7]
	v_fma_f64 v[25:26], v[56:57], v[76:77], v[25:26]
	;; [unrolled: 1-line block ×8, first 2 shown]
	v_fma_f64 v[6:7], -v[56:57], v[78:79], v[6:7]
	v_fma_f64 v[25:26], v[54:55], v[78:79], v[25:26]
	v_fma_f64 v[14:15], -v[64:65], v[78:79], v[14:15]
	v_fma_f64 v[27:28], v[60:61], v[78:79], v[27:28]
	;; [unrolled: 2-line block ×4, first 2 shown]
	s_waitcnt vmcnt(0)
	v_fma_f64 v[6:7], v[35:36], v[0:1], v[6:7]
	v_fma_f64 v[25:26], v[37:38], v[0:1], v[25:26]
	;; [unrolled: 1-line block ×8, first 2 shown]
	v_fma_f64 v[29:30], -v[37:38], v[2:3], v[6:7]
	v_fma_f64 v[14:15], v[35:36], v[2:3], v[25:26]
	v_fma_f64 v[35:36], -v[50:51], v[2:3], v[54:55]
	v_fma_f64 v[27:28], v[48:49], v[2:3], v[27:28]
	;; [unrolled: 2-line block ×4, first 2 shown]
	s_and_not1_b32 exec_lo, exec_lo, s10
	s_cbranch_execnz .LBB171_23
; %bb.24:
	s_or_b32 exec_lo, exec_lo, s10
.LBB171_25:
	s_delay_alu instid0(SALU_CYCLE_1)
	s_or_b32 exec_lo, exec_lo, s7
.LBB171_26:
	s_delay_alu instid0(SALU_CYCLE_1)
	s_or_b32 exec_lo, exec_lo, s6
	s_cbranch_execz .LBB171_28
	s_branch .LBB171_39
.LBB171_27:
                                        ; implicit-def: $vgpr14_vgpr15
                                        ; implicit-def: $vgpr29_vgpr30
                                        ; implicit-def: $vgpr27_vgpr28
                                        ; implicit-def: $vgpr35_vgpr36
                                        ; implicit-def: $vgpr33_vgpr34
                                        ; implicit-def: $vgpr37_vgpr38
                                        ; implicit-def: $vgpr31_vgpr32
                                        ; implicit-def: $vgpr25_vgpr26
.LBB171_28:
	v_mov_b32_e32 v14, 0
	v_mov_b32_e32 v15, 0
	s_delay_alu instid0(VALU_DEP_1)
	v_dual_mov_b32 v30, v15 :: v_dual_mov_b32 v29, v14
	v_dual_mov_b32 v28, v15 :: v_dual_mov_b32 v27, v14
	;; [unrolled: 1-line block ×7, first 2 shown]
	s_and_saveexec_b32 s1, s0
	s_cbranch_execz .LBB171_38
; %bb.29:
	v_or_b32_e32 v0, 8, v47
	v_not_b32_e32 v3, v39
	v_not_b32_e32 v2, v40
	s_mov_b32 s7, 0
	s_mov_b32 s6, exec_lo
	v_sub_co_u32 v0, s0, v0, s12
	s_delay_alu instid0(VALU_DEP_1) | instskip(SKIP_1) | instid1(VALU_DEP_3)
	v_sub_co_ci_u32_e64 v1, null, 0, 0, s0
	v_sub_co_u32 v4, s0, s12, v47
	v_add_co_u32 v0, vcc_lo, v0, v39
	s_delay_alu instid0(VALU_DEP_3) | instskip(SKIP_1) | instid1(VALU_DEP_2)
	v_add_co_ci_u32_e32 v1, vcc_lo, v1, v40, vcc_lo
	v_sub_co_ci_u32_e64 v5, null, 0, 0, s0
	v_cmp_gt_i64_e32 vcc_lo, v[0:1], v[10:11]
	v_dual_cndmask_b32 v1, v11, v1 :: v_dual_cndmask_b32 v0, v10, v0
	v_add_co_u32 v3, vcc_lo, v4, v3
	s_delay_alu instid0(VALU_DEP_4) | instskip(NEXT) | instid1(VALU_DEP_2)
	v_add_co_ci_u32_e32 v2, vcc_lo, v5, v2, vcc_lo
	v_add_co_u32 v0, vcc_lo, v3, v0
	s_delay_alu instid0(VALU_DEP_2) | instskip(NEXT) | instid1(VALU_DEP_2)
	v_add_co_ci_u32_e32 v1, vcc_lo, v2, v1, vcc_lo
	v_lshrrev_b32_e32 v2, 3, v0
	v_mov_b32_e32 v25, 0
	v_mov_b32_e32 v26, 0
	s_delay_alu instid0(VALU_DEP_2) | instskip(NEXT) | instid1(VALU_DEP_2)
	v_mov_b32_e32 v14, v25
	v_dual_mov_b32 v15, v26 :: v_dual_add_nc_u32 v2, 1, v2
	v_mov_b32_e32 v34, v26
	v_mov_b32_e32 v36, v26
	;; [unrolled: 1-line block ×3, first 2 shown]
	v_dual_mov_b32 v30, v26 :: v_dual_mov_b32 v29, v25
	v_dual_mov_b32 v32, v26 :: v_dual_mov_b32 v31, v25
	;; [unrolled: 1-line block ×3, first 2 shown]
	v_dual_mov_b32 v33, v25 :: v_dual_and_b32 v2, 3, v2
	v_mov_b32_e32 v35, v25
	v_mov_b32_e32 v27, v25
	s_delay_alu instid0(VALU_DEP_3)
	v_cmpx_ne_u32_e32 0, v2
	s_cbranch_execz .LBB171_33
; %bb.30:
	v_lshlrev_b64 v[4:5], 2, v[8:9]
	v_dual_mov_b32 v3, 0 :: v_dual_mov_b32 v14, 0
	v_dual_mov_b32 v15, 0 :: v_dual_lshlrev_b32 v2, 2, v2
	s_delay_alu instid0(VALU_DEP_3) | instskip(NEXT) | instid1(VALU_DEP_4)
	v_add_co_u32 v4, vcc_lo, s8, v4
	v_add_co_ci_u32_e32 v5, vcc_lo, s9, v5, vcc_lo
	s_delay_alu instid0(VALU_DEP_3)
	v_dual_mov_b32 v30, v15 :: v_dual_mov_b32 v29, v14
	v_dual_mov_b32 v28, v15 :: v_dual_mov_b32 v27, v14
	;; [unrolled: 1-line block ×7, first 2 shown]
.LBB171_31:                             ; =>This Inner Loop Header: Depth=1
	global_load_b32 v6, v[4:5], off
	s_clause 0x1
	global_load_b128 v[39:42], v[12:13], off
	global_load_b128 v[43:46], v[12:13], off offset:16
	v_add_co_u32 v4, s0, v4, 32
	s_delay_alu instid0(VALU_DEP_1)
	v_add_co_ci_u32_e64 v5, s0, 0, v5, s0
	s_waitcnt vmcnt(2)
	v_subrev_nc_u32_e32 v6, s12, v6
	s_waitcnt vmcnt(1)
	v_cvt_f64_f32_e32 v[88:89], v41
	v_cvt_f64_f32_e32 v[41:42], v42
	s_waitcnt vmcnt(0)
	v_cvt_f64_f32_e32 v[90:91], v43
	v_cvt_f64_f32_e32 v[43:44], v44
	v_lshlrev_b32_e32 v6, 2, v6
	v_cvt_f64_f32_e32 v[92:93], v45
	v_cvt_f64_f32_e32 v[45:46], v46
	s_delay_alu instid0(VALU_DEP_3) | instskip(NEXT) | instid1(VALU_DEP_1)
	v_ashrrev_i32_e32 v7, 31, v6
	v_lshlrev_b64 v[6:7], 4, v[6:7]
	s_waitcnt lgkmcnt(0)
	s_delay_alu instid0(VALU_DEP_1) | instskip(NEXT) | instid1(VALU_DEP_2)
	v_add_co_u32 v6, vcc_lo, s4, v6
	v_add_co_ci_u32_e32 v7, vcc_lo, s5, v7, vcc_lo
	s_clause 0x1
	global_load_b128 v[48:51], v[6:7], off
	global_load_b128 v[52:55], v[6:7], off offset:16
	s_clause 0x3
	global_load_b128 v[56:59], v[12:13], off offset:32
	global_load_b128 v[60:63], v[12:13], off offset:48
	;; [unrolled: 1-line block ×4, first 2 shown]
	s_clause 0x1
	global_load_b128 v[72:75], v[6:7], off offset:32
	global_load_b128 v[76:79], v[6:7], off offset:48
	s_clause 0x1
	global_load_b128 v[80:83], v[12:13], off offset:96
	global_load_b128 v[84:87], v[12:13], off offset:112
	v_cvt_f64_f32_e32 v[6:7], v39
	v_cvt_f64_f32_e32 v[39:40], v40
	v_add_co_u32 v12, vcc_lo, 0x400, v12
	v_add_co_ci_u32_e32 v13, vcc_lo, 0, v13, vcc_lo
	v_add_co_u32 v2, vcc_lo, v2, -4
	v_add_co_ci_u32_e32 v3, vcc_lo, -1, v3, vcc_lo
	v_add_co_u32 v8, vcc_lo, v8, 8
	v_add_co_ci_u32_e32 v9, vcc_lo, 0, v9, vcc_lo
	s_delay_alu instid0(VALU_DEP_3)
	v_cmp_eq_u64_e32 vcc_lo, 0, v[2:3]
	s_or_b32 s7, vcc_lo, s7
	s_waitcnt vmcnt(9)
	v_fma_f64 v[29:30], v[6:7], v[48:49], v[29:30]
	v_fma_f64 v[14:15], v[39:40], v[48:49], v[14:15]
	;; [unrolled: 1-line block ×8, first 2 shown]
	s_waitcnt vmcnt(7)
	v_cvt_f64_f32_e32 v[48:49], v56
	v_cvt_f64_f32_e32 v[56:57], v57
	;; [unrolled: 1-line block ×4, first 2 shown]
	s_waitcnt vmcnt(6)
	v_cvt_f64_f32_e32 v[96:97], v60
	v_cvt_f64_f32_e32 v[60:61], v61
	;; [unrolled: 1-line block ×4, first 2 shown]
	v_fma_f64 v[29:30], -v[39:40], v[50:51], v[29:30]
	v_fma_f64 v[6:7], v[6:7], v[50:51], v[14:15]
	v_fma_f64 v[14:15], -v[41:42], v[50:51], v[35:36]
	v_fma_f64 v[27:28], v[88:89], v[50:51], v[27:28]
	;; [unrolled: 2-line block ×4, first 2 shown]
	s_waitcnt vmcnt(5)
	v_cvt_f64_f32_e32 v[37:38], v64
	v_cvt_f64_f32_e32 v[39:40], v65
	;; [unrolled: 1-line block ×4, first 2 shown]
	s_waitcnt vmcnt(4)
	v_cvt_f64_f32_e32 v[45:46], v68
	v_cvt_f64_f32_e32 v[50:51], v69
	;; [unrolled: 1-line block ×3, first 2 shown]
	s_waitcnt vmcnt(0)
	v_cvt_f64_f32_e32 v[66:67], v86
	v_cvt_f64_f32_e32 v[68:69], v87
	v_fma_f64 v[29:30], v[48:49], v[52:53], v[29:30]
	v_fma_f64 v[6:7], v[56:57], v[52:53], v[6:7]
	;; [unrolled: 1-line block ×8, first 2 shown]
	v_cvt_f64_f32_e32 v[52:53], v70
	v_fma_f64 v[29:30], -v[56:57], v[54:55], v[29:30]
	v_fma_f64 v[6:7], v[48:49], v[54:55], v[6:7]
	v_fma_f64 v[14:15], -v[58:59], v[54:55], v[14:15]
	v_fma_f64 v[27:28], v[94:95], v[54:55], v[27:28]
	v_fma_f64 v[35:36], -v[60:61], v[54:55], v[35:36]
	v_fma_f64 v[33:34], v[96:97], v[54:55], v[33:34]
	v_fma_f64 v[25:26], -v[62:63], v[54:55], v[25:26]
	v_fma_f64 v[31:32], v[98:99], v[54:55], v[31:32]
	v_cvt_f64_f32_e32 v[48:49], v80
	v_cvt_f64_f32_e32 v[54:55], v81
	;; [unrolled: 1-line block ×6, first 2 shown]
	v_fma_f64 v[29:30], v[37:38], v[72:73], v[29:30]
	v_fma_f64 v[6:7], v[39:40], v[72:73], v[6:7]
	;; [unrolled: 1-line block ×8, first 2 shown]
	v_fma_f64 v[29:30], -v[39:40], v[74:75], v[29:30]
	v_fma_f64 v[6:7], v[37:38], v[74:75], v[6:7]
	v_fma_f64 v[14:15], -v[43:44], v[74:75], v[14:15]
	v_fma_f64 v[27:28], v[41:42], v[74:75], v[27:28]
	;; [unrolled: 2-line block ×4, first 2 shown]
	v_fma_f64 v[29:30], v[48:49], v[76:77], v[29:30]
	v_fma_f64 v[6:7], v[54:55], v[76:77], v[6:7]
	;; [unrolled: 1-line block ×8, first 2 shown]
	v_fma_f64 v[29:30], -v[54:55], v[78:79], v[29:30]
	v_fma_f64 v[14:15], v[48:49], v[78:79], v[6:7]
	v_fma_f64 v[35:36], -v[58:59], v[78:79], v[37:38]
	v_fma_f64 v[27:28], v[56:57], v[78:79], v[27:28]
	v_fma_f64 v[37:38], -v[62:63], v[78:79], v[39:40]
	v_fma_f64 v[33:34], v[60:61], v[78:79], v[33:34]
	v_fma_f64 v[25:26], -v[68:69], v[78:79], v[25:26]
	v_fma_f64 v[31:32], v[66:67], v[78:79], v[31:32]
	s_and_not1_b32 exec_lo, exec_lo, s7
	s_cbranch_execnz .LBB171_31
; %bb.32:
	s_or_b32 exec_lo, exec_lo, s7
.LBB171_33:
	s_delay_alu instid0(SALU_CYCLE_1) | instskip(NEXT) | instid1(SALU_CYCLE_1)
	s_or_b32 exec_lo, exec_lo, s6
	s_mov_b32 s6, exec_lo
	v_cmpx_lt_u64_e32 23, v[0:1]
	s_cbranch_execz .LBB171_37
; %bb.34:
	v_lshlrev_b64 v[0:1], 2, v[8:9]
	s_mov_b32 s7, 0
	s_delay_alu instid0(VALU_DEP_1) | instskip(NEXT) | instid1(VALU_DEP_2)
	v_add_co_u32 v0, vcc_lo, v0, s8
	v_add_co_ci_u32_e32 v1, vcc_lo, s9, v1, vcc_lo
	s_delay_alu instid0(VALU_DEP_2) | instskip(NEXT) | instid1(VALU_DEP_2)
	v_add_co_u32 v0, vcc_lo, v0, 64
	v_add_co_ci_u32_e32 v1, vcc_lo, 0, v1, vcc_lo
.LBB171_35:                             ; =>This Inner Loop Header: Depth=1
	global_load_b32 v6, v[0:1], off offset:-64
	global_load_b128 v[2:5], v[12:13], off
	global_load_b32 v98, v[0:1], off offset:-32
	global_load_b128 v[39:42], v[12:13], off offset:16
	s_clause 0x1
	global_load_b32 v118, v[0:1], off
	global_load_b32 v126, v[0:1], off offset:32
	v_add_co_u32 v0, s0, 0x80, v0
	s_delay_alu instid0(VALU_DEP_1)
	v_add_co_ci_u32_e64 v1, s0, 0, v1, s0
	s_waitcnt vmcnt(5)
	v_subrev_nc_u32_e32 v6, s12, v6
	s_waitcnt vmcnt(4)
	v_cvt_f64_f32_e32 v[92:93], v3
	v_cvt_f64_f32_e32 v[94:95], v4
	;; [unrolled: 1-line block ×3, first 2 shown]
	s_waitcnt vmcnt(2)
	v_cvt_f64_f32_e32 v[100:101], v41
	v_lshlrev_b32_e32 v6, 2, v6
	v_cvt_f64_f32_e32 v[41:42], v42
	s_delay_alu instid0(VALU_DEP_2) | instskip(NEXT) | instid1(VALU_DEP_1)
	v_ashrrev_i32_e32 v7, 31, v6
	v_lshlrev_b64 v[6:7], 4, v[6:7]
	s_waitcnt lgkmcnt(0)
	s_delay_alu instid0(VALU_DEP_1) | instskip(NEXT) | instid1(VALU_DEP_2)
	v_add_co_u32 v6, vcc_lo, s4, v6
	v_add_co_ci_u32_e32 v7, vcc_lo, s5, v7, vcc_lo
	s_clause 0x1
	global_load_b128 v[43:46], v[6:7], off
	global_load_b128 v[48:51], v[6:7], off offset:16
	s_clause 0x3
	global_load_b128 v[52:55], v[12:13], off offset:32
	global_load_b128 v[56:59], v[12:13], off offset:48
	;; [unrolled: 1-line block ×5, first 2 shown]
	s_clause 0x1
	global_load_b128 v[72:75], v[12:13], off offset:96
	global_load_b128 v[76:79], v[12:13], off offset:112
	;; [unrolled: 1-line block ×3, first 2 shown]
	s_clause 0x1
	global_load_b128 v[84:87], v[12:13], off offset:1024
	global_load_b128 v[88:91], v[12:13], off offset:1040
	v_cvt_f64_f32_e32 v[6:7], v2
	v_subrev_nc_u32_e32 v2, s12, v98
	v_cvt_f64_f32_e32 v[98:99], v39
	v_cvt_f64_f32_e32 v[39:40], v40
	s_delay_alu instid0(VALU_DEP_3) | instskip(NEXT) | instid1(VALU_DEP_1)
	v_lshlrev_b32_e32 v2, 2, v2
	v_ashrrev_i32_e32 v3, 31, v2
	s_delay_alu instid0(VALU_DEP_1) | instskip(NEXT) | instid1(VALU_DEP_1)
	v_lshlrev_b64 v[2:3], 4, v[2:3]
	v_add_co_u32 v102, vcc_lo, s4, v2
	s_delay_alu instid0(VALU_DEP_2)
	v_add_co_ci_u32_e32 v103, vcc_lo, s5, v3, vcc_lo
	global_load_b128 v[2:5], v[102:103], off
	s_waitcnt vmcnt(12)
	v_fma_f64 v[104:105], v[6:7], v[43:44], v[29:30]
	v_fma_f64 v[14:15], v[92:93], v[43:44], v[14:15]
	;; [unrolled: 1-line block ×8, first 2 shown]
	s_clause 0x1
	global_load_b128 v[25:28], v[12:13], off offset:1056
	global_load_b128 v[29:32], v[12:13], off offset:1072
	s_waitcnt vmcnt(12)
	v_cvt_f64_f32_e32 v[110:111], v52
	v_cvt_f64_f32_e32 v[52:53], v53
	;; [unrolled: 1-line block ×4, first 2 shown]
	s_waitcnt vmcnt(11)
	v_cvt_f64_f32_e32 v[114:115], v56
	v_cvt_f64_f32_e32 v[56:57], v57
	;; [unrolled: 1-line block ×4, first 2 shown]
	v_fma_f64 v[92:93], -v[92:93], v[45:46], v[104:105]
	v_fma_f64 v[6:7], v[6:7], v[45:46], v[14:15]
	v_fma_f64 v[14:15], -v[96:97], v[45:46], v[35:36]
	v_fma_f64 v[94:95], v[94:95], v[45:46], v[106:107]
	;; [unrolled: 2-line block ×4, first 2 shown]
	global_load_b128 v[33:36], v[102:103], off offset:16
	s_waitcnt vmcnt(11)
	v_cvt_f64_f32_e32 v[100:101], v60
	v_cvt_f64_f32_e32 v[60:61], v61
	;; [unrolled: 1-line block ×4, first 2 shown]
	s_waitcnt vmcnt(10)
	v_cvt_f64_f32_e32 v[106:107], v64
	v_cvt_f64_f32_e32 v[64:65], v65
	;; [unrolled: 1-line block ×4, first 2 shown]
	v_fma_f64 v[45:46], v[110:111], v[48:49], v[92:93]
	v_fma_f64 v[6:7], v[52:53], v[48:49], v[6:7]
	;; [unrolled: 1-line block ×8, first 2 shown]
	s_clause 0x1
	global_load_b128 v[37:40], v[12:13], off offset:1088
	global_load_b128 v[41:44], v[12:13], off offset:1104
	v_fma_f64 v[45:46], -v[52:53], v[50:51], v[45:46]
	v_fma_f64 v[6:7], v[110:111], v[50:51], v[6:7]
	v_fma_f64 v[14:15], -v[54:55], v[50:51], v[14:15]
	v_fma_f64 v[52:53], v[112:113], v[50:51], v[92:93]
	;; [unrolled: 2-line block ×4, first 2 shown]
	global_load_b128 v[48:51], v[102:103], off offset:32
	s_waitcnt vmcnt(11)
	v_cvt_f64_f32_e32 v[112:113], v74
	v_cvt_f64_f32_e32 v[74:75], v75
	s_waitcnt vmcnt(10)
	v_cvt_f64_f32_e32 v[114:115], v76
	v_cvt_f64_f32_e32 v[76:77], v77
	;; [unrolled: 1-line block ×4, first 2 shown]
	v_fma_f64 v[45:46], v[100:101], v[68:69], v[45:46]
	v_fma_f64 v[6:7], v[60:61], v[68:69], v[6:7]
	;; [unrolled: 1-line block ×8, first 2 shown]
	s_clause 0x1
	global_load_b128 v[52:55], v[12:13], off offset:1120
	global_load_b128 v[56:59], v[12:13], off offset:1136
	v_cvt_f64_f32_e32 v[92:93], v72
	v_cvt_f64_f32_e32 v[72:73], v73
	v_fma_f64 v[45:46], -v[60:61], v[70:71], v[45:46]
	v_fma_f64 v[6:7], v[100:101], v[70:71], v[6:7]
	v_fma_f64 v[14:15], -v[62:63], v[70:71], v[14:15]
	v_fma_f64 v[94:95], v[104:105], v[70:71], v[94:95]
	;; [unrolled: 2-line block ×4, first 2 shown]
	global_load_b128 v[60:63], v[102:103], off offset:48
	v_subrev_nc_u32_e32 v110, s12, v118
	s_waitcnt vmcnt(11)
	v_cvt_f64_f32_e32 v[102:103], v84
	v_cvt_f64_f32_e32 v[84:85], v85
	v_cvt_f64_f32_e32 v[104:105], v86
	v_cvt_f64_f32_e32 v[86:87], v87
	v_lshlrev_b32_e32 v110, 2, v110
	s_waitcnt vmcnt(10)
	v_cvt_f64_f32_e32 v[106:107], v88
	v_cvt_f64_f32_e32 v[88:89], v89
	;; [unrolled: 1-line block ×4, first 2 shown]
	v_ashrrev_i32_e32 v111, 31, v110
	v_fma_f64 v[45:46], v[92:93], v[80:81], v[45:46]
	v_fma_f64 v[6:7], v[72:73], v[80:81], v[6:7]
	;; [unrolled: 1-line block ×8, first 2 shown]
	s_clause 0x1
	global_load_b128 v[64:67], v[12:13], off offset:2048
	global_load_b128 v[68:71], v[12:13], off offset:2064
	v_fma_f64 v[45:46], -v[72:73], v[82:83], v[45:46]
	v_fma_f64 v[6:7], v[92:93], v[82:83], v[6:7]
	v_fma_f64 v[14:15], -v[74:75], v[82:83], v[14:15]
	v_fma_f64 v[92:93], v[112:113], v[82:83], v[94:95]
	;; [unrolled: 2-line block ×4, first 2 shown]
	v_lshlrev_b64 v[72:73], 4, v[110:111]
	s_delay_alu instid0(VALU_DEP_1) | instskip(NEXT) | instid1(VALU_DEP_2)
	v_add_co_u32 v96, vcc_lo, s4, v72
	v_add_co_ci_u32_e32 v97, vcc_lo, s5, v73, vcc_lo
	global_load_b128 v[72:75], v[96:97], off
	s_waitcnt vmcnt(12)
	v_fma_f64 v[45:46], v[102:103], v[2:3], v[45:46]
	v_fma_f64 v[6:7], v[84:85], v[2:3], v[6:7]
	v_fma_f64 v[14:15], v[104:105], v[2:3], v[14:15]
	v_fma_f64 v[92:93], v[86:87], v[2:3], v[92:93]
	v_fma_f64 v[98:99], v[106:107], v[2:3], v[76:77]
	v_fma_f64 v[94:95], v[88:89], v[2:3], v[94:95]
	v_fma_f64 v[100:101], v[108:109], v[2:3], v[78:79]
	v_fma_f64 v[2:3], v[90:91], v[2:3], v[80:81]
	s_clause 0x1
	global_load_b128 v[76:79], v[12:13], off offset:2080
	global_load_b128 v[80:83], v[12:13], off offset:2096
	s_waitcnt vmcnt(13)
	v_cvt_f64_f32_e32 v[110:111], v25
	v_cvt_f64_f32_e32 v[112:113], v26
	v_cvt_f64_f32_e32 v[114:115], v27
	v_cvt_f64_f32_e32 v[116:117], v28
	s_waitcnt vmcnt(12)
	v_cvt_f64_f32_e32 v[118:119], v29
	v_cvt_f64_f32_e32 v[120:121], v30
	v_cvt_f64_f32_e32 v[122:123], v31
	v_cvt_f64_f32_e32 v[124:125], v32
	v_fma_f64 v[25:26], -v[84:85], v[4:5], v[45:46]
	v_fma_f64 v[6:7], v[102:103], v[4:5], v[6:7]
	v_fma_f64 v[14:15], -v[86:87], v[4:5], v[14:15]
	v_fma_f64 v[27:28], v[104:105], v[4:5], v[92:93]
	v_fma_f64 v[29:30], -v[88:89], v[4:5], v[98:99]
	v_fma_f64 v[31:32], v[106:107], v[4:5], v[94:95]
	v_fma_f64 v[45:46], -v[90:91], v[4:5], v[100:101]
	v_fma_f64 v[84:85], v[108:109], v[4:5], v[2:3]
	global_load_b128 v[2:5], v[96:97], off offset:16
	s_waitcnt vmcnt(12)
	v_fma_f64 v[86:87], v[110:111], v[33:34], v[25:26]
	v_fma_f64 v[6:7], v[112:113], v[33:34], v[6:7]
	v_fma_f64 v[14:15], v[114:115], v[33:34], v[14:15]
	v_fma_f64 v[88:89], v[116:117], v[33:34], v[27:28]
	v_fma_f64 v[90:91], v[118:119], v[33:34], v[29:30]
	v_fma_f64 v[92:93], v[120:121], v[33:34], v[31:32]
	v_fma_f64 v[45:46], v[122:123], v[33:34], v[45:46]
	v_fma_f64 v[33:34], v[124:125], v[33:34], v[84:85]
	s_clause 0x1
	global_load_b128 v[25:28], v[12:13], off offset:2112
	global_load_b128 v[29:32], v[12:13], off offset:2128
	s_waitcnt vmcnt(13)
	v_cvt_f64_f32_e32 v[84:85], v37
	v_cvt_f64_f32_e32 v[94:95], v38
	v_cvt_f64_f32_e32 v[98:99], v39
	v_cvt_f64_f32_e32 v[100:101], v40
	s_waitcnt vmcnt(12)
	v_cvt_f64_f32_e32 v[102:103], v41
	v_cvt_f64_f32_e32 v[104:105], v42
	v_cvt_f64_f32_e32 v[106:107], v43
	v_cvt_f64_f32_e32 v[108:109], v44
	v_fma_f64 v[37:38], -v[112:113], v[35:36], v[86:87]
	v_fma_f64 v[6:7], v[110:111], v[35:36], v[6:7]
	v_fma_f64 v[14:15], -v[116:117], v[35:36], v[14:15]
	v_fma_f64 v[39:40], v[114:115], v[35:36], v[88:89]
	v_fma_f64 v[41:42], -v[120:121], v[35:36], v[90:91]
	v_fma_f64 v[43:44], v[118:119], v[35:36], v[92:93]
	v_fma_f64 v[45:46], -v[124:125], v[35:36], v[45:46]
	v_fma_f64 v[86:87], v[122:123], v[35:36], v[33:34]
	global_load_b128 v[33:36], v[96:97], off offset:32
	;; [unrolled: 31-line block ×3, first 2 shown]
	s_waitcnt vmcnt(12)
	v_fma_f64 v[88:89], v[86:87], v[60:61], v[52:53]
	v_fma_f64 v[6:7], v[112:113], v[60:61], v[6:7]
	;; [unrolled: 1-line block ×8, first 2 shown]
	s_clause 0x1
	global_load_b128 v[52:55], v[12:13], off offset:3072
	global_load_b128 v[56:59], v[12:13], off offset:3088
	s_waitcnt vmcnt(13)
	v_cvt_f64_f32_e32 v[84:85], v64
	v_subrev_nc_u32_e32 v64, s12, v126
	v_cvt_f64_f32_e32 v[96:97], v65
	v_cvt_f64_f32_e32 v[98:99], v66
	;; [unrolled: 1-line block ×3, first 2 shown]
	s_waitcnt vmcnt(12)
	v_cvt_f64_f32_e32 v[102:103], v68
	v_lshlrev_b32_e32 v64, 2, v64
	v_cvt_f64_f32_e32 v[104:105], v69
	v_cvt_f64_f32_e32 v[106:107], v70
	;; [unrolled: 1-line block ×3, first 2 shown]
	s_delay_alu instid0(VALU_DEP_4)
	v_ashrrev_i32_e32 v65, 31, v64
	v_fma_f64 v[66:67], -v[112:113], v[62:63], v[88:89]
	v_fma_f64 v[6:7], v[86:87], v[62:63], v[6:7]
	v_fma_f64 v[14:15], -v[116:117], v[62:63], v[14:15]
	v_fma_f64 v[68:69], v[114:115], v[62:63], v[90:91]
	;; [unrolled: 2-line block ×4, first 2 shown]
	v_lshlrev_b64 v[60:61], 4, v[64:65]
	s_delay_alu instid0(VALU_DEP_1) | instskip(NEXT) | instid1(VALU_DEP_2)
	v_add_co_u32 v90, vcc_lo, s4, v60
	v_add_co_ci_u32_e32 v91, vcc_lo, s5, v61, vcc_lo
	v_add_co_u32 v8, vcc_lo, v8, 32
	v_add_co_ci_u32_e32 v9, vcc_lo, 0, v9, vcc_lo
	global_load_b128 v[60:63], v[90:91], off
	s_waitcnt vmcnt(12)
	v_fma_f64 v[92:93], v[84:85], v[72:73], v[66:67]
	v_fma_f64 v[6:7], v[96:97], v[72:73], v[6:7]
	;; [unrolled: 1-line block ×8, first 2 shown]
	s_clause 0x1
	global_load_b128 v[64:67], v[12:13], off offset:3104
	global_load_b128 v[68:71], v[12:13], off offset:3120
	s_waitcnt vmcnt(13)
	v_cvt_f64_f32_e32 v[88:89], v76
	v_cvt_f64_f32_e32 v[112:113], v77
	v_cvt_f64_f32_e32 v[114:115], v78
	v_cvt_f64_f32_e32 v[116:117], v79
	s_waitcnt vmcnt(12)
	v_cvt_f64_f32_e32 v[118:119], v80
	v_cvt_f64_f32_e32 v[120:121], v81
	;; [unrolled: 1-line block ×4, first 2 shown]
	v_fma_f64 v[76:77], -v[96:97], v[74:75], v[92:93]
	v_fma_f64 v[6:7], v[84:85], v[74:75], v[6:7]
	v_fma_f64 v[14:15], -v[100:101], v[74:75], v[14:15]
	v_fma_f64 v[78:79], v[98:99], v[74:75], v[94:95]
	;; [unrolled: 2-line block ×4, first 2 shown]
	global_load_b128 v[72:75], v[90:91], off offset:16
	s_waitcnt vmcnt(12)
	v_fma_f64 v[86:87], v[88:89], v[2:3], v[76:77]
	v_fma_f64 v[6:7], v[112:113], v[2:3], v[6:7]
	;; [unrolled: 1-line block ×8, first 2 shown]
	s_clause 0x1
	global_load_b128 v[76:79], v[12:13], off offset:3136
	global_load_b128 v[80:83], v[12:13], off offset:3152
	s_waitcnt vmcnt(13)
	v_cvt_f64_f32_e32 v[84:85], v25
	v_cvt_f64_f32_e32 v[98:99], v26
	;; [unrolled: 1-line block ×4, first 2 shown]
	s_waitcnt vmcnt(12)
	v_cvt_f64_f32_e32 v[104:105], v29
	v_cvt_f64_f32_e32 v[106:107], v30
	;; [unrolled: 1-line block ×4, first 2 shown]
	v_fma_f64 v[25:26], -v[112:113], v[4:5], v[86:87]
	v_fma_f64 v[6:7], v[88:89], v[4:5], v[6:7]
	v_fma_f64 v[14:15], -v[116:117], v[4:5], v[14:15]
	v_fma_f64 v[27:28], v[114:115], v[4:5], v[92:93]
	;; [unrolled: 2-line block ×4, first 2 shown]
	global_load_b128 v[2:5], v[90:91], off offset:32
	s_waitcnt vmcnt(12)
	v_fma_f64 v[88:89], v[84:85], v[33:34], v[25:26]
	v_fma_f64 v[6:7], v[98:99], v[33:34], v[6:7]
	;; [unrolled: 1-line block ×8, first 2 shown]
	s_clause 0x1
	global_load_b128 v[25:28], v[12:13], off offset:3168
	global_load_b128 v[29:32], v[12:13], off offset:3184
	v_add_co_u32 v12, vcc_lo, 0x1000, v12
	v_add_co_ci_u32_e32 v13, vcc_lo, 0, v13, vcc_lo
	v_cmp_ge_i64_e32 vcc_lo, v[8:9], v[10:11]
	s_or_b32 s7, vcc_lo, s7
	s_waitcnt vmcnt(13)
	v_cvt_f64_f32_e32 v[86:87], v37
	v_cvt_f64_f32_e32 v[112:113], v38
	;; [unrolled: 1-line block ×4, first 2 shown]
	s_waitcnt vmcnt(12)
	v_cvt_f64_f32_e32 v[118:119], v41
	v_cvt_f64_f32_e32 v[41:42], v42
	;; [unrolled: 1-line block ×4, first 2 shown]
	global_load_b128 v[37:40], v[90:91], off offset:48
	v_fma_f64 v[88:89], -v[98:99], v[35:36], v[88:89]
	v_fma_f64 v[6:7], v[84:85], v[35:36], v[6:7]
	v_fma_f64 v[14:15], -v[102:103], v[35:36], v[14:15]
	v_fma_f64 v[84:85], v[100:101], v[35:36], v[92:93]
	v_fma_f64 v[92:93], -v[106:107], v[35:36], v[94:95]
	v_fma_f64 v[94:95], v[104:105], v[35:36], v[96:97]
	v_fma_f64 v[45:46], -v[110:111], v[35:36], v[45:46]
	v_fma_f64 v[33:34], v[108:109], v[35:36], v[33:34]
	s_waitcnt vmcnt(12)
	v_fma_f64 v[35:36], v[86:87], v[48:49], v[88:89]
	v_fma_f64 v[6:7], v[112:113], v[48:49], v[6:7]
	v_fma_f64 v[14:15], v[114:115], v[48:49], v[14:15]
	v_fma_f64 v[84:85], v[116:117], v[48:49], v[84:85]
	v_fma_f64 v[88:89], v[118:119], v[48:49], v[92:93]
	v_fma_f64 v[90:91], v[41:42], v[48:49], v[94:95]
	v_fma_f64 v[45:46], v[120:121], v[48:49], v[45:46]
	v_fma_f64 v[33:34], v[43:44], v[48:49], v[33:34]
	s_waitcnt vmcnt(11)
	v_cvt_f64_f32_e32 v[48:49], v52
	v_cvt_f64_f32_e32 v[52:53], v53
	v_cvt_f64_f32_e32 v[92:93], v54
	v_cvt_f64_f32_e32 v[54:55], v55
	s_waitcnt vmcnt(10)
	v_cvt_f64_f32_e32 v[94:95], v56
	v_cvt_f64_f32_e32 v[56:57], v57
	v_cvt_f64_f32_e32 v[96:97], v58
	v_cvt_f64_f32_e32 v[58:59], v59
	v_fma_f64 v[35:36], -v[112:113], v[50:51], v[35:36]
	v_fma_f64 v[6:7], v[86:87], v[50:51], v[6:7]
	v_fma_f64 v[14:15], -v[116:117], v[50:51], v[14:15]
	v_fma_f64 v[84:85], v[114:115], v[50:51], v[84:85]
	v_fma_f64 v[41:42], -v[41:42], v[50:51], v[88:89]
	v_fma_f64 v[86:87], v[118:119], v[50:51], v[90:91]
	v_fma_f64 v[43:44], -v[43:44], v[50:51], v[45:46]
	v_fma_f64 v[33:34], v[120:121], v[50:51], v[33:34]
	s_waitcnt vmcnt(9)
	v_fma_f64 v[35:36], v[48:49], v[60:61], v[35:36]
	v_fma_f64 v[6:7], v[52:53], v[60:61], v[6:7]
	v_fma_f64 v[14:15], v[92:93], v[60:61], v[14:15]
	v_fma_f64 v[45:46], v[54:55], v[60:61], v[84:85]
	v_fma_f64 v[41:42], v[94:95], v[60:61], v[41:42]
	v_fma_f64 v[50:51], v[56:57], v[60:61], v[86:87]
	v_fma_f64 v[43:44], v[96:97], v[60:61], v[43:44]
	v_fma_f64 v[33:34], v[58:59], v[60:61], v[33:34]
	s_waitcnt vmcnt(8)
	v_cvt_f64_f32_e32 v[60:61], v64
	v_cvt_f64_f32_e32 v[64:65], v65
	v_cvt_f64_f32_e32 v[84:85], v66
	v_cvt_f64_f32_e32 v[66:67], v67
	s_waitcnt vmcnt(7)
	v_cvt_f64_f32_e32 v[86:87], v68
	v_cvt_f64_f32_e32 v[68:69], v69
	v_cvt_f64_f32_e32 v[88:89], v70
	v_cvt_f64_f32_e32 v[70:71], v71
	v_fma_f64 v[35:36], -v[52:53], v[62:63], v[35:36]
	v_fma_f64 v[6:7], v[48:49], v[62:63], v[6:7]
	v_fma_f64 v[14:15], -v[54:55], v[62:63], v[14:15]
	v_fma_f64 v[45:46], v[92:93], v[62:63], v[45:46]
	v_fma_f64 v[41:42], -v[56:57], v[62:63], v[41:42]
	v_fma_f64 v[48:49], v[94:95], v[62:63], v[50:51]
	v_fma_f64 v[43:44], -v[58:59], v[62:63], v[43:44]
	v_fma_f64 v[33:34], v[96:97], v[62:63], v[33:34]
	s_waitcnt vmcnt(6)
	v_fma_f64 v[35:36], v[60:61], v[72:73], v[35:36]
	v_fma_f64 v[6:7], v[64:65], v[72:73], v[6:7]
	v_fma_f64 v[14:15], v[84:85], v[72:73], v[14:15]
	v_fma_f64 v[45:46], v[66:67], v[72:73], v[45:46]
	v_fma_f64 v[41:42], v[86:87], v[72:73], v[41:42]
	v_fma_f64 v[48:49], v[68:69], v[72:73], v[48:49]
	v_fma_f64 v[43:44], v[88:89], v[72:73], v[43:44]
	v_fma_f64 v[33:34], v[70:71], v[72:73], v[33:34]
	s_waitcnt vmcnt(5)
	v_cvt_f64_f32_e32 v[50:51], v76
	v_cvt_f64_f32_e32 v[52:53], v77
	v_cvt_f64_f32_e32 v[54:55], v78
	v_cvt_f64_f32_e32 v[56:57], v79
	s_waitcnt vmcnt(4)
	v_cvt_f64_f32_e32 v[58:59], v80
	v_cvt_f64_f32_e32 v[62:63], v81
	v_cvt_f64_f32_e32 v[72:73], v82
	v_cvt_f64_f32_e32 v[76:77], v83
	v_fma_f64 v[35:36], -v[64:65], v[74:75], v[35:36]
	v_fma_f64 v[6:7], v[60:61], v[74:75], v[6:7]
	v_fma_f64 v[14:15], -v[66:67], v[74:75], v[14:15]
	v_fma_f64 v[45:46], v[84:85], v[74:75], v[45:46]
	v_fma_f64 v[41:42], -v[68:69], v[74:75], v[41:42]
	v_fma_f64 v[48:49], v[86:87], v[74:75], v[48:49]
	v_fma_f64 v[43:44], -v[70:71], v[74:75], v[43:44]
	v_fma_f64 v[33:34], v[88:89], v[74:75], v[33:34]
	s_waitcnt vmcnt(3)
	v_fma_f64 v[35:36], v[50:51], v[2:3], v[35:36]
	v_fma_f64 v[6:7], v[52:53], v[2:3], v[6:7]
	v_fma_f64 v[14:15], v[54:55], v[2:3], v[14:15]
	v_fma_f64 v[45:46], v[56:57], v[2:3], v[45:46]
	v_fma_f64 v[41:42], v[58:59], v[2:3], v[41:42]
	v_fma_f64 v[48:49], v[62:63], v[2:3], v[48:49]
	v_fma_f64 v[43:44], v[72:73], v[2:3], v[43:44]
	v_fma_f64 v[2:3], v[76:77], v[2:3], v[33:34]
	s_waitcnt vmcnt(2)
	v_cvt_f64_f32_e32 v[33:34], v25
	v_cvt_f64_f32_e32 v[25:26], v26
	v_cvt_f64_f32_e32 v[60:61], v27
	v_cvt_f64_f32_e32 v[27:28], v28
	s_waitcnt vmcnt(1)
	v_cvt_f64_f32_e32 v[64:65], v29
	v_cvt_f64_f32_e32 v[66:67], v30
	v_cvt_f64_f32_e32 v[68:69], v31
	v_cvt_f64_f32_e32 v[31:32], v32
	v_fma_f64 v[29:30], -v[52:53], v[4:5], v[35:36]
	v_fma_f64 v[6:7], v[50:51], v[4:5], v[6:7]
	v_fma_f64 v[14:15], -v[56:57], v[4:5], v[14:15]
	v_fma_f64 v[35:36], v[54:55], v[4:5], v[45:46]
	;; [unrolled: 2-line block ×4, first 2 shown]
	s_waitcnt vmcnt(0)
	v_fma_f64 v[4:5], v[33:34], v[37:38], v[29:30]
	v_fma_f64 v[6:7], v[25:26], v[37:38], v[6:7]
	;; [unrolled: 1-line block ×8, first 2 shown]
	v_fma_f64 v[29:30], -v[25:26], v[39:40], v[4:5]
	v_fma_f64 v[14:15], v[33:34], v[39:40], v[6:7]
	v_fma_f64 v[35:36], -v[27:28], v[39:40], v[48:49]
	v_fma_f64 v[27:28], v[60:61], v[39:40], v[50:51]
	;; [unrolled: 2-line block ×4, first 2 shown]
	s_and_not1_b32 exec_lo, exec_lo, s7
	s_cbranch_execnz .LBB171_35
; %bb.36:
	s_or_b32 exec_lo, exec_lo, s7
.LBB171_37:
	s_delay_alu instid0(SALU_CYCLE_1)
	s_or_b32 exec_lo, exec_lo, s6
.LBB171_38:
	s_delay_alu instid0(SALU_CYCLE_1)
	s_or_b32 exec_lo, exec_lo, s1
.LBB171_39:
	v_mbcnt_lo_u32_b32 v41, -1, 0
	s_delay_alu instid0(VALU_DEP_1) | instskip(NEXT) | instid1(VALU_DEP_1)
	v_xor_b32_e32 v0, 4, v41
	v_cmp_gt_i32_e32 vcc_lo, 32, v0
	v_cndmask_b32_e32 v0, v41, v0, vcc_lo
	s_delay_alu instid0(VALU_DEP_1)
	v_lshlrev_b32_e32 v40, 2, v0
	ds_bpermute_b32 v0, v40, v29
	ds_bpermute_b32 v1, v40, v30
	;; [unrolled: 1-line block ×16, first 2 shown]
	s_waitcnt lgkmcnt(0)
	v_add_f64 v[0:1], v[29:30], v[0:1]
	v_add_f64 v[2:3], v[14:15], v[2:3]
	v_xor_b32_e32 v14, 2, v41
	v_add_f64 v[4:5], v[35:36], v[4:5]
	v_add_f64 v[6:7], v[27:28], v[6:7]
	;; [unrolled: 1-line block ×3, first 2 shown]
	s_delay_alu instid0(VALU_DEP_4) | instskip(SKIP_4) | instid1(VALU_DEP_1)
	v_cmp_gt_i32_e32 vcc_lo, 32, v14
	v_add_f64 v[10:11], v[33:34], v[10:11]
	v_add_f64 v[12:13], v[25:26], v[12:13]
	;; [unrolled: 1-line block ×3, first 2 shown]
	v_cndmask_b32_e32 v14, v41, v14, vcc_lo
	v_lshlrev_b32_e32 v40, 2, v14
	ds_bpermute_b32 v14, v40, v0
	ds_bpermute_b32 v15, v40, v1
	;; [unrolled: 1-line block ×16, first 2 shown]
	s_waitcnt lgkmcnt(14)
	v_add_f64 v[0:1], v[0:1], v[14:15]
	s_waitcnt lgkmcnt(12)
	v_add_f64 v[27:28], v[2:3], v[27:28]
	;; [unrolled: 2-line block ×7, first 2 shown]
	v_xor_b32_e32 v12, 1, v41
	s_waitcnt lgkmcnt(0)
	v_add_f64 v[8:9], v[25:26], v[39:40]
	s_delay_alu instid0(VALU_DEP_2) | instskip(SKIP_2) | instid1(VALU_DEP_2)
	v_cmp_gt_i32_e32 vcc_lo, 32, v12
	v_cndmask_b32_e32 v12, v41, v12, vcc_lo
	v_cmp_eq_u32_e32 vcc_lo, 7, v47
	v_lshlrev_b32_e32 v34, 2, v12
	ds_bpermute_b32 v12, v34, v0
	ds_bpermute_b32 v13, v34, v1
	;; [unrolled: 1-line block ×16, first 2 shown]
	s_and_b32 exec_lo, exec_lo, vcc_lo
	s_cbranch_execz .LBB171_12
; %bb.40:
	s_waitcnt lgkmcnt(12)
	v_add_f64 v[27:28], v[27:28], v[39:40]
	s_waitcnt lgkmcnt(8)
	v_add_f64 v[14:15], v[14:15], v[37:38]
	;; [unrolled: 2-line block ×4, first 2 shown]
	v_add_f64 v[0:1], v[0:1], v[12:13]
	v_add_f64 v[2:3], v[2:3], v[25:26]
	;; [unrolled: 1-line block ×4, first 2 shown]
	v_cmp_eq_f64_e32 vcc_lo, 0, v[16:17]
	v_cmp_eq_f64_e64 s0, 0, v[18:19]
	s_load_b64 s[2:3], s[2:3], 0x60
	v_mul_f64 v[4:5], v[27:28], -v[22:23]
	v_mul_f64 v[6:7], v[20:21], v[27:28]
	v_mul_f64 v[27:28], v[14:15], -v[22:23]
	v_mul_f64 v[31:32], v[20:21], v[14:15]
	;; [unrolled: 2-line block ×4, first 2 shown]
	s_and_b32 s0, vcc_lo, s0
	v_fma_f64 v[12:13], v[20:21], v[0:1], v[4:5]
	v_fma_f64 v[14:15], v[22:23], v[0:1], v[6:7]
	;; [unrolled: 1-line block ×8, first 2 shown]
	v_lshlrev_b32_e32 v20, 2, v24
	s_and_saveexec_b32 s1, s0
	s_delay_alu instid0(SALU_CYCLE_1)
	s_xor_b32 s0, exec_lo, s1
	s_cbranch_execz .LBB171_42
; %bb.41:
	s_delay_alu instid0(VALU_DEP_1) | instskip(NEXT) | instid1(VALU_DEP_1)
	v_ashrrev_i32_e32 v21, 31, v20
                                        ; implicit-def: $vgpr18_vgpr19
	v_lshlrev_b64 v[16:17], 4, v[20:21]
                                        ; implicit-def: $vgpr20
	s_waitcnt lgkmcnt(0)
	s_delay_alu instid0(VALU_DEP_1) | instskip(NEXT) | instid1(VALU_DEP_2)
	v_add_co_u32 v16, vcc_lo, s2, v16
	v_add_co_ci_u32_e32 v17, vcc_lo, s3, v17, vcc_lo
	s_clause 0x3
	global_store_b128 v[16:17], v[12:15], off
	global_store_b128 v[16:17], v[8:11], off offset:16
	global_store_b128 v[16:17], v[4:7], off offset:32
	;; [unrolled: 1-line block ×3, first 2 shown]
                                        ; implicit-def: $vgpr16_vgpr17
                                        ; implicit-def: $vgpr12_vgpr13
                                        ; implicit-def: $vgpr8_vgpr9
                                        ; implicit-def: $vgpr4_vgpr5
                                        ; implicit-def: $vgpr0_vgpr1
.LBB171_42:
	s_and_not1_saveexec_b32 s0, s0
	s_cbranch_execz .LBB171_12
; %bb.43:
	v_ashrrev_i32_e32 v21, 31, v20
	s_delay_alu instid0(VALU_DEP_1) | instskip(SKIP_1) | instid1(VALU_DEP_1)
	v_lshlrev_b64 v[20:21], 4, v[20:21]
	s_waitcnt lgkmcnt(0)
	v_add_co_u32 v36, vcc_lo, s2, v20
	s_delay_alu instid0(VALU_DEP_2)
	v_add_co_ci_u32_e32 v37, vcc_lo, s3, v21, vcc_lo
	s_clause 0x3
	global_load_b128 v[20:23], v[36:37], off
	global_load_b128 v[24:27], v[36:37], off offset:16
	global_load_b128 v[28:31], v[36:37], off offset:32
	global_load_b128 v[32:35], v[36:37], off offset:48
	s_waitcnt vmcnt(3)
	v_fma_f64 v[12:13], v[16:17], v[20:21], v[12:13]
	v_fma_f64 v[14:15], v[18:19], v[20:21], v[14:15]
	s_waitcnt vmcnt(2)
	v_fma_f64 v[8:9], v[16:17], v[24:25], v[8:9]
	v_fma_f64 v[10:11], v[18:19], v[24:25], v[10:11]
	;; [unrolled: 3-line block ×4, first 2 shown]
	v_fma_f64 v[0:1], -v[18:19], v[22:23], v[12:13]
	v_fma_f64 v[2:3], v[16:17], v[22:23], v[14:15]
	v_fma_f64 v[4:5], -v[18:19], v[26:27], v[8:9]
	v_fma_f64 v[6:7], v[16:17], v[26:27], v[10:11]
	;; [unrolled: 2-line block ×4, first 2 shown]
	s_clause 0x3
	global_store_b128 v[36:37], v[0:3], off
	global_store_b128 v[36:37], v[4:7], off offset:16
	global_store_b128 v[36:37], v[8:11], off offset:32
	global_store_b128 v[36:37], v[12:15], off offset:48
	s_nop 0
	s_sendmsg sendmsg(MSG_DEALLOC_VGPRS)
	s_endpgm
	.section	.rodata,"a",@progbits
	.p2align	6, 0x0
	.amdhsa_kernel _ZN9rocsparseL18bsrxmvn_4x4_kernelILj128ELj8E21rocsparse_complex_numIdEliS1_IfES2_S2_EEvT3_20rocsparse_direction_NS_24const_host_device_scalarIT1_EES4_PKS4_PKT2_SD_SA_PKT4_PKT5_S8_PT6_21rocsparse_index_base_b
		.amdhsa_group_segment_fixed_size 2048
		.amdhsa_private_segment_fixed_size 0
		.amdhsa_kernarg_size 112
		.amdhsa_user_sgpr_count 15
		.amdhsa_user_sgpr_dispatch_ptr 1
		.amdhsa_user_sgpr_queue_ptr 0
		.amdhsa_user_sgpr_kernarg_segment_ptr 1
		.amdhsa_user_sgpr_dispatch_id 0
		.amdhsa_user_sgpr_private_segment_size 0
		.amdhsa_wavefront_size32 1
		.amdhsa_uses_dynamic_stack 0
		.amdhsa_enable_private_segment 0
		.amdhsa_system_sgpr_workgroup_id_x 1
		.amdhsa_system_sgpr_workgroup_id_y 0
		.amdhsa_system_sgpr_workgroup_id_z 0
		.amdhsa_system_sgpr_workgroup_info 0
		.amdhsa_system_vgpr_workitem_id 2
		.amdhsa_next_free_vgpr 135
		.amdhsa_next_free_sgpr 18
		.amdhsa_reserve_vcc 1
		.amdhsa_float_round_mode_32 0
		.amdhsa_float_round_mode_16_64 0
		.amdhsa_float_denorm_mode_32 3
		.amdhsa_float_denorm_mode_16_64 3
		.amdhsa_dx10_clamp 1
		.amdhsa_ieee_mode 1
		.amdhsa_fp16_overflow 0
		.amdhsa_workgroup_processor_mode 1
		.amdhsa_memory_ordered 1
		.amdhsa_forward_progress 0
		.amdhsa_shared_vgpr_count 0
		.amdhsa_exception_fp_ieee_invalid_op 0
		.amdhsa_exception_fp_denorm_src 0
		.amdhsa_exception_fp_ieee_div_zero 0
		.amdhsa_exception_fp_ieee_overflow 0
		.amdhsa_exception_fp_ieee_underflow 0
		.amdhsa_exception_fp_ieee_inexact 0
		.amdhsa_exception_int_div_zero 0
	.end_amdhsa_kernel
	.section	.text._ZN9rocsparseL18bsrxmvn_4x4_kernelILj128ELj8E21rocsparse_complex_numIdEliS1_IfES2_S2_EEvT3_20rocsparse_direction_NS_24const_host_device_scalarIT1_EES4_PKS4_PKT2_SD_SA_PKT4_PKT5_S8_PT6_21rocsparse_index_base_b,"axG",@progbits,_ZN9rocsparseL18bsrxmvn_4x4_kernelILj128ELj8E21rocsparse_complex_numIdEliS1_IfES2_S2_EEvT3_20rocsparse_direction_NS_24const_host_device_scalarIT1_EES4_PKS4_PKT2_SD_SA_PKT4_PKT5_S8_PT6_21rocsparse_index_base_b,comdat
.Lfunc_end171:
	.size	_ZN9rocsparseL18bsrxmvn_4x4_kernelILj128ELj8E21rocsparse_complex_numIdEliS1_IfES2_S2_EEvT3_20rocsparse_direction_NS_24const_host_device_scalarIT1_EES4_PKS4_PKT2_SD_SA_PKT4_PKT5_S8_PT6_21rocsparse_index_base_b, .Lfunc_end171-_ZN9rocsparseL18bsrxmvn_4x4_kernelILj128ELj8E21rocsparse_complex_numIdEliS1_IfES2_S2_EEvT3_20rocsparse_direction_NS_24const_host_device_scalarIT1_EES4_PKS4_PKT2_SD_SA_PKT4_PKT5_S8_PT6_21rocsparse_index_base_b
                                        ; -- End function
	.section	.AMDGPU.csdata,"",@progbits
; Kernel info:
; codeLenInByte = 11664
; NumSgprs: 20
; NumVgprs: 135
; ScratchSize: 0
; MemoryBound: 0
; FloatMode: 240
; IeeeMode: 1
; LDSByteSize: 2048 bytes/workgroup (compile time only)
; SGPRBlocks: 2
; VGPRBlocks: 16
; NumSGPRsForWavesPerEU: 20
; NumVGPRsForWavesPerEU: 135
; Occupancy: 10
; WaveLimiterHint : 1
; COMPUTE_PGM_RSRC2:SCRATCH_EN: 0
; COMPUTE_PGM_RSRC2:USER_SGPR: 15
; COMPUTE_PGM_RSRC2:TRAP_HANDLER: 0
; COMPUTE_PGM_RSRC2:TGID_X_EN: 1
; COMPUTE_PGM_RSRC2:TGID_Y_EN: 0
; COMPUTE_PGM_RSRC2:TGID_Z_EN: 0
; COMPUTE_PGM_RSRC2:TIDIG_COMP_CNT: 2
	.section	.text._ZN9rocsparseL18bsrxmvn_4x4_kernelILj128ELj16E21rocsparse_complex_numIdEliS1_IfES2_S2_EEvT3_20rocsparse_direction_NS_24const_host_device_scalarIT1_EES4_PKS4_PKT2_SD_SA_PKT4_PKT5_S8_PT6_21rocsparse_index_base_b,"axG",@progbits,_ZN9rocsparseL18bsrxmvn_4x4_kernelILj128ELj16E21rocsparse_complex_numIdEliS1_IfES2_S2_EEvT3_20rocsparse_direction_NS_24const_host_device_scalarIT1_EES4_PKS4_PKT2_SD_SA_PKT4_PKT5_S8_PT6_21rocsparse_index_base_b,comdat
	.globl	_ZN9rocsparseL18bsrxmvn_4x4_kernelILj128ELj16E21rocsparse_complex_numIdEliS1_IfES2_S2_EEvT3_20rocsparse_direction_NS_24const_host_device_scalarIT1_EES4_PKS4_PKT2_SD_SA_PKT4_PKT5_S8_PT6_21rocsparse_index_base_b ; -- Begin function _ZN9rocsparseL18bsrxmvn_4x4_kernelILj128ELj16E21rocsparse_complex_numIdEliS1_IfES2_S2_EEvT3_20rocsparse_direction_NS_24const_host_device_scalarIT1_EES4_PKS4_PKT2_SD_SA_PKT4_PKT5_S8_PT6_21rocsparse_index_base_b
	.p2align	8
	.type	_ZN9rocsparseL18bsrxmvn_4x4_kernelILj128ELj16E21rocsparse_complex_numIdEliS1_IfES2_S2_EEvT3_20rocsparse_direction_NS_24const_host_device_scalarIT1_EES4_PKS4_PKT2_SD_SA_PKT4_PKT5_S8_PT6_21rocsparse_index_base_b,@function
_ZN9rocsparseL18bsrxmvn_4x4_kernelILj128ELj16E21rocsparse_complex_numIdEliS1_IfES2_S2_EEvT3_20rocsparse_direction_NS_24const_host_device_scalarIT1_EES4_PKS4_PKT2_SD_SA_PKT4_PKT5_S8_PT6_21rocsparse_index_base_b: ; @_ZN9rocsparseL18bsrxmvn_4x4_kernelILj128ELj16E21rocsparse_complex_numIdEliS1_IfES2_S2_EEvT3_20rocsparse_direction_NS_24const_host_device_scalarIT1_EES4_PKS4_PKT2_SD_SA_PKT4_PKT5_S8_PT6_21rocsparse_index_base_b
; %bb.0:
	s_load_b64 s[12:13], s[2:3], 0x68
	s_load_b64 s[16:17], s[0:1], 0x4
	s_load_b128 s[8:11], s[2:3], 0x8
	v_bfe_u32 v2, v0, 10, 10
	s_mov_b64 s[0:1], src_shared_base
	s_load_b128 s[4:7], s[2:3], 0x50
	v_and_b32_e32 v1, 0x3ff, v0
	v_bfe_u32 v0, v0, 20, 10
	s_waitcnt lgkmcnt(0)
	s_bitcmp1_b32 s13, 0
	v_mul_u32_u24_e32 v2, s17, v2
	s_cselect_b32 s0, -1, 0
	v_mov_b32_e32 v23, s11
	s_and_b32 vcc_lo, s0, exec_lo
	s_cselect_b32 s13, s1, s9
	s_lshr_b32 s14, s16, 16
	v_dual_mov_b32 v4, s4 :: v_dual_mov_b32 v5, s5
	s_mul_i32 s14, s14, s17
	v_dual_mov_b32 v7, s13 :: v_dual_mov_b32 v22, s10
	v_mad_u32_u24 v2, s14, v1, v2
	s_xor_b32 s10, s0, -1
	s_delay_alu instid0(VALU_DEP_1) | instskip(SKIP_1) | instid1(VALU_DEP_2)
	v_add_lshl_u32 v0, v2, v0, 3
	v_dual_mov_b32 v2, s8 :: v_dual_mov_b32 v3, s9
	v_add_nc_u32_e32 v6, 0x400, v0
	ds_store_2addr_stride64_b64 v0, v[4:5], v[2:3] offset1:2
	v_cndmask_b32_e64 v6, s8, v6, s0
	flat_load_b64 v[20:21], v[6:7]
	s_cbranch_vccnz .LBB172_2
; %bb.1:
	v_dual_mov_b32 v2, s8 :: v_dual_mov_b32 v3, s9
	flat_load_b64 v[22:23], v[2:3] offset:8
.LBB172_2:
	s_and_b32 s8, s0, exec_lo
	s_cselect_b32 s1, s1, s5
	v_cndmask_b32_e64 v2, s4, v0, s0
	v_mov_b32_e32 v3, s1
	v_dual_mov_b32 v19, s7 :: v_dual_mov_b32 v18, s6
	s_and_not1_b32 vcc_lo, exec_lo, s10
	flat_load_b64 v[16:17], v[2:3]
	s_cbranch_vccnz .LBB172_4
; %bb.3:
	v_dual_mov_b32 v2, s4 :: v_dual_mov_b32 v3, s5
	flat_load_b64 v[18:19], v[2:3] offset:8
.LBB172_4:
	s_waitcnt vmcnt(1) lgkmcnt(1)
	v_cmp_eq_f64_e32 vcc_lo, 0, v[20:21]
	v_cmp_eq_f64_e64 s0, 0, v[22:23]
	s_delay_alu instid0(VALU_DEP_1)
	s_and_b32 s4, vcc_lo, s0
	s_mov_b32 s0, -1
	s_and_saveexec_b32 s1, s4
	s_cbranch_execz .LBB172_6
; %bb.5:
	s_waitcnt vmcnt(0) lgkmcnt(0)
	v_cmp_neq_f64_e32 vcc_lo, 1.0, v[16:17]
	v_cmp_neq_f64_e64 s0, 0, v[18:19]
	s_delay_alu instid0(VALU_DEP_1) | instskip(NEXT) | instid1(SALU_CYCLE_1)
	s_or_b32 s0, vcc_lo, s0
	s_or_not1_b32 s0, s0, exec_lo
.LBB172_6:
	s_or_b32 exec_lo, exec_lo, s1
	s_and_saveexec_b32 s1, s0
	s_cbranch_execz .LBB172_12
; %bb.7:
	s_clause 0x1
	s_load_b64 s[4:5], s[2:3], 0x20
	s_load_b64 s[0:1], s[2:3], 0x0
	v_lshrrev_b32_e32 v0, 4, v1
	s_delay_alu instid0(VALU_DEP_1)
	v_lshl_or_b32 v24, s15, 3, v0
	s_waitcnt lgkmcnt(0)
	s_cmp_lg_u64 s[4:5], 0
	s_cbranch_scc0 .LBB172_13
; %bb.8:
	s_load_b32 s6, s[2:3], 0x18
	s_mov_b32 s7, 0
                                        ; implicit-def: $vgpr0
	s_waitcnt lgkmcnt(0)
	v_cmp_gt_i32_e32 vcc_lo, s6, v24
	s_mov_b32 s6, 0
	s_and_saveexec_b32 s8, vcc_lo
	s_delay_alu instid0(SALU_CYCLE_1)
	s_xor_b32 s8, exec_lo, s8
	s_cbranch_execz .LBB172_10
; %bb.9:
	v_ashrrev_i32_e32 v25, 31, v24
	s_mov_b32 s6, exec_lo
	s_delay_alu instid0(VALU_DEP_1) | instskip(NEXT) | instid1(VALU_DEP_1)
	v_lshlrev_b64 v[2:3], 2, v[24:25]
	v_add_co_u32 v2, vcc_lo, s4, v2
	s_delay_alu instid0(VALU_DEP_2)
	v_add_co_ci_u32_e32 v3, vcc_lo, s5, v3, vcc_lo
	global_load_b32 v0, v[2:3], off
	s_waitcnt vmcnt(0)
	v_subrev_nc_u32_e32 v0, s12, v0
.LBB172_10:
	s_or_b32 exec_lo, exec_lo, s8
	s_delay_alu instid0(SALU_CYCLE_1)
	s_and_b32 vcc_lo, exec_lo, s7
	s_cbranch_vccz .LBB172_14
.LBB172_11:
	v_cmp_gt_i32_e32 vcc_lo, s0, v24
	s_and_not1_b32 s0, s6, exec_lo
	s_and_b32 s4, vcc_lo, exec_lo
	s_delay_alu instid0(SALU_CYCLE_1) | instskip(NEXT) | instid1(SALU_CYCLE_1)
	s_or_b32 s6, s0, s4
	s_and_b32 exec_lo, exec_lo, s6
	s_cbranch_execnz .LBB172_15
.LBB172_12:
	s_nop 0
	s_sendmsg sendmsg(MSG_DEALLOC_VGPRS)
	s_endpgm
.LBB172_13:
	s_mov_b32 s6, 0
                                        ; implicit-def: $vgpr0
	s_cbranch_execnz .LBB172_11
.LBB172_14:
	s_delay_alu instid0(VALU_DEP_1)
	v_mov_b32_e32 v24, v0
	s_and_b32 exec_lo, exec_lo, s6
	s_cbranch_execz .LBB172_12
.LBB172_15:
	s_load_b256 s[4:11], s[2:3], 0x28
	s_delay_alu instid0(VALU_DEP_1) | instskip(SKIP_1) | instid1(VALU_DEP_2)
	v_ashrrev_i32_e32 v25, 31, v24
	v_and_b32_e32 v47, 15, v1
	v_lshlrev_b64 v[2:3], 3, v[24:25]
	s_waitcnt lgkmcnt(0)
	s_delay_alu instid0(VALU_DEP_1) | instskip(NEXT) | instid1(VALU_DEP_2)
	v_add_co_u32 v4, vcc_lo, s4, v2
	v_add_co_ci_u32_e32 v5, vcc_lo, s5, v3, vcc_lo
	v_add_co_u32 v0, vcc_lo, s6, v2
	v_add_co_ci_u32_e32 v2, vcc_lo, s7, v3, vcc_lo
	s_delay_alu instid0(VALU_DEP_4)
	v_add_co_u32 v6, vcc_lo, v4, 8
	global_load_b64 v[39:40], v[4:5], off
	v_add_co_ci_u32_e32 v3, vcc_lo, 0, v5, vcc_lo
	s_cmp_eq_u64 s[6:7], 0
	s_load_b64 s[4:5], s[2:3], 0x48
	s_cselect_b32 vcc_lo, -1, 0
	s_cmp_eq_u32 s1, 1
	v_dual_cndmask_b32 v3, v2, v3 :: v_dual_cndmask_b32 v2, v0, v6
	global_load_b64 v[2:3], v[2:3], off
	s_waitcnt vmcnt(1)
	v_sub_co_u32 v0, vcc_lo, v39, s12
	v_subrev_co_ci_u32_e32 v1, vcc_lo, 0, v40, vcc_lo
	s_delay_alu instid0(VALU_DEP_2) | instskip(NEXT) | instid1(VALU_DEP_2)
	v_add_co_u32 v8, vcc_lo, v0, v47
	v_add_co_ci_u32_e32 v9, vcc_lo, 0, v1, vcc_lo
	s_delay_alu instid0(VALU_DEP_1) | instskip(SKIP_3) | instid1(VALU_DEP_3)
	v_lshlrev_b64 v[0:1], 7, v[8:9]
	s_waitcnt vmcnt(0)
	v_sub_co_u32 v10, vcc_lo, v2, s12
	v_subrev_co_ci_u32_e32 v11, vcc_lo, 0, v3, vcc_lo
	v_add_co_u32 v12, vcc_lo, s10, v0
	s_delay_alu instid0(VALU_DEP_2)
	v_cmp_lt_i64_e64 s0, v[8:9], v[10:11]
	v_add_co_ci_u32_e32 v13, vcc_lo, s11, v1, vcc_lo
	s_cbranch_scc1 .LBB172_27
; %bb.16:
	v_mov_b32_e32 v14, 0
	v_mov_b32_e32 v15, 0
	s_delay_alu instid0(VALU_DEP_1)
	v_dual_mov_b32 v30, v15 :: v_dual_mov_b32 v29, v14
	v_dual_mov_b32 v28, v15 :: v_dual_mov_b32 v27, v14
	;; [unrolled: 1-line block ×7, first 2 shown]
	s_and_saveexec_b32 s6, s0
	s_cbranch_execz .LBB172_26
; %bb.17:
	v_or_b32_e32 v0, 16, v47
	v_not_b32_e32 v3, v39
	v_not_b32_e32 v2, v40
	v_mov_b32_e32 v44, v9
	s_mov_b32 s10, 0
	v_sub_co_u32 v0, s1, v0, s12
	s_delay_alu instid0(VALU_DEP_1) | instskip(SKIP_1) | instid1(VALU_DEP_3)
	v_sub_co_ci_u32_e64 v1, null, 0, 0, s1
	v_sub_co_u32 v4, s1, s12, v47
	v_add_co_u32 v0, vcc_lo, v0, v39
	s_delay_alu instid0(VALU_DEP_3) | instskip(SKIP_2) | instid1(VALU_DEP_2)
	v_add_co_ci_u32_e32 v1, vcc_lo, v1, v40, vcc_lo
	v_sub_co_ci_u32_e64 v5, null, 0, 0, s1
	s_mov_b32 s7, exec_lo
	v_cmp_gt_i64_e32 vcc_lo, v[0:1], v[10:11]
	v_mov_b32_e32 v43, v8
	v_dual_cndmask_b32 v1, v11, v1 :: v_dual_cndmask_b32 v0, v10, v0
	v_add_co_u32 v3, vcc_lo, v4, v3
	v_add_co_ci_u32_e32 v2, vcc_lo, v5, v2, vcc_lo
	s_delay_alu instid0(VALU_DEP_2) | instskip(NEXT) | instid1(VALU_DEP_2)
	v_add_co_u32 v0, vcc_lo, v3, v0
	v_add_co_ci_u32_e32 v1, vcc_lo, v2, v1, vcc_lo
	s_delay_alu instid0(VALU_DEP_2) | instskip(SKIP_3) | instid1(VALU_DEP_4)
	v_lshrrev_b32_e32 v2, 4, v0
	v_mov_b32_e32 v25, 0
	v_mov_b32_e32 v26, 0
	v_dual_mov_b32 v42, v13 :: v_dual_mov_b32 v41, v12
	v_add_nc_u32_e32 v2, 1, v2
	s_delay_alu instid0(VALU_DEP_3)
	v_dual_mov_b32 v14, v25 :: v_dual_mov_b32 v15, v26
	v_mov_b32_e32 v36, v26
	v_mov_b32_e32 v28, v26
	;; [unrolled: 1-line block ×3, first 2 shown]
	v_dual_mov_b32 v32, v26 :: v_dual_mov_b32 v31, v25
	v_dual_mov_b32 v38, v26 :: v_dual_mov_b32 v37, v25
	;; [unrolled: 1-line block ×3, first 2 shown]
	v_dual_mov_b32 v35, v25 :: v_dual_and_b32 v2, 3, v2
	v_mov_b32_e32 v27, v25
	v_mov_b32_e32 v29, v25
	s_delay_alu instid0(VALU_DEP_3)
	v_cmpx_ne_u32_e32 0, v2
	s_cbranch_execz .LBB172_21
; %bb.18:
	v_lshlrev_b64 v[4:5], 2, v[8:9]
	v_dual_mov_b32 v3, 0 :: v_dual_mov_b32 v14, 0
	v_dual_mov_b32 v15, 0 :: v_dual_lshlrev_b32 v2, 2, v2
	v_dual_mov_b32 v44, v9 :: v_dual_mov_b32 v43, v8
	s_delay_alu instid0(VALU_DEP_4)
	v_add_co_u32 v4, vcc_lo, s8, v4
	v_add_co_ci_u32_e32 v5, vcc_lo, s9, v5, vcc_lo
	v_dual_mov_b32 v42, v13 :: v_dual_mov_b32 v41, v12
	v_dual_mov_b32 v30, v15 :: v_dual_mov_b32 v29, v14
	;; [unrolled: 1-line block ×8, first 2 shown]
.LBB172_19:                             ; =>This Inner Loop Header: Depth=1
	global_load_b32 v6, v[4:5], off
	s_clause 0x7
	global_load_b128 v[48:51], v[41:42], off
	global_load_b128 v[52:55], v[41:42], off offset:32
	global_load_b128 v[56:59], v[41:42], off offset:64
	;; [unrolled: 1-line block ×7, first 2 shown]
	v_add_co_u32 v4, s1, v4, 64
	s_delay_alu instid0(VALU_DEP_1)
	v_add_co_ci_u32_e64 v5, s1, 0, v5, s1
	s_waitcnt vmcnt(8)
	v_subrev_nc_u32_e32 v6, s12, v6
	s_waitcnt vmcnt(7)
	v_cvt_f64_f32_e32 v[45:46], v49
	s_waitcnt vmcnt(6)
	v_cvt_f64_f32_e32 v[100:101], v54
	s_waitcnt vmcnt(5)
	v_cvt_f64_f32_e32 v[96:97], v56
	v_cvt_f64_f32_e32 v[56:57], v57
	v_lshlrev_b32_e32 v6, 2, v6
	s_waitcnt vmcnt(3)
	v_cvt_f64_f32_e32 v[98:99], v64
	v_cvt_f64_f32_e32 v[64:65], v65
	;; [unrolled: 1-line block ×4, first 2 shown]
	v_ashrrev_i32_e32 v7, 31, v6
	v_cvt_f64_f32_e32 v[58:59], v59
	v_cvt_f64_f32_e32 v[104:105], v66
	;; [unrolled: 1-line block ×3, first 2 shown]
	s_delay_alu instid0(VALU_DEP_4) | instskip(SKIP_1) | instid1(VALU_DEP_1)
	v_lshlrev_b64 v[6:7], 4, v[6:7]
	s_waitcnt lgkmcnt(0)
	v_add_co_u32 v6, vcc_lo, s4, v6
	s_delay_alu instid0(VALU_DEP_2)
	v_add_co_ci_u32_e32 v7, vcc_lo, s5, v7, vcc_lo
	v_add_co_u32 v41, vcc_lo, 0x800, v41
	v_add_co_ci_u32_e32 v42, vcc_lo, 0, v42, vcc_lo
	s_clause 0x3
	global_load_b128 v[80:83], v[6:7], off
	global_load_b128 v[84:87], v[6:7], off offset:16
	global_load_b128 v[88:91], v[6:7], off offset:32
	;; [unrolled: 1-line block ×3, first 2 shown]
	v_cvt_f64_f32_e32 v[6:7], v48
	v_cvt_f64_f32_e32 v[48:49], v52
	;; [unrolled: 1-line block ×3, first 2 shown]
	v_add_co_u32 v2, vcc_lo, v2, -4
	v_add_co_ci_u32_e32 v3, vcc_lo, -1, v3, vcc_lo
	v_add_co_u32 v43, vcc_lo, v43, 16
	v_add_co_ci_u32_e32 v44, vcc_lo, 0, v44, vcc_lo
	s_delay_alu instid0(VALU_DEP_3)
	v_cmp_eq_u64_e32 vcc_lo, 0, v[2:3]
	s_or_b32 s10, vcc_lo, s10
	s_waitcnt vmcnt(3)
	v_fma_f64 v[29:30], v[6:7], v[80:81], v[29:30]
	v_fma_f64 v[14:15], v[45:46], v[80:81], v[14:15]
	;; [unrolled: 1-line block ×8, first 2 shown]
	v_cvt_f64_f32_e32 v[80:81], v50
	v_cvt_f64_f32_e32 v[50:51], v51
	v_fma_f64 v[29:30], -v[45:46], v[82:83], v[29:30]
	v_fma_f64 v[6:7], v[6:7], v[82:83], v[14:15]
	v_fma_f64 v[14:15], -v[52:53], v[82:83], v[35:36]
	v_fma_f64 v[27:28], v[48:49], v[82:83], v[27:28]
	;; [unrolled: 2-line block ×4, first 2 shown]
	v_cvt_f64_f32_e32 v[37:38], v68
	v_cvt_f64_f32_e32 v[45:46], v69
	;; [unrolled: 1-line block ×10, first 2 shown]
	s_waitcnt vmcnt(2)
	v_fma_f64 v[29:30], v[80:81], v[84:85], v[29:30]
	v_fma_f64 v[6:7], v[50:51], v[84:85], v[6:7]
	v_fma_f64 v[14:15], v[100:101], v[84:85], v[14:15]
	v_fma_f64 v[27:28], v[54:55], v[84:85], v[27:28]
	v_fma_f64 v[35:36], v[102:103], v[84:85], v[35:36]
	v_fma_f64 v[33:34], v[58:59], v[84:85], v[33:34]
	v_fma_f64 v[25:26], v[104:105], v[84:85], v[25:26]
	v_fma_f64 v[31:32], v[66:67], v[84:85], v[31:32]
	v_fma_f64 v[29:30], -v[50:51], v[86:87], v[29:30]
	v_fma_f64 v[6:7], v[80:81], v[86:87], v[6:7]
	v_fma_f64 v[14:15], -v[54:55], v[86:87], v[14:15]
	v_fma_f64 v[27:28], v[100:101], v[86:87], v[27:28]
	;; [unrolled: 2-line block ×4, first 2 shown]
	v_cvt_f64_f32_e32 v[50:51], v70
	v_cvt_f64_f32_e32 v[54:55], v71
	;; [unrolled: 1-line block ×6, first 2 shown]
	s_waitcnt vmcnt(1)
	v_fma_f64 v[29:30], v[37:38], v[88:89], v[29:30]
	v_fma_f64 v[6:7], v[45:46], v[88:89], v[6:7]
	v_fma_f64 v[14:15], v[48:49], v[88:89], v[14:15]
	v_fma_f64 v[27:28], v[52:53], v[88:89], v[27:28]
	v_fma_f64 v[35:36], v[56:57], v[88:89], v[35:36]
	v_fma_f64 v[33:34], v[60:61], v[88:89], v[33:34]
	v_fma_f64 v[25:26], v[64:65], v[88:89], v[25:26]
	v_fma_f64 v[31:32], v[68:69], v[88:89], v[31:32]
	v_fma_f64 v[29:30], -v[45:46], v[90:91], v[29:30]
	v_fma_f64 v[6:7], v[37:38], v[90:91], v[6:7]
	v_fma_f64 v[14:15], -v[52:53], v[90:91], v[14:15]
	v_fma_f64 v[27:28], v[48:49], v[90:91], v[27:28]
	;; [unrolled: 2-line block ×4, first 2 shown]
	s_waitcnt vmcnt(0)
	v_fma_f64 v[29:30], v[50:51], v[92:93], v[29:30]
	v_fma_f64 v[6:7], v[54:55], v[92:93], v[6:7]
	v_fma_f64 v[37:38], v[58:59], v[92:93], v[14:15]
	v_fma_f64 v[27:28], v[62:63], v[92:93], v[27:28]
	v_fma_f64 v[45:46], v[66:67], v[92:93], v[35:36]
	v_fma_f64 v[33:34], v[70:71], v[92:93], v[33:34]
	v_fma_f64 v[25:26], v[72:73], v[92:93], v[25:26]
	v_fma_f64 v[31:32], v[74:75], v[92:93], v[31:32]
	v_fma_f64 v[29:30], -v[54:55], v[94:95], v[29:30]
	v_fma_f64 v[14:15], v[50:51], v[94:95], v[6:7]
	v_fma_f64 v[35:36], -v[62:63], v[94:95], v[37:38]
	v_fma_f64 v[27:28], v[58:59], v[94:95], v[27:28]
	;; [unrolled: 2-line block ×4, first 2 shown]
	s_and_not1_b32 exec_lo, exec_lo, s10
	s_cbranch_execnz .LBB172_19
; %bb.20:
	s_or_b32 exec_lo, exec_lo, s10
.LBB172_21:
	s_delay_alu instid0(SALU_CYCLE_1) | instskip(NEXT) | instid1(SALU_CYCLE_1)
	s_or_b32 exec_lo, exec_lo, s7
	s_mov_b32 s7, exec_lo
	v_cmpx_lt_u64_e32 47, v[0:1]
	s_cbranch_execz .LBB172_25
; %bb.22:
	v_lshlrev_b64 v[0:1], 2, v[43:44]
	s_mov_b32 s10, 0
	s_delay_alu instid0(VALU_DEP_1) | instskip(NEXT) | instid1(VALU_DEP_2)
	v_add_co_u32 v0, vcc_lo, v0, s8
	v_add_co_ci_u32_e32 v1, vcc_lo, s9, v1, vcc_lo
	s_delay_alu instid0(VALU_DEP_2) | instskip(NEXT) | instid1(VALU_DEP_2)
	v_add_co_u32 v45, vcc_lo, 0x80, v0
	v_add_co_ci_u32_e32 v46, vcc_lo, 0, v1, vcc_lo
.LBB172_23:                             ; =>This Inner Loop Header: Depth=1
	global_load_b32 v48, v[45:46], off offset:-128
	s_clause 0x1
	global_load_b128 v[4:7], v[41:42], off
	global_load_b128 v[0:3], v[41:42], off offset:32
	global_load_b32 v105, v[45:46], off offset:-64
	s_clause 0x1
	global_load_b128 v[49:52], v[41:42], off offset:64
	global_load_b128 v[53:56], v[41:42], off offset:96
	s_clause 0x1
	global_load_b32 v133, v[45:46], off
	global_load_b32 v135, v[45:46], off offset:64
	s_waitcnt vmcnt(7)
	v_subrev_nc_u32_e32 v48, s12, v48
	s_waitcnt vmcnt(6)
	v_cvt_f64_f32_e32 v[109:110], v4
	v_cvt_f64_f32_e32 v[4:5], v5
	s_waitcnt vmcnt(4)
	v_subrev_nc_u32_e32 v105, s12, v105
	v_cvt_f64_f32_e32 v[111:112], v0
	v_lshlrev_b32_e32 v57, 2, v48
	v_cvt_f64_f32_e32 v[0:1], v1
	s_waitcnt vmcnt(3)
	v_cvt_f64_f32_e32 v[48:49], v49
	v_lshlrev_b32_e32 v105, 2, v105
	v_cvt_f64_f32_e32 v[113:114], v50
	v_ashrrev_i32_e32 v58, 31, v57
	s_waitcnt vmcnt(2)
	v_cvt_f64_f32_e32 v[115:116], v53
	v_cvt_f64_f32_e32 v[53:54], v54
	v_ashrrev_i32_e32 v106, 31, v105
	v_cvt_f64_f32_e32 v[119:120], v7
	v_lshlrev_b64 v[57:58], 4, v[57:58]
	v_cvt_f64_f32_e32 v[121:122], v2
	v_cvt_f64_f32_e32 v[123:124], v3
	v_lshlrev_b64 v[105:106], 4, v[105:106]
	v_cvt_f64_f32_e32 v[50:51], v51
	v_cvt_f64_f32_e32 v[125:126], v52
	s_waitcnt lgkmcnt(0)
	v_add_co_u32 v85, vcc_lo, s4, v57
	v_add_co_ci_u32_e32 v86, vcc_lo, s5, v58, vcc_lo
	v_add_co_u32 v117, vcc_lo, s4, v105
	v_add_co_ci_u32_e32 v118, vcc_lo, s5, v106, vcc_lo
	s_clause 0x1
	global_load_b128 v[57:60], v[85:86], off
	global_load_b128 v[61:64], v[85:86], off offset:16
	s_clause 0x3
	global_load_b128 v[65:68], v[41:42], off offset:16
	global_load_b128 v[69:72], v[41:42], off offset:48
	;; [unrolled: 1-line block ×4, first 2 shown]
	s_clause 0x1
	global_load_b128 v[81:84], v[85:86], off offset:32
	global_load_b128 v[85:88], v[85:86], off offset:48
	s_clause 0x3
	global_load_b128 v[89:92], v[41:42], off offset:2048
	global_load_b128 v[93:96], v[41:42], off offset:2080
	;; [unrolled: 1-line block ×4, first 2 shown]
	v_cvt_f64_f32_e32 v[127:128], v55
	v_cvt_f64_f32_e32 v[55:56], v56
	global_load_b128 v[105:108], v[117:118], off
	s_waitcnt vmcnt(12)
	v_fma_f64 v[29:30], v[109:110], v[57:58], v[29:30]
	v_fma_f64 v[14:15], v[4:5], v[57:58], v[14:15]
	;; [unrolled: 1-line block ×8, first 2 shown]
	v_cvt_f64_f32_e32 v[57:58], v6
	s_waitcnt vmcnt(8)
	v_cvt_f64_f32_e32 v[129:130], v73
	v_cvt_f64_f32_e32 v[73:74], v74
	s_waitcnt vmcnt(7)
	v_cvt_f64_f32_e32 v[131:132], v77
	v_cvt_f64_f32_e32 v[77:78], v78
	v_fma_f64 v[4:5], -v[4:5], v[59:60], v[29:30]
	v_fma_f64 v[6:7], v[109:110], v[59:60], v[14:15]
	v_fma_f64 v[14:15], -v[0:1], v[59:60], v[35:36]
	global_load_b128 v[0:3], v[117:118], off offset:16
	v_fma_f64 v[27:28], v[111:112], v[59:60], v[27:28]
	v_fma_f64 v[29:30], -v[113:114], v[59:60], v[37:38]
	v_fma_f64 v[33:34], v[48:49], v[59:60], v[33:34]
	v_fma_f64 v[25:26], -v[53:54], v[59:60], v[25:26]
	v_fma_f64 v[31:32], v[115:116], v[59:60], v[31:32]
	v_cvt_f64_f32_e32 v[113:114], v65
	v_cvt_f64_f32_e32 v[65:66], v66
	;; [unrolled: 1-line block ×4, first 2 shown]
	v_fma_f64 v[37:38], v[57:58], v[61:62], v[4:5]
	v_fma_f64 v[48:49], v[119:120], v[61:62], v[6:7]
	;; [unrolled: 1-line block ×8, first 2 shown]
	s_clause 0x3
	global_load_b128 v[4:7], v[41:42], off offset:2064
	global_load_b128 v[25:28], v[41:42], off offset:2096
	;; [unrolled: 1-line block ×4, first 2 shown]
	v_fma_f64 v[37:38], -v[119:120], v[63:64], v[37:38]
	v_fma_f64 v[57:58], v[57:58], v[63:64], v[48:49]
	v_fma_f64 v[14:15], -v[123:124], v[63:64], v[14:15]
	v_cvt_f64_f32_e32 v[119:120], v72
	v_fma_f64 v[52:53], v[121:122], v[63:64], v[52:53]
	v_fma_f64 v[59:60], -v[125:126], v[63:64], v[59:60]
	v_fma_f64 v[109:110], v[50:51], v[63:64], v[109:110]
	v_fma_f64 v[54:55], -v[55:56], v[63:64], v[111:112]
	v_fma_f64 v[61:62], v[127:128], v[63:64], v[61:62]
	global_load_b128 v[48:51], v[117:118], off offset:32
	v_cvt_f64_f32_e32 v[111:112], v71
	v_cvt_f64_f32_e32 v[121:122], v75
	;; [unrolled: 1-line block ×5, first 2 shown]
	s_waitcnt vmcnt(10)
	v_cvt_f64_f32_e32 v[125:126], v89
	v_cvt_f64_f32_e32 v[89:90], v90
	s_waitcnt vmcnt(9)
	v_cvt_f64_f32_e32 v[127:128], v93
	v_cvt_f64_f32_e32 v[93:94], v94
	v_fma_f64 v[37:38], v[113:114], v[81:82], v[37:38]
	v_fma_f64 v[56:57], v[65:66], v[81:82], v[57:58]
	;; [unrolled: 1-line block ×8, first 2 shown]
	v_cvt_f64_f32_e32 v[81:82], v67
	v_cvt_f64_f32_e32 v[109:110], v68
	v_fma_f64 v[37:38], -v[65:66], v[83:84], v[37:38]
	v_fma_f64 v[56:57], v[113:114], v[83:84], v[56:57]
	v_fma_f64 v[14:15], -v[69:70], v[83:84], v[14:15]
	v_add_co_u32 v113, vcc_lo, 0x1000, v41
	v_fma_f64 v[65:66], v[115:116], v[83:84], v[52:53]
	v_fma_f64 v[58:59], -v[73:74], v[83:84], v[58:59]
	v_fma_f64 v[62:63], v[129:130], v[83:84], v[63:64]
	v_fma_f64 v[67:68], -v[77:78], v[83:84], v[54:55]
	global_load_b128 v[52:55], v[117:118], off offset:48
	v_fma_f64 v[60:61], v[131:132], v[83:84], v[60:61]
	v_add_co_ci_u32_e32 v114, vcc_lo, 0, v42, vcc_lo
	v_subrev_nc_u32_e32 v74, s12, v133
	s_waitcnt vmcnt(9)
	v_cvt_f64_f32_e32 v[129:130], v97
	v_cvt_f64_f32_e32 v[97:98], v98
	s_waitcnt vmcnt(8)
	v_cvt_f64_f32_e32 v[131:132], v101
	v_cvt_f64_f32_e32 v[101:102], v102
	v_lshlrev_b32_e32 v74, 2, v74
	v_add_co_u32 v41, s1, 0x2000, v41
	s_delay_alu instid0(VALU_DEP_1)
	v_add_co_ci_u32_e64 v42, s1, 0, v42, s1
	v_fma_f64 v[37:38], v[81:82], v[85:86], v[37:38]
	v_fma_f64 v[72:73], v[109:110], v[85:86], v[56:57]
	;; [unrolled: 1-line block ×8, first 2 shown]
	s_clause 0x3
	global_load_b128 v[56:59], v[113:114], off
	global_load_b128 v[60:63], v[113:114], off offset:32
	global_load_b128 v[64:67], v[113:114], off offset:64
	;; [unrolled: 1-line block ×3, first 2 shown]
	v_fma_f64 v[37:38], -v[109:110], v[87:88], v[37:38]
	v_fma_f64 v[81:82], v[81:82], v[87:88], v[72:73]
	v_fma_f64 v[14:15], -v[119:120], v[87:88], v[14:15]
	v_cvt_f64_f32_e32 v[119:120], v99
	v_cvt_f64_f32_e32 v[99:100], v100
	v_fma_f64 v[77:78], v[111:112], v[87:88], v[77:78]
	v_fma_f64 v[83:84], -v[75:76], v[87:88], v[83:84]
	v_fma_f64 v[109:110], v[121:122], v[87:88], v[115:116]
	v_fma_f64 v[79:80], -v[79:80], v[87:88], v[117:118]
	v_ashrrev_i32_e32 v75, 31, v74
	v_fma_f64 v[85:86], v[123:124], v[87:88], v[85:86]
	v_cvt_f64_f32_e32 v[115:116], v95
	v_cvt_f64_f32_e32 v[117:118], v96
	;; [unrolled: 1-line block ×3, first 2 shown]
	v_lshlrev_b64 v[72:73], 4, v[74:75]
	v_cvt_f64_f32_e32 v[103:104], v104
	s_delay_alu instid0(VALU_DEP_2) | instskip(NEXT) | instid1(VALU_DEP_3)
	v_add_co_u32 v111, vcc_lo, s4, v72
	v_add_co_ci_u32_e32 v112, vcc_lo, s5, v73, vcc_lo
	global_load_b128 v[72:75], v[111:112], off
	s_waitcnt vmcnt(12)
	v_fma_f64 v[37:38], v[125:126], v[105:106], v[37:38]
	v_fma_f64 v[81:82], v[89:90], v[105:106], v[81:82]
	;; [unrolled: 1-line block ×7, first 2 shown]
	v_cvt_f64_f32_e32 v[109:110], v92
	v_fma_f64 v[85:86], v[101:102], v[105:106], v[85:86]
	v_cvt_f64_f32_e32 v[105:106], v91
	v_fma_f64 v[37:38], -v[89:90], v[107:108], v[37:38]
	v_fma_f64 v[80:81], v[125:126], v[107:108], v[81:82]
	v_fma_f64 v[14:15], -v[93:94], v[107:108], v[14:15]
	v_fma_f64 v[89:90], v[127:128], v[107:108], v[76:77]
	;; [unrolled: 2-line block ×3, first 2 shown]
	v_fma_f64 v[91:92], -v[101:102], v[107:108], v[78:79]
	global_load_b128 v[76:79], v[111:112], off offset:16
	v_fma_f64 v[84:85], v[131:132], v[107:108], v[85:86]
	s_waitcnt vmcnt(12)
	v_fma_f64 v[37:38], v[105:106], v[0:1], v[37:38]
	v_fma_f64 v[96:97], v[109:110], v[0:1], v[80:81]
	;; [unrolled: 1-line block ×8, first 2 shown]
	s_clause 0x3
	global_load_b128 v[80:83], v[113:114], off offset:16
	global_load_b128 v[84:87], v[113:114], off offset:48
	;; [unrolled: 1-line block ×4, first 2 shown]
	s_waitcnt vmcnt(15)
	v_cvt_f64_f32_e32 v[127:128], v4
	v_cvt_f64_f32_e32 v[4:5], v5
	s_waitcnt vmcnt(14)
	v_cvt_f64_f32_e32 v[129:130], v25
	v_cvt_f64_f32_e32 v[25:26], v26
	;; [unrolled: 3-line block ×4, first 2 shown]
	v_fma_f64 v[37:38], -v[109:110], v[2:3], v[37:38]
	v_fma_f64 v[96:97], v[105:106], v[2:3], v[96:97]
	v_fma_f64 v[14:15], -v[117:118], v[2:3], v[14:15]
	v_cvt_f64_f32_e32 v[109:110], v7
	v_cvt_f64_f32_e32 v[117:118], v28
	v_fma_f64 v[101:102], v[115:116], v[2:3], v[101:102]
	v_fma_f64 v[98:99], -v[99:100], v[2:3], v[107:108]
	v_fma_f64 v[105:106], v[119:120], v[2:3], v[123:124]
	v_fma_f64 v[103:104], -v[103:104], v[2:3], v[125:126]
	v_cvt_f64_f32_e32 v[115:116], v27
	v_fma_f64 v[107:108], v[121:122], v[2:3], v[0:1]
	global_load_b128 v[0:3], v[111:112], off offset:32
	v_cvt_f64_f32_e32 v[119:120], v31
	v_cvt_f64_f32_e32 v[121:122], v32
	;; [unrolled: 1-line block ×4, first 2 shown]
	s_waitcnt vmcnt(12)
	v_fma_f64 v[37:38], v[127:128], v[48:49], v[37:38]
	v_fma_f64 v[96:97], v[4:5], v[48:49], v[96:97]
	;; [unrolled: 1-line block ×8, first 2 shown]
	v_cvt_f64_f32_e32 v[107:108], v6
	v_fma_f64 v[27:28], -v[4:5], v[50:51], v[37:38]
	global_load_b128 v[4:7], v[111:112], off offset:48
	v_fma_f64 v[31:32], v[127:128], v[50:51], v[96:97]
	v_fma_f64 v[14:15], -v[25:26], v[50:51], v[14:15]
	v_fma_f64 v[25:26], v[129:130], v[50:51], v[100:101]
	v_fma_f64 v[29:30], -v[29:30], v[50:51], v[98:99]
	;; [unrolled: 2-line block ×3, first 2 shown]
	v_fma_f64 v[37:38], v[133:134], v[50:51], v[48:49]
	s_waitcnt vmcnt(12)
	v_fma_f64 v[96:97], v[107:108], v[52:53], v[27:28]
	v_fma_f64 v[98:99], v[109:110], v[52:53], v[31:32]
	;; [unrolled: 1-line block ×7, first 2 shown]
	s_clause 0x3
	global_load_b128 v[25:28], v[113:114], off offset:2048
	global_load_b128 v[29:32], v[113:114], off offset:2080
	;; [unrolled: 1-line block ×4, first 2 shown]
	v_fma_f64 v[37:38], v[125:126], v[52:53], v[37:38]
	v_subrev_nc_u32_e32 v52, s12, v135
	s_delay_alu instid0(VALU_DEP_1) | instskip(NEXT) | instid1(VALU_DEP_1)
	v_lshlrev_b32_e32 v52, 2, v52
	v_ashrrev_i32_e32 v53, 31, v52
	s_waitcnt vmcnt(15)
	v_cvt_f64_f32_e32 v[127:128], v56
	v_cvt_f64_f32_e32 v[56:57], v57
	s_waitcnt vmcnt(14)
	v_cvt_f64_f32_e32 v[129:130], v60
	v_cvt_f64_f32_e32 v[60:61], v61
	;; [unrolled: 3-line block ×4, first 2 shown]
	v_lshlrev_b64 v[52:53], 4, v[52:53]
	v_cvt_f64_f32_e32 v[135:136], v71
	v_fma_f64 v[96:97], -v[109:110], v[54:55], v[96:97]
	v_fma_f64 v[98:99], v[107:108], v[54:55], v[98:99]
	v_fma_f64 v[14:15], -v[117:118], v[54:55], v[14:15]
	v_add_co_u32 v108, vcc_lo, s4, v52
	v_fma_f64 v[100:101], v[115:116], v[54:55], v[100:101]
	v_fma_f64 v[102:103], -v[121:122], v[54:55], v[102:103]
	v_fma_f64 v[104:105], v[119:120], v[54:55], v[104:105]
	v_fma_f64 v[106:107], -v[125:126], v[54:55], v[111:112]
	v_fma_f64 v[37:38], v[123:124], v[54:55], v[37:38]
	v_add_co_ci_u32_e32 v109, vcc_lo, s5, v53, vcc_lo
	v_cvt_f64_f32_e32 v[110:111], v58
	v_cvt_f64_f32_e32 v[115:116], v59
	;; [unrolled: 1-line block ×3, first 2 shown]
	global_load_b128 v[52:55], v[108:109], off
	v_cvt_f64_f32_e32 v[119:120], v63
	v_cvt_f64_f32_e32 v[121:122], v66
	;; [unrolled: 1-line block ×4, first 2 shown]
	v_add_co_u32 v43, vcc_lo, v43, 64
	v_add_co_ci_u32_e32 v44, vcc_lo, 0, v44, vcc_lo
	v_add_co_u32 v45, vcc_lo, 0x100, v45
	v_add_co_ci_u32_e32 v46, vcc_lo, 0, v46, vcc_lo
	s_delay_alu instid0(VALU_DEP_3)
	v_cmp_ge_i64_e32 vcc_lo, v[43:44], v[10:11]
	s_or_b32 s10, vcc_lo, s10
	s_waitcnt vmcnt(12)
	v_fma_f64 v[96:97], v[127:128], v[72:73], v[96:97]
	v_fma_f64 v[98:99], v[56:57], v[72:73], v[98:99]
	;; [unrolled: 1-line block ×8, first 2 shown]
	v_fma_f64 v[62:63], -v[56:57], v[74:75], v[96:97]
	global_load_b128 v[56:59], v[108:109], off offset:16
	v_fma_f64 v[66:67], v[127:128], v[74:75], v[98:99]
	v_fma_f64 v[14:15], -v[60:61], v[74:75], v[14:15]
	v_fma_f64 v[60:61], v[129:130], v[74:75], v[100:101]
	v_fma_f64 v[64:65], -v[64:65], v[74:75], v[102:103]
	;; [unrolled: 2-line block ×3, first 2 shown]
	v_fma_f64 v[37:38], v[133:134], v[74:75], v[37:38]
	s_waitcnt vmcnt(12)
	v_fma_f64 v[96:97], v[110:111], v[76:77], v[62:63]
	v_fma_f64 v[98:99], v[115:116], v[76:77], v[66:67]
	;; [unrolled: 1-line block ×8, first 2 shown]
	s_clause 0x3
	global_load_b128 v[60:63], v[113:114], off offset:2064
	global_load_b128 v[64:67], v[113:114], off offset:2096
	;; [unrolled: 1-line block ×4, first 2 shown]
	s_waitcnt vmcnt(15)
	v_cvt_f64_f32_e32 v[112:113], v80
	v_cvt_f64_f32_e32 v[80:81], v81
	s_waitcnt vmcnt(14)
	v_cvt_f64_f32_e32 v[127:128], v84
	v_cvt_f64_f32_e32 v[84:85], v85
	;; [unrolled: 3-line block ×4, first 2 shown]
	v_fma_f64 v[96:97], -v[115:116], v[78:79], v[96:97]
	v_cvt_f64_f32_e32 v[114:115], v90
	v_fma_f64 v[98:99], v[110:111], v[78:79], v[98:99]
	v_fma_f64 v[14:15], -v[119:120], v[78:79], v[14:15]
	v_fma_f64 v[100:101], v[117:118], v[78:79], v[100:101]
	v_fma_f64 v[102:103], -v[123:124], v[78:79], v[102:103]
	;; [unrolled: 2-line block ×3, first 2 shown]
	v_fma_f64 v[37:38], v[125:126], v[78:79], v[37:38]
	global_load_b128 v[76:79], v[108:109], off offset:32
	v_cvt_f64_f32_e32 v[110:111], v86
	v_cvt_f64_f32_e32 v[86:87], v87
	;; [unrolled: 1-line block ×5, first 2 shown]
	s_waitcnt vmcnt(12)
	v_fma_f64 v[96:97], v[112:113], v[0:1], v[96:97]
	v_fma_f64 v[98:99], v[80:81], v[0:1], v[98:99]
	;; [unrolled: 1-line block ×8, first 2 shown]
	v_cvt_f64_f32_e32 v[37:38], v82
	v_cvt_f64_f32_e32 v[82:83], v83
	v_fma_f64 v[80:81], -v[80:81], v[2:3], v[96:97]
	v_fma_f64 v[96:97], v[112:113], v[2:3], v[98:99]
	v_fma_f64 v[14:15], -v[84:85], v[2:3], v[14:15]
	v_fma_f64 v[84:85], v[127:128], v[2:3], v[100:101]
	;; [unrolled: 2-line block ×4, first 2 shown]
	global_load_b128 v[0:3], v[108:109], off offset:48
	s_waitcnt vmcnt(12)
	v_fma_f64 v[80:81], v[37:38], v[4:5], v[80:81]
	v_fma_f64 v[96:97], v[82:83], v[4:5], v[96:97]
	;; [unrolled: 1-line block ×8, first 2 shown]
	s_waitcnt vmcnt(11)
	v_cvt_f64_f32_e32 v[100:101], v25
	v_cvt_f64_f32_e32 v[25:26], v26
	s_waitcnt vmcnt(10)
	v_cvt_f64_f32_e32 v[102:103], v29
	v_cvt_f64_f32_e32 v[29:30], v30
	;; [unrolled: 3-line block ×4, first 2 shown]
	v_fma_f64 v[80:81], -v[82:83], v[6:7], v[80:81]
	v_fma_f64 v[37:38], v[37:38], v[6:7], v[96:97]
	v_fma_f64 v[14:15], -v[86:87], v[6:7], v[14:15]
	v_fma_f64 v[82:83], v[110:111], v[6:7], v[84:85]
	;; [unrolled: 2-line block ×4, first 2 shown]
	v_cvt_f64_f32_e32 v[90:91], v35
	v_cvt_f64_f32_e32 v[35:36], v36
	;; [unrolled: 1-line block ×4, first 2 shown]
	s_waitcnt vmcnt(7)
	v_fma_f64 v[6:7], v[100:101], v[52:53], v[80:81]
	v_fma_f64 v[37:38], v[25:26], v[52:53], v[37:38]
	;; [unrolled: 1-line block ×8, first 2 shown]
	v_cvt_f64_f32_e32 v[52:53], v27
	v_cvt_f64_f32_e32 v[27:28], v28
	;; [unrolled: 1-line block ×4, first 2 shown]
	v_fma_f64 v[6:7], -v[25:26], v[54:55], v[6:7]
	v_fma_f64 v[25:26], v[100:101], v[54:55], v[37:38]
	v_fma_f64 v[14:15], -v[29:30], v[54:55], v[14:15]
	v_fma_f64 v[29:30], v[102:103], v[54:55], v[80:81]
	;; [unrolled: 2-line block ×4, first 2 shown]
	s_waitcnt vmcnt(6)
	v_fma_f64 v[6:7], v[52:53], v[56:57], v[6:7]
	v_fma_f64 v[25:26], v[27:28], v[56:57], v[25:26]
	;; [unrolled: 1-line block ×8, first 2 shown]
	s_waitcnt vmcnt(5)
	v_cvt_f64_f32_e32 v[54:55], v60
	v_cvt_f64_f32_e32 v[56:57], v61
	s_waitcnt vmcnt(4)
	v_cvt_f64_f32_e32 v[60:61], v64
	v_cvt_f64_f32_e32 v[64:65], v65
	s_waitcnt vmcnt(3)
	v_cvt_f64_f32_e32 v[80:81], v68
	v_cvt_f64_f32_e32 v[68:69], v69
	s_waitcnt vmcnt(2)
	v_cvt_f64_f32_e32 v[82:83], v72
	v_cvt_f64_f32_e32 v[72:73], v73
	v_fma_f64 v[6:7], -v[27:28], v[58:59], v[6:7]
	v_fma_f64 v[25:26], v[52:53], v[58:59], v[25:26]
	v_fma_f64 v[14:15], -v[31:32], v[58:59], v[14:15]
	v_fma_f64 v[27:28], v[88:89], v[58:59], v[29:30]
	;; [unrolled: 2-line block ×4, first 2 shown]
	v_cvt_f64_f32_e32 v[35:36], v62
	v_cvt_f64_f32_e32 v[37:38], v63
	;; [unrolled: 1-line block ×8, first 2 shown]
	s_waitcnt vmcnt(1)
	v_fma_f64 v[6:7], v[54:55], v[76:77], v[6:7]
	v_fma_f64 v[25:26], v[56:57], v[76:77], v[25:26]
	;; [unrolled: 1-line block ×8, first 2 shown]
	v_fma_f64 v[6:7], -v[56:57], v[78:79], v[6:7]
	v_fma_f64 v[25:26], v[54:55], v[78:79], v[25:26]
	v_fma_f64 v[14:15], -v[64:65], v[78:79], v[14:15]
	v_fma_f64 v[27:28], v[60:61], v[78:79], v[27:28]
	;; [unrolled: 2-line block ×4, first 2 shown]
	s_waitcnt vmcnt(0)
	v_fma_f64 v[6:7], v[35:36], v[0:1], v[6:7]
	v_fma_f64 v[25:26], v[37:38], v[0:1], v[25:26]
	;; [unrolled: 1-line block ×8, first 2 shown]
	v_fma_f64 v[29:30], -v[37:38], v[2:3], v[6:7]
	v_fma_f64 v[14:15], v[35:36], v[2:3], v[25:26]
	v_fma_f64 v[35:36], -v[50:51], v[2:3], v[54:55]
	v_fma_f64 v[27:28], v[48:49], v[2:3], v[27:28]
	;; [unrolled: 2-line block ×4, first 2 shown]
	s_and_not1_b32 exec_lo, exec_lo, s10
	s_cbranch_execnz .LBB172_23
; %bb.24:
	s_or_b32 exec_lo, exec_lo, s10
.LBB172_25:
	s_delay_alu instid0(SALU_CYCLE_1)
	s_or_b32 exec_lo, exec_lo, s7
.LBB172_26:
	s_delay_alu instid0(SALU_CYCLE_1)
	s_or_b32 exec_lo, exec_lo, s6
	s_cbranch_execz .LBB172_28
	s_branch .LBB172_39
.LBB172_27:
                                        ; implicit-def: $vgpr14_vgpr15
                                        ; implicit-def: $vgpr29_vgpr30
                                        ; implicit-def: $vgpr27_vgpr28
                                        ; implicit-def: $vgpr35_vgpr36
                                        ; implicit-def: $vgpr33_vgpr34
                                        ; implicit-def: $vgpr37_vgpr38
                                        ; implicit-def: $vgpr31_vgpr32
                                        ; implicit-def: $vgpr25_vgpr26
.LBB172_28:
	v_mov_b32_e32 v14, 0
	v_mov_b32_e32 v15, 0
	s_delay_alu instid0(VALU_DEP_1)
	v_dual_mov_b32 v30, v15 :: v_dual_mov_b32 v29, v14
	v_dual_mov_b32 v28, v15 :: v_dual_mov_b32 v27, v14
	;; [unrolled: 1-line block ×7, first 2 shown]
	s_and_saveexec_b32 s1, s0
	s_cbranch_execz .LBB172_38
; %bb.29:
	v_or_b32_e32 v0, 16, v47
	v_not_b32_e32 v3, v39
	v_not_b32_e32 v2, v40
	s_mov_b32 s7, 0
	s_mov_b32 s6, exec_lo
	v_sub_co_u32 v0, s0, v0, s12
	s_delay_alu instid0(VALU_DEP_1) | instskip(SKIP_1) | instid1(VALU_DEP_3)
	v_sub_co_ci_u32_e64 v1, null, 0, 0, s0
	v_sub_co_u32 v4, s0, s12, v47
	v_add_co_u32 v0, vcc_lo, v0, v39
	s_delay_alu instid0(VALU_DEP_3) | instskip(SKIP_1) | instid1(VALU_DEP_2)
	v_add_co_ci_u32_e32 v1, vcc_lo, v1, v40, vcc_lo
	v_sub_co_ci_u32_e64 v5, null, 0, 0, s0
	v_cmp_gt_i64_e32 vcc_lo, v[0:1], v[10:11]
	v_dual_cndmask_b32 v1, v11, v1 :: v_dual_cndmask_b32 v0, v10, v0
	v_add_co_u32 v3, vcc_lo, v4, v3
	s_delay_alu instid0(VALU_DEP_4) | instskip(NEXT) | instid1(VALU_DEP_2)
	v_add_co_ci_u32_e32 v2, vcc_lo, v5, v2, vcc_lo
	v_add_co_u32 v0, vcc_lo, v3, v0
	s_delay_alu instid0(VALU_DEP_2) | instskip(NEXT) | instid1(VALU_DEP_2)
	v_add_co_ci_u32_e32 v1, vcc_lo, v2, v1, vcc_lo
	v_lshrrev_b32_e32 v2, 4, v0
	v_mov_b32_e32 v25, 0
	v_mov_b32_e32 v26, 0
	s_delay_alu instid0(VALU_DEP_2) | instskip(NEXT) | instid1(VALU_DEP_2)
	v_mov_b32_e32 v14, v25
	v_dual_mov_b32 v15, v26 :: v_dual_add_nc_u32 v2, 1, v2
	v_mov_b32_e32 v34, v26
	v_mov_b32_e32 v36, v26
	;; [unrolled: 1-line block ×3, first 2 shown]
	v_dual_mov_b32 v30, v26 :: v_dual_mov_b32 v29, v25
	v_dual_mov_b32 v32, v26 :: v_dual_mov_b32 v31, v25
	;; [unrolled: 1-line block ×3, first 2 shown]
	v_dual_mov_b32 v33, v25 :: v_dual_and_b32 v2, 3, v2
	v_mov_b32_e32 v35, v25
	v_mov_b32_e32 v27, v25
	s_delay_alu instid0(VALU_DEP_3)
	v_cmpx_ne_u32_e32 0, v2
	s_cbranch_execz .LBB172_33
; %bb.30:
	v_lshlrev_b64 v[4:5], 2, v[8:9]
	v_dual_mov_b32 v3, 0 :: v_dual_mov_b32 v14, 0
	v_dual_mov_b32 v15, 0 :: v_dual_lshlrev_b32 v2, 2, v2
	s_delay_alu instid0(VALU_DEP_3) | instskip(NEXT) | instid1(VALU_DEP_4)
	v_add_co_u32 v4, vcc_lo, s8, v4
	v_add_co_ci_u32_e32 v5, vcc_lo, s9, v5, vcc_lo
	s_delay_alu instid0(VALU_DEP_3)
	v_dual_mov_b32 v30, v15 :: v_dual_mov_b32 v29, v14
	v_dual_mov_b32 v28, v15 :: v_dual_mov_b32 v27, v14
	v_dual_mov_b32 v36, v15 :: v_dual_mov_b32 v35, v14
	v_dual_mov_b32 v34, v15 :: v_dual_mov_b32 v33, v14
	v_dual_mov_b32 v38, v15 :: v_dual_mov_b32 v37, v14
	v_dual_mov_b32 v32, v15 :: v_dual_mov_b32 v31, v14
	v_dual_mov_b32 v26, v15 :: v_dual_mov_b32 v25, v14
.LBB172_31:                             ; =>This Inner Loop Header: Depth=1
	global_load_b32 v6, v[4:5], off
	s_clause 0x1
	global_load_b128 v[39:42], v[12:13], off
	global_load_b128 v[43:46], v[12:13], off offset:16
	v_add_co_u32 v4, s0, v4, 64
	s_delay_alu instid0(VALU_DEP_1)
	v_add_co_ci_u32_e64 v5, s0, 0, v5, s0
	s_waitcnt vmcnt(2)
	v_subrev_nc_u32_e32 v6, s12, v6
	s_waitcnt vmcnt(1)
	v_cvt_f64_f32_e32 v[88:89], v41
	v_cvt_f64_f32_e32 v[41:42], v42
	s_waitcnt vmcnt(0)
	v_cvt_f64_f32_e32 v[90:91], v43
	v_cvt_f64_f32_e32 v[43:44], v44
	v_lshlrev_b32_e32 v6, 2, v6
	v_cvt_f64_f32_e32 v[92:93], v45
	v_cvt_f64_f32_e32 v[45:46], v46
	s_delay_alu instid0(VALU_DEP_3) | instskip(NEXT) | instid1(VALU_DEP_1)
	v_ashrrev_i32_e32 v7, 31, v6
	v_lshlrev_b64 v[6:7], 4, v[6:7]
	s_waitcnt lgkmcnt(0)
	s_delay_alu instid0(VALU_DEP_1) | instskip(NEXT) | instid1(VALU_DEP_2)
	v_add_co_u32 v6, vcc_lo, s4, v6
	v_add_co_ci_u32_e32 v7, vcc_lo, s5, v7, vcc_lo
	s_clause 0x1
	global_load_b128 v[48:51], v[6:7], off
	global_load_b128 v[52:55], v[6:7], off offset:16
	s_clause 0x3
	global_load_b128 v[56:59], v[12:13], off offset:32
	global_load_b128 v[60:63], v[12:13], off offset:48
	;; [unrolled: 1-line block ×4, first 2 shown]
	s_clause 0x1
	global_load_b128 v[72:75], v[6:7], off offset:32
	global_load_b128 v[76:79], v[6:7], off offset:48
	s_clause 0x1
	global_load_b128 v[80:83], v[12:13], off offset:96
	global_load_b128 v[84:87], v[12:13], off offset:112
	v_cvt_f64_f32_e32 v[6:7], v39
	v_cvt_f64_f32_e32 v[39:40], v40
	v_add_co_u32 v12, vcc_lo, 0x800, v12
	v_add_co_ci_u32_e32 v13, vcc_lo, 0, v13, vcc_lo
	v_add_co_u32 v2, vcc_lo, v2, -4
	v_add_co_ci_u32_e32 v3, vcc_lo, -1, v3, vcc_lo
	v_add_co_u32 v8, vcc_lo, v8, 16
	v_add_co_ci_u32_e32 v9, vcc_lo, 0, v9, vcc_lo
	s_delay_alu instid0(VALU_DEP_3)
	v_cmp_eq_u64_e32 vcc_lo, 0, v[2:3]
	s_or_b32 s7, vcc_lo, s7
	s_waitcnt vmcnt(9)
	v_fma_f64 v[29:30], v[6:7], v[48:49], v[29:30]
	v_fma_f64 v[14:15], v[39:40], v[48:49], v[14:15]
	;; [unrolled: 1-line block ×8, first 2 shown]
	s_waitcnt vmcnt(7)
	v_cvt_f64_f32_e32 v[48:49], v56
	v_cvt_f64_f32_e32 v[56:57], v57
	;; [unrolled: 1-line block ×4, first 2 shown]
	s_waitcnt vmcnt(6)
	v_cvt_f64_f32_e32 v[96:97], v60
	v_cvt_f64_f32_e32 v[60:61], v61
	;; [unrolled: 1-line block ×4, first 2 shown]
	v_fma_f64 v[29:30], -v[39:40], v[50:51], v[29:30]
	v_fma_f64 v[6:7], v[6:7], v[50:51], v[14:15]
	v_fma_f64 v[14:15], -v[41:42], v[50:51], v[35:36]
	v_fma_f64 v[27:28], v[88:89], v[50:51], v[27:28]
	;; [unrolled: 2-line block ×4, first 2 shown]
	s_waitcnt vmcnt(5)
	v_cvt_f64_f32_e32 v[37:38], v64
	v_cvt_f64_f32_e32 v[39:40], v65
	v_cvt_f64_f32_e32 v[41:42], v66
	v_cvt_f64_f32_e32 v[43:44], v67
	s_waitcnt vmcnt(4)
	v_cvt_f64_f32_e32 v[45:46], v68
	v_cvt_f64_f32_e32 v[50:51], v69
	;; [unrolled: 1-line block ×3, first 2 shown]
	s_waitcnt vmcnt(0)
	v_cvt_f64_f32_e32 v[66:67], v86
	v_cvt_f64_f32_e32 v[68:69], v87
	v_fma_f64 v[29:30], v[48:49], v[52:53], v[29:30]
	v_fma_f64 v[6:7], v[56:57], v[52:53], v[6:7]
	v_fma_f64 v[14:15], v[94:95], v[52:53], v[14:15]
	v_fma_f64 v[27:28], v[58:59], v[52:53], v[27:28]
	v_fma_f64 v[35:36], v[96:97], v[52:53], v[35:36]
	v_fma_f64 v[33:34], v[60:61], v[52:53], v[33:34]
	v_fma_f64 v[25:26], v[98:99], v[52:53], v[25:26]
	v_fma_f64 v[31:32], v[62:63], v[52:53], v[31:32]
	v_cvt_f64_f32_e32 v[52:53], v70
	v_fma_f64 v[29:30], -v[56:57], v[54:55], v[29:30]
	v_fma_f64 v[6:7], v[48:49], v[54:55], v[6:7]
	v_fma_f64 v[14:15], -v[58:59], v[54:55], v[14:15]
	v_fma_f64 v[27:28], v[94:95], v[54:55], v[27:28]
	;; [unrolled: 2-line block ×4, first 2 shown]
	v_cvt_f64_f32_e32 v[48:49], v80
	v_cvt_f64_f32_e32 v[54:55], v81
	;; [unrolled: 1-line block ×6, first 2 shown]
	v_fma_f64 v[29:30], v[37:38], v[72:73], v[29:30]
	v_fma_f64 v[6:7], v[39:40], v[72:73], v[6:7]
	;; [unrolled: 1-line block ×8, first 2 shown]
	v_fma_f64 v[29:30], -v[39:40], v[74:75], v[29:30]
	v_fma_f64 v[6:7], v[37:38], v[74:75], v[6:7]
	v_fma_f64 v[14:15], -v[43:44], v[74:75], v[14:15]
	v_fma_f64 v[27:28], v[41:42], v[74:75], v[27:28]
	;; [unrolled: 2-line block ×4, first 2 shown]
	v_fma_f64 v[29:30], v[48:49], v[76:77], v[29:30]
	v_fma_f64 v[6:7], v[54:55], v[76:77], v[6:7]
	;; [unrolled: 1-line block ×8, first 2 shown]
	v_fma_f64 v[29:30], -v[54:55], v[78:79], v[29:30]
	v_fma_f64 v[14:15], v[48:49], v[78:79], v[6:7]
	v_fma_f64 v[35:36], -v[58:59], v[78:79], v[37:38]
	v_fma_f64 v[27:28], v[56:57], v[78:79], v[27:28]
	;; [unrolled: 2-line block ×4, first 2 shown]
	s_and_not1_b32 exec_lo, exec_lo, s7
	s_cbranch_execnz .LBB172_31
; %bb.32:
	s_or_b32 exec_lo, exec_lo, s7
.LBB172_33:
	s_delay_alu instid0(SALU_CYCLE_1) | instskip(NEXT) | instid1(SALU_CYCLE_1)
	s_or_b32 exec_lo, exec_lo, s6
	s_mov_b32 s6, exec_lo
	v_cmpx_lt_u64_e32 47, v[0:1]
	s_cbranch_execz .LBB172_37
; %bb.34:
	v_lshlrev_b64 v[0:1], 2, v[8:9]
	s_mov_b32 s7, 0
	s_delay_alu instid0(VALU_DEP_1) | instskip(NEXT) | instid1(VALU_DEP_2)
	v_add_co_u32 v0, vcc_lo, v0, s8
	v_add_co_ci_u32_e32 v1, vcc_lo, s9, v1, vcc_lo
	s_delay_alu instid0(VALU_DEP_2) | instskip(NEXT) | instid1(VALU_DEP_2)
	v_add_co_u32 v4, vcc_lo, 0x80, v0
	v_add_co_ci_u32_e32 v5, vcc_lo, 0, v1, vcc_lo
.LBB172_35:                             ; =>This Inner Loop Header: Depth=1
	global_load_b32 v6, v[4:5], off offset:-128
	global_load_b128 v[0:3], v[12:13], off
	global_load_b32 v98, v[4:5], off offset:-64
	global_load_b128 v[39:42], v[12:13], off offset:16
	s_clause 0x1
	global_load_b32 v122, v[4:5], off
	global_load_b32 v128, v[4:5], off offset:64
	s_waitcnt vmcnt(5)
	v_subrev_nc_u32_e32 v6, s12, v6
	s_waitcnt vmcnt(4)
	v_cvt_f64_f32_e32 v[92:93], v1
	v_cvt_f64_f32_e32 v[94:95], v2
	;; [unrolled: 1-line block ×3, first 2 shown]
	s_waitcnt vmcnt(2)
	v_cvt_f64_f32_e32 v[100:101], v41
	v_lshlrev_b32_e32 v6, 2, v6
	v_cvt_f64_f32_e32 v[41:42], v42
	s_delay_alu instid0(VALU_DEP_2) | instskip(NEXT) | instid1(VALU_DEP_1)
	v_ashrrev_i32_e32 v7, 31, v6
	v_lshlrev_b64 v[6:7], 4, v[6:7]
	s_waitcnt lgkmcnt(0)
	s_delay_alu instid0(VALU_DEP_1) | instskip(NEXT) | instid1(VALU_DEP_2)
	v_add_co_u32 v6, vcc_lo, s4, v6
	v_add_co_ci_u32_e32 v7, vcc_lo, s5, v7, vcc_lo
	global_load_b128 v[43:46], v[6:7], off
	s_clause 0x1
	global_load_b128 v[48:51], v[12:13], off offset:32
	global_load_b128 v[52:55], v[12:13], off offset:48
	global_load_b128 v[56:59], v[6:7], off offset:16
	s_clause 0x1
	global_load_b128 v[60:63], v[12:13], off offset:64
	global_load_b128 v[64:67], v[12:13], off offset:80
	global_load_b128 v[68:71], v[6:7], off offset:32
	s_clause 0x1
	global_load_b128 v[72:75], v[12:13], off offset:96
	global_load_b128 v[76:79], v[12:13], off offset:112
	global_load_b128 v[80:83], v[6:7], off offset:48
	s_clause 0x1
	global_load_b128 v[84:87], v[12:13], off offset:2048
	global_load_b128 v[88:91], v[12:13], off offset:2064
	v_cvt_f64_f32_e32 v[6:7], v0
	v_subrev_nc_u32_e32 v0, s12, v98
	v_cvt_f64_f32_e32 v[98:99], v39
	v_cvt_f64_f32_e32 v[39:40], v40
	s_delay_alu instid0(VALU_DEP_3) | instskip(NEXT) | instid1(VALU_DEP_1)
	v_lshlrev_b32_e32 v0, 2, v0
	v_ashrrev_i32_e32 v1, 31, v0
	s_delay_alu instid0(VALU_DEP_1) | instskip(NEXT) | instid1(VALU_DEP_1)
	v_lshlrev_b64 v[0:1], 4, v[0:1]
	v_add_co_u32 v102, vcc_lo, s4, v0
	s_delay_alu instid0(VALU_DEP_2)
	v_add_co_ci_u32_e32 v103, vcc_lo, s5, v1, vcc_lo
	global_load_b128 v[0:3], v[102:103], off
	s_waitcnt vmcnt(12)
	v_fma_f64 v[104:105], v[6:7], v[43:44], v[29:30]
	v_fma_f64 v[14:15], v[92:93], v[43:44], v[14:15]
	;; [unrolled: 1-line block ×8, first 2 shown]
	s_clause 0x1
	global_load_b128 v[25:28], v[12:13], off offset:2080
	global_load_b128 v[29:32], v[12:13], off offset:2096
	s_waitcnt vmcnt(13)
	v_cvt_f64_f32_e32 v[110:111], v48
	v_cvt_f64_f32_e32 v[48:49], v49
	v_cvt_f64_f32_e32 v[112:113], v50
	v_cvt_f64_f32_e32 v[50:51], v51
	s_waitcnt vmcnt(12)
	v_cvt_f64_f32_e32 v[114:115], v52
	v_cvt_f64_f32_e32 v[52:53], v53
	v_cvt_f64_f32_e32 v[116:117], v54
	v_cvt_f64_f32_e32 v[54:55], v55
	s_waitcnt vmcnt(9)
	v_cvt_f64_f32_e32 v[118:119], v64
	v_cvt_f64_f32_e32 v[64:65], v65
	v_cvt_f64_f32_e32 v[120:121], v66
	v_cvt_f64_f32_e32 v[66:67], v67
	v_fma_f64 v[92:93], -v[92:93], v[45:46], v[104:105]
	v_fma_f64 v[6:7], v[6:7], v[45:46], v[14:15]
	v_fma_f64 v[14:15], -v[96:97], v[45:46], v[35:36]
	v_fma_f64 v[94:95], v[94:95], v[45:46], v[106:107]
	;; [unrolled: 2-line block ×4, first 2 shown]
	global_load_b128 v[33:36], v[102:103], off offset:16
	v_cvt_f64_f32_e32 v[100:101], v60
	v_cvt_f64_f32_e32 v[104:105], v61
	;; [unrolled: 1-line block ×4, first 2 shown]
	v_fma_f64 v[45:46], v[110:111], v[56:57], v[92:93]
	v_fma_f64 v[6:7], v[48:49], v[56:57], v[6:7]
	;; [unrolled: 1-line block ×8, first 2 shown]
	s_clause 0x1
	global_load_b128 v[37:40], v[12:13], off offset:2112
	global_load_b128 v[41:44], v[12:13], off offset:2128
	v_fma_f64 v[45:46], -v[48:49], v[58:59], v[45:46]
	v_fma_f64 v[6:7], v[110:111], v[58:59], v[6:7]
	v_fma_f64 v[14:15], -v[50:51], v[58:59], v[14:15]
	v_fma_f64 v[60:61], v[112:113], v[58:59], v[92:93]
	;; [unrolled: 2-line block ×4, first 2 shown]
	s_clause 0x1
	global_load_b128 v[48:51], v[102:103], off offset:32
	global_load_b128 v[52:55], v[102:103], off offset:48
	s_waitcnt vmcnt(12)
	v_cvt_f64_f32_e32 v[102:103], v72
	v_cvt_f64_f32_e32 v[72:73], v73
	;; [unrolled: 1-line block ×4, first 2 shown]
	s_waitcnt vmcnt(11)
	v_cvt_f64_f32_e32 v[112:113], v76
	v_cvt_f64_f32_e32 v[76:77], v77
	v_cvt_f64_f32_e32 v[114:115], v78
	v_cvt_f64_f32_e32 v[78:79], v79
	s_waitcnt vmcnt(9)
	v_cvt_f64_f32_e32 v[116:117], v87
	v_fma_f64 v[45:46], v[100:101], v[68:69], v[45:46]
	v_fma_f64 v[6:7], v[104:105], v[68:69], v[6:7]
	;; [unrolled: 1-line block ×8, first 2 shown]
	s_clause 0x1
	global_load_b128 v[56:59], v[12:13], off offset:2144
	global_load_b128 v[60:63], v[12:13], off offset:2160
	v_fma_f64 v[45:46], -v[104:105], v[70:71], v[45:46]
	v_fma_f64 v[6:7], v[100:101], v[70:71], v[6:7]
	v_fma_f64 v[14:15], -v[108:109], v[70:71], v[14:15]
	v_fma_f64 v[96:97], v[106:107], v[70:71], v[96:97]
	;; [unrolled: 2-line block ×4, first 2 shown]
	v_add_co_u32 v94, vcc_lo, 0x1000, v12
	v_add_co_ci_u32_e32 v95, vcc_lo, 0, v13, vcc_lo
	v_cvt_f64_f32_e32 v[104:105], v84
	v_subrev_nc_u32_e32 v84, s12, v122
	v_cvt_f64_f32_e32 v[106:107], v85
	v_cvt_f64_f32_e32 v[108:109], v86
	s_waitcnt vmcnt(10)
	v_cvt_f64_f32_e32 v[118:119], v88
	v_cvt_f64_f32_e32 v[88:89], v89
	;; [unrolled: 1-line block ×4, first 2 shown]
	v_lshlrev_b32_e32 v84, 2, v84
	v_add_co_u32 v12, s0, 0x2000, v12
	s_delay_alu instid0(VALU_DEP_1) | instskip(NEXT) | instid1(VALU_DEP_3)
	v_add_co_ci_u32_e64 v13, s0, 0, v13, s0
	v_ashrrev_i32_e32 v85, 31, v84
	v_fma_f64 v[45:46], v[102:103], v[80:81], v[45:46]
	v_fma_f64 v[6:7], v[72:73], v[80:81], v[6:7]
	;; [unrolled: 1-line block ×8, first 2 shown]
	s_clause 0x1
	global_load_b128 v[64:67], v[94:95], off
	global_load_b128 v[68:71], v[94:95], off offset:16
	v_fma_f64 v[45:46], -v[72:73], v[82:83], v[45:46]
	v_fma_f64 v[6:7], v[102:103], v[82:83], v[6:7]
	v_fma_f64 v[14:15], -v[74:75], v[82:83], v[14:15]
	v_fma_f64 v[86:87], v[110:111], v[82:83], v[96:97]
	;; [unrolled: 2-line block ×4, first 2 shown]
	v_lshlrev_b64 v[72:73], 4, v[84:85]
	s_delay_alu instid0(VALU_DEP_1) | instskip(NEXT) | instid1(VALU_DEP_2)
	v_add_co_u32 v100, vcc_lo, s4, v72
	v_add_co_ci_u32_e32 v101, vcc_lo, s5, v73, vcc_lo
	s_clause 0x1
	global_load_b128 v[72:75], v[100:101], off
	global_load_b128 v[76:79], v[100:101], off offset:16
	s_waitcnt vmcnt(13)
	v_fma_f64 v[45:46], v[104:105], v[0:1], v[45:46]
	v_fma_f64 v[6:7], v[106:107], v[0:1], v[6:7]
	;; [unrolled: 1-line block ×8, first 2 shown]
	s_clause 0x1
	global_load_b128 v[80:83], v[94:95], off offset:32
	global_load_b128 v[84:87], v[94:95], off offset:48
	s_waitcnt vmcnt(14)
	v_cvt_f64_f32_e32 v[110:111], v25
	v_cvt_f64_f32_e32 v[112:113], v26
	;; [unrolled: 1-line block ×4, first 2 shown]
	s_waitcnt vmcnt(13)
	v_cvt_f64_f32_e32 v[124:125], v29
	v_cvt_f64_f32_e32 v[29:30], v30
	;; [unrolled: 1-line block ×4, first 2 shown]
	v_fma_f64 v[25:26], -v[106:107], v[2:3], v[45:46]
	v_fma_f64 v[6:7], v[104:105], v[2:3], v[6:7]
	v_fma_f64 v[14:15], -v[116:117], v[2:3], v[14:15]
	v_fma_f64 v[27:28], v[108:109], v[2:3], v[102:103]
	;; [unrolled: 2-line block ×4, first 2 shown]
	s_waitcnt vmcnt(12)
	v_fma_f64 v[92:93], v[110:111], v[33:34], v[25:26]
	v_fma_f64 v[6:7], v[112:113], v[33:34], v[6:7]
	;; [unrolled: 1-line block ×8, first 2 shown]
	s_clause 0x1
	global_load_b128 v[0:3], v[94:95], off offset:64
	global_load_b128 v[25:28], v[94:95], off offset:80
	s_waitcnt vmcnt(13)
	v_cvt_f64_f32_e32 v[98:99], v37
	v_cvt_f64_f32_e32 v[102:103], v38
	;; [unrolled: 1-line block ×4, first 2 shown]
	s_waitcnt vmcnt(12)
	v_cvt_f64_f32_e32 v[108:109], v41
	v_cvt_f64_f32_e32 v[41:42], v42
	;; [unrolled: 1-line block ×4, first 2 shown]
	v_fma_f64 v[37:38], -v[112:113], v[35:36], v[92:93]
	v_fma_f64 v[6:7], v[110:111], v[35:36], v[6:7]
	v_fma_f64 v[14:15], -v[122:123], v[35:36], v[14:15]
	v_fma_f64 v[39:40], v[114:115], v[35:36], v[96:97]
	;; [unrolled: 2-line block ×4, first 2 shown]
	global_load_b128 v[29:32], v[100:101], off offset:32
	s_waitcnt vmcnt(12)
	v_fma_f64 v[92:93], v[98:99], v[48:49], v[37:38]
	v_fma_f64 v[6:7], v[102:103], v[48:49], v[6:7]
	;; [unrolled: 1-line block ×8, first 2 shown]
	s_clause 0x1
	global_load_b128 v[33:36], v[94:95], off offset:96
	global_load_b128 v[37:40], v[94:95], off offset:112
	s_waitcnt vmcnt(12)
	v_cvt_f64_f32_e32 v[110:111], v56
	v_cvt_f64_f32_e32 v[112:113], v57
	;; [unrolled: 1-line block ×4, first 2 shown]
	s_waitcnt vmcnt(11)
	v_cvt_f64_f32_e32 v[120:121], v60
	v_cvt_f64_f32_e32 v[60:61], v61
	v_cvt_f64_f32_e32 v[122:123], v62
	v_cvt_f64_f32_e32 v[62:63], v63
	v_fma_f64 v[56:57], -v[102:103], v[50:51], v[92:93]
	v_fma_f64 v[6:7], v[98:99], v[50:51], v[6:7]
	v_fma_f64 v[14:15], -v[106:107], v[50:51], v[14:15]
	v_fma_f64 v[58:59], v[104:105], v[50:51], v[96:97]
	;; [unrolled: 2-line block ×4, first 2 shown]
	global_load_b128 v[41:44], v[100:101], off offset:48
	v_subrev_nc_u32_e32 v116, s12, v128
	v_fma_f64 v[92:93], v[110:111], v[52:53], v[56:57]
	v_fma_f64 v[6:7], v[112:113], v[52:53], v[6:7]
	;; [unrolled: 1-line block ×8, first 2 shown]
	s_clause 0x1
	global_load_b128 v[48:51], v[94:95], off offset:2048
	global_load_b128 v[56:59], v[94:95], off offset:2064
	s_waitcnt vmcnt(13)
	v_cvt_f64_f32_e32 v[98:99], v64
	v_lshlrev_b32_e32 v64, 2, v116
	v_cvt_f64_f32_e32 v[100:101], v65
	v_cvt_f64_f32_e32 v[102:103], v66
	;; [unrolled: 1-line block ×3, first 2 shown]
	s_waitcnt vmcnt(12)
	v_cvt_f64_f32_e32 v[106:107], v68
	v_cvt_f64_f32_e32 v[68:69], v69
	;; [unrolled: 1-line block ×4, first 2 shown]
	v_ashrrev_i32_e32 v65, 31, v64
	v_fma_f64 v[66:67], -v[112:113], v[54:55], v[92:93]
	v_fma_f64 v[6:7], v[110:111], v[54:55], v[6:7]
	v_fma_f64 v[14:15], -v[118:119], v[54:55], v[14:15]
	v_fma_f64 v[92:93], v[114:115], v[54:55], v[96:97]
	v_fma_f64 v[45:46], -v[60:61], v[54:55], v[45:46]
	v_fma_f64 v[60:61], v[120:121], v[54:55], v[88:89]
	v_fma_f64 v[62:63], -v[62:63], v[54:55], v[90:91]
	v_fma_f64 v[88:89], v[122:123], v[54:55], v[52:53]
	v_lshlrev_b64 v[52:53], 4, v[64:65]
	s_delay_alu instid0(VALU_DEP_1) | instskip(NEXT) | instid1(VALU_DEP_2)
	v_add_co_u32 v90, vcc_lo, s4, v52
	v_add_co_ci_u32_e32 v91, vcc_lo, s5, v53, vcc_lo
	v_add_co_u32 v8, vcc_lo, v8, 64
	v_add_co_ci_u32_e32 v9, vcc_lo, 0, v9, vcc_lo
	global_load_b128 v[52:55], v[90:91], off
	v_add_co_u32 v4, vcc_lo, 0x100, v4
	v_add_co_ci_u32_e32 v5, vcc_lo, 0, v5, vcc_lo
	v_cmp_ge_i64_e32 vcc_lo, v[8:9], v[10:11]
	s_or_b32 s7, vcc_lo, s7
	s_waitcnt vmcnt(12)
	v_fma_f64 v[96:97], v[98:99], v[72:73], v[66:67]
	v_fma_f64 v[6:7], v[100:101], v[72:73], v[6:7]
	;; [unrolled: 1-line block ×8, first 2 shown]
	s_clause 0x1
	global_load_b128 v[60:63], v[94:95], off offset:2080
	global_load_b128 v[64:67], v[94:95], off offset:2096
	s_waitcnt vmcnt(12)
	v_cvt_f64_f32_e32 v[88:89], v80
	v_cvt_f64_f32_e32 v[114:115], v81
	;; [unrolled: 1-line block ×4, first 2 shown]
	s_waitcnt vmcnt(11)
	v_cvt_f64_f32_e32 v[120:121], v84
	v_cvt_f64_f32_e32 v[84:85], v85
	;; [unrolled: 1-line block ×4, first 2 shown]
	v_fma_f64 v[80:81], -v[100:101], v[74:75], v[96:97]
	v_fma_f64 v[6:7], v[98:99], v[74:75], v[6:7]
	v_fma_f64 v[14:15], -v[104:105], v[74:75], v[14:15]
	v_fma_f64 v[82:83], v[102:103], v[74:75], v[92:93]
	;; [unrolled: 2-line block ×4, first 2 shown]
	global_load_b128 v[68:71], v[90:91], off offset:16
	v_fma_f64 v[98:99], v[88:89], v[76:77], v[80:81]
	v_fma_f64 v[6:7], v[114:115], v[76:77], v[6:7]
	;; [unrolled: 1-line block ×8, first 2 shown]
	s_clause 0x1
	global_load_b128 v[72:75], v[94:95], off offset:2112
	global_load_b128 v[80:83], v[94:95], off offset:2128
	s_waitcnt vmcnt(13)
	v_cvt_f64_f32_e32 v[102:103], v0
	v_cvt_f64_f32_e32 v[104:105], v1
	;; [unrolled: 1-line block ×4, first 2 shown]
	s_waitcnt vmcnt(12)
	v_cvt_f64_f32_e32 v[110:111], v25
	v_cvt_f64_f32_e32 v[112:113], v26
	;; [unrolled: 1-line block ×4, first 2 shown]
	global_load_b128 v[0:3], v[90:91], off offset:32
	v_fma_f64 v[25:26], -v[114:115], v[78:79], v[98:99]
	v_fma_f64 v[6:7], v[88:89], v[78:79], v[6:7]
	v_fma_f64 v[14:15], -v[118:119], v[78:79], v[14:15]
	v_fma_f64 v[27:28], v[116:117], v[78:79], v[100:101]
	;; [unrolled: 2-line block ×4, first 2 shown]
	s_waitcnt vmcnt(12)
	v_fma_f64 v[88:89], v[102:103], v[29:30], v[25:26]
	v_fma_f64 v[6:7], v[104:105], v[29:30], v[6:7]
	;; [unrolled: 1-line block ×8, first 2 shown]
	s_clause 0x1
	global_load_b128 v[25:28], v[94:95], off offset:2144
	global_load_b128 v[76:79], v[94:95], off offset:2160
	s_waitcnt vmcnt(13)
	v_cvt_f64_f32_e32 v[94:95], v33
	v_cvt_f64_f32_e32 v[33:34], v34
	;; [unrolled: 1-line block ×4, first 2 shown]
	s_waitcnt vmcnt(12)
	v_cvt_f64_f32_e32 v[98:99], v37
	v_cvt_f64_f32_e32 v[37:38], v38
	;; [unrolled: 1-line block ×4, first 2 shown]
	v_fma_f64 v[88:89], -v[104:105], v[31:32], v[88:89]
	v_fma_f64 v[6:7], v[102:103], v[31:32], v[6:7]
	v_fma_f64 v[14:15], -v[108:109], v[31:32], v[14:15]
	v_fma_f64 v[92:93], v[106:107], v[31:32], v[92:93]
	;; [unrolled: 2-line block ×4, first 2 shown]
	global_load_b128 v[29:32], v[90:91], off offset:48
	s_waitcnt vmcnt(12)
	v_fma_f64 v[88:89], v[94:95], v[41:42], v[88:89]
	v_fma_f64 v[6:7], v[33:34], v[41:42], v[6:7]
	v_fma_f64 v[14:15], v[96:97], v[41:42], v[14:15]
	v_fma_f64 v[90:91], v[35:36], v[41:42], v[92:93]
	v_fma_f64 v[45:46], v[98:99], v[41:42], v[45:46]
	v_fma_f64 v[84:85], v[37:38], v[41:42], v[84:85]
	v_fma_f64 v[86:87], v[100:101], v[41:42], v[86:87]
	v_fma_f64 v[41:42], v[39:40], v[41:42], v[102:103]
	s_waitcnt vmcnt(11)
	v_cvt_f64_f32_e32 v[92:93], v48
	v_cvt_f64_f32_e32 v[48:49], v49
	v_cvt_f64_f32_e32 v[102:103], v50
	v_cvt_f64_f32_e32 v[50:51], v51
	s_waitcnt vmcnt(10)
	v_cvt_f64_f32_e32 v[104:105], v56
	v_cvt_f64_f32_e32 v[56:57], v57
	v_cvt_f64_f32_e32 v[106:107], v58
	v_cvt_f64_f32_e32 v[58:59], v59
	v_fma_f64 v[33:34], -v[33:34], v[43:44], v[88:89]
	v_fma_f64 v[6:7], v[94:95], v[43:44], v[6:7]
	v_fma_f64 v[14:15], -v[35:36], v[43:44], v[14:15]
	v_fma_f64 v[35:36], v[96:97], v[43:44], v[90:91]
	v_fma_f64 v[37:38], -v[37:38], v[43:44], v[45:46]
	v_fma_f64 v[45:46], v[98:99], v[43:44], v[84:85]
	v_fma_f64 v[39:40], -v[39:40], v[43:44], v[86:87]
	v_fma_f64 v[41:42], v[100:101], v[43:44], v[41:42]
	s_waitcnt vmcnt(9)
	v_fma_f64 v[33:34], v[92:93], v[52:53], v[33:34]
	v_fma_f64 v[6:7], v[48:49], v[52:53], v[6:7]
	v_fma_f64 v[14:15], v[102:103], v[52:53], v[14:15]
	v_fma_f64 v[35:36], v[50:51], v[52:53], v[35:36]
	v_fma_f64 v[37:38], v[104:105], v[52:53], v[37:38]
	v_fma_f64 v[43:44], v[56:57], v[52:53], v[45:46]
	v_fma_f64 v[39:40], v[106:107], v[52:53], v[39:40]
	v_fma_f64 v[41:42], v[58:59], v[52:53], v[41:42]
	s_waitcnt vmcnt(8)
	v_cvt_f64_f32_e32 v[45:46], v60
	v_cvt_f64_f32_e32 v[52:53], v61
	v_cvt_f64_f32_e32 v[60:61], v62
	v_cvt_f64_f32_e32 v[62:63], v63
	s_waitcnt vmcnt(7)
	v_cvt_f64_f32_e32 v[84:85], v64
	v_cvt_f64_f32_e32 v[64:65], v65
	v_cvt_f64_f32_e32 v[86:87], v66
	v_cvt_f64_f32_e32 v[66:67], v67
	v_fma_f64 v[33:34], -v[48:49], v[54:55], v[33:34]
	v_fma_f64 v[6:7], v[92:93], v[54:55], v[6:7]
	v_fma_f64 v[14:15], -v[50:51], v[54:55], v[14:15]
	v_fma_f64 v[35:36], v[102:103], v[54:55], v[35:36]
	v_fma_f64 v[37:38], -v[56:57], v[54:55], v[37:38]
	v_fma_f64 v[43:44], v[104:105], v[54:55], v[43:44]
	v_fma_f64 v[39:40], -v[58:59], v[54:55], v[39:40]
	v_fma_f64 v[41:42], v[106:107], v[54:55], v[41:42]
	;; [unrolled: 27-line block ×4, first 2 shown]
	s_waitcnt vmcnt(0)
	v_fma_f64 v[2:3], v[41:42], v[29:30], v[33:34]
	v_fma_f64 v[6:7], v[25:26], v[29:30], v[6:7]
	;; [unrolled: 1-line block ×8, first 2 shown]
	v_fma_f64 v[29:30], -v[25:26], v[31:32], v[2:3]
	v_fma_f64 v[14:15], v[41:42], v[31:32], v[6:7]
	v_fma_f64 v[35:36], -v[27:28], v[31:32], v[33:34]
	v_fma_f64 v[27:28], v[45:46], v[31:32], v[48:49]
	;; [unrolled: 2-line block ×4, first 2 shown]
	s_and_not1_b32 exec_lo, exec_lo, s7
	s_cbranch_execnz .LBB172_35
; %bb.36:
	s_or_b32 exec_lo, exec_lo, s7
.LBB172_37:
	s_delay_alu instid0(SALU_CYCLE_1)
	s_or_b32 exec_lo, exec_lo, s6
.LBB172_38:
	s_delay_alu instid0(SALU_CYCLE_1)
	s_or_b32 exec_lo, exec_lo, s1
.LBB172_39:
	v_mbcnt_lo_u32_b32 v41, -1, 0
	s_delay_alu instid0(VALU_DEP_1) | instskip(NEXT) | instid1(VALU_DEP_1)
	v_xor_b32_e32 v0, 8, v41
	v_cmp_gt_i32_e32 vcc_lo, 32, v0
	v_cndmask_b32_e32 v0, v41, v0, vcc_lo
	s_delay_alu instid0(VALU_DEP_1)
	v_lshlrev_b32_e32 v40, 2, v0
	ds_bpermute_b32 v12, v40, v25
	ds_bpermute_b32 v13, v40, v26
	s_waitcnt lgkmcnt(0)
	v_add_f64 v[12:13], v[25:26], v[12:13]
	v_xor_b32_e32 v25, 4, v41
	s_delay_alu instid0(VALU_DEP_1)
	v_cmp_gt_i32_e32 vcc_lo, 32, v25
	v_cndmask_b32_e32 v25, v41, v25, vcc_lo
	ds_bpermute_b32 v0, v40, v29
	ds_bpermute_b32 v1, v40, v30
	;; [unrolled: 1-line block ×14, first 2 shown]
	s_waitcnt lgkmcnt(12)
	v_add_f64 v[0:1], v[29:30], v[0:1]
	s_waitcnt lgkmcnt(10)
	v_add_f64 v[2:3], v[14:15], v[2:3]
	;; [unrolled: 2-line block ×7, first 2 shown]
	v_lshlrev_b32_e32 v40, 2, v25
	ds_bpermute_b32 v37, v40, v12
	ds_bpermute_b32 v38, v40, v13
	;; [unrolled: 1-line block ×16, first 2 shown]
	s_waitcnt lgkmcnt(14)
	v_add_f64 v[12:13], v[12:13], v[37:38]
	s_waitcnt lgkmcnt(12)
	v_add_f64 v[0:1], v[0:1], v[25:26]
	;; [unrolled: 2-line block ×8, first 2 shown]
	v_xor_b32_e32 v14, 2, v41
	s_delay_alu instid0(VALU_DEP_1) | instskip(SKIP_1) | instid1(VALU_DEP_1)
	v_cmp_gt_i32_e32 vcc_lo, 32, v14
	v_cndmask_b32_e32 v14, v41, v14, vcc_lo
	v_lshlrev_b32_e32 v40, 2, v14
	ds_bpermute_b32 v37, v40, v12
	ds_bpermute_b32 v38, v40, v13
	;; [unrolled: 1-line block ×16, first 2 shown]
	s_waitcnt lgkmcnt(12)
	v_add_f64 v[0:1], v[0:1], v[14:15]
	s_waitcnt lgkmcnt(10)
	v_add_f64 v[27:28], v[2:3], v[27:28]
	;; [unrolled: 2-line block ×4, first 2 shown]
	v_add_f64 v[6:7], v[12:13], v[37:38]
	s_waitcnt lgkmcnt(4)
	v_add_f64 v[4:5], v[8:9], v[33:34]
	v_xor_b32_e32 v12, 1, v41
	s_waitcnt lgkmcnt(2)
	v_add_f64 v[10:11], v[10:11], v[35:36]
	s_waitcnt lgkmcnt(0)
	v_add_f64 v[8:9], v[25:26], v[39:40]
	v_cmp_gt_i32_e32 vcc_lo, 32, v12
	v_cndmask_b32_e32 v12, v41, v12, vcc_lo
	v_cmp_eq_u32_e32 vcc_lo, 15, v47
	s_delay_alu instid0(VALU_DEP_2)
	v_lshlrev_b32_e32 v34, 2, v12
	ds_bpermute_b32 v12, v34, v0
	ds_bpermute_b32 v13, v34, v1
	;; [unrolled: 1-line block ×16, first 2 shown]
	s_and_b32 exec_lo, exec_lo, vcc_lo
	s_cbranch_execz .LBB172_12
; %bb.40:
	s_waitcnt lgkmcnt(12)
	v_add_f64 v[27:28], v[27:28], v[39:40]
	s_waitcnt lgkmcnt(8)
	v_add_f64 v[14:15], v[14:15], v[37:38]
	s_waitcnt lgkmcnt(4)
	v_add_f64 v[10:11], v[10:11], v[35:36]
	s_waitcnt lgkmcnt(0)
	v_add_f64 v[8:9], v[8:9], v[33:34]
	v_add_f64 v[0:1], v[0:1], v[12:13]
	v_add_f64 v[2:3], v[2:3], v[25:26]
	v_add_f64 v[25:26], v[4:5], v[29:30]
	v_add_f64 v[29:30], v[6:7], v[31:32]
	v_cmp_eq_f64_e32 vcc_lo, 0, v[16:17]
	v_cmp_eq_f64_e64 s0, 0, v[18:19]
	s_load_b64 s[2:3], s[2:3], 0x60
	v_mul_f64 v[4:5], v[27:28], -v[22:23]
	v_mul_f64 v[6:7], v[20:21], v[27:28]
	v_mul_f64 v[27:28], v[14:15], -v[22:23]
	v_mul_f64 v[31:32], v[20:21], v[14:15]
	;; [unrolled: 2-line block ×4, first 2 shown]
	s_and_b32 s0, vcc_lo, s0
	v_fma_f64 v[12:13], v[20:21], v[0:1], v[4:5]
	v_fma_f64 v[14:15], v[22:23], v[0:1], v[6:7]
	;; [unrolled: 1-line block ×8, first 2 shown]
	v_lshlrev_b32_e32 v20, 2, v24
	s_and_saveexec_b32 s1, s0
	s_delay_alu instid0(SALU_CYCLE_1)
	s_xor_b32 s0, exec_lo, s1
	s_cbranch_execz .LBB172_42
; %bb.41:
	s_delay_alu instid0(VALU_DEP_1) | instskip(NEXT) | instid1(VALU_DEP_1)
	v_ashrrev_i32_e32 v21, 31, v20
                                        ; implicit-def: $vgpr18_vgpr19
	v_lshlrev_b64 v[16:17], 4, v[20:21]
                                        ; implicit-def: $vgpr20
	s_waitcnt lgkmcnt(0)
	s_delay_alu instid0(VALU_DEP_1) | instskip(NEXT) | instid1(VALU_DEP_2)
	v_add_co_u32 v16, vcc_lo, s2, v16
	v_add_co_ci_u32_e32 v17, vcc_lo, s3, v17, vcc_lo
	s_clause 0x3
	global_store_b128 v[16:17], v[12:15], off
	global_store_b128 v[16:17], v[8:11], off offset:16
	global_store_b128 v[16:17], v[4:7], off offset:32
	;; [unrolled: 1-line block ×3, first 2 shown]
                                        ; implicit-def: $vgpr16_vgpr17
                                        ; implicit-def: $vgpr12_vgpr13
                                        ; implicit-def: $vgpr8_vgpr9
                                        ; implicit-def: $vgpr4_vgpr5
                                        ; implicit-def: $vgpr0_vgpr1
.LBB172_42:
	s_and_not1_saveexec_b32 s0, s0
	s_cbranch_execz .LBB172_12
; %bb.43:
	v_ashrrev_i32_e32 v21, 31, v20
	s_delay_alu instid0(VALU_DEP_1) | instskip(SKIP_1) | instid1(VALU_DEP_1)
	v_lshlrev_b64 v[20:21], 4, v[20:21]
	s_waitcnt lgkmcnt(0)
	v_add_co_u32 v36, vcc_lo, s2, v20
	s_delay_alu instid0(VALU_DEP_2)
	v_add_co_ci_u32_e32 v37, vcc_lo, s3, v21, vcc_lo
	s_clause 0x3
	global_load_b128 v[20:23], v[36:37], off
	global_load_b128 v[24:27], v[36:37], off offset:16
	global_load_b128 v[28:31], v[36:37], off offset:32
	;; [unrolled: 1-line block ×3, first 2 shown]
	s_waitcnt vmcnt(3)
	v_fma_f64 v[12:13], v[16:17], v[20:21], v[12:13]
	v_fma_f64 v[14:15], v[18:19], v[20:21], v[14:15]
	s_waitcnt vmcnt(2)
	v_fma_f64 v[8:9], v[16:17], v[24:25], v[8:9]
	v_fma_f64 v[10:11], v[18:19], v[24:25], v[10:11]
	;; [unrolled: 3-line block ×4, first 2 shown]
	v_fma_f64 v[0:1], -v[18:19], v[22:23], v[12:13]
	v_fma_f64 v[2:3], v[16:17], v[22:23], v[14:15]
	v_fma_f64 v[4:5], -v[18:19], v[26:27], v[8:9]
	v_fma_f64 v[6:7], v[16:17], v[26:27], v[10:11]
	;; [unrolled: 2-line block ×4, first 2 shown]
	s_clause 0x3
	global_store_b128 v[36:37], v[0:3], off
	global_store_b128 v[36:37], v[4:7], off offset:16
	global_store_b128 v[36:37], v[8:11], off offset:32
	;; [unrolled: 1-line block ×3, first 2 shown]
	s_nop 0
	s_sendmsg sendmsg(MSG_DEALLOC_VGPRS)
	s_endpgm
	.section	.rodata,"a",@progbits
	.p2align	6, 0x0
	.amdhsa_kernel _ZN9rocsparseL18bsrxmvn_4x4_kernelILj128ELj16E21rocsparse_complex_numIdEliS1_IfES2_S2_EEvT3_20rocsparse_direction_NS_24const_host_device_scalarIT1_EES4_PKS4_PKT2_SD_SA_PKT4_PKT5_S8_PT6_21rocsparse_index_base_b
		.amdhsa_group_segment_fixed_size 2048
		.amdhsa_private_segment_fixed_size 0
		.amdhsa_kernarg_size 112
		.amdhsa_user_sgpr_count 15
		.amdhsa_user_sgpr_dispatch_ptr 1
		.amdhsa_user_sgpr_queue_ptr 0
		.amdhsa_user_sgpr_kernarg_segment_ptr 1
		.amdhsa_user_sgpr_dispatch_id 0
		.amdhsa_user_sgpr_private_segment_size 0
		.amdhsa_wavefront_size32 1
		.amdhsa_uses_dynamic_stack 0
		.amdhsa_enable_private_segment 0
		.amdhsa_system_sgpr_workgroup_id_x 1
		.amdhsa_system_sgpr_workgroup_id_y 0
		.amdhsa_system_sgpr_workgroup_id_z 0
		.amdhsa_system_sgpr_workgroup_info 0
		.amdhsa_system_vgpr_workitem_id 2
		.amdhsa_next_free_vgpr 137
		.amdhsa_next_free_sgpr 18
		.amdhsa_reserve_vcc 1
		.amdhsa_float_round_mode_32 0
		.amdhsa_float_round_mode_16_64 0
		.amdhsa_float_denorm_mode_32 3
		.amdhsa_float_denorm_mode_16_64 3
		.amdhsa_dx10_clamp 1
		.amdhsa_ieee_mode 1
		.amdhsa_fp16_overflow 0
		.amdhsa_workgroup_processor_mode 1
		.amdhsa_memory_ordered 1
		.amdhsa_forward_progress 0
		.amdhsa_shared_vgpr_count 0
		.amdhsa_exception_fp_ieee_invalid_op 0
		.amdhsa_exception_fp_denorm_src 0
		.amdhsa_exception_fp_ieee_div_zero 0
		.amdhsa_exception_fp_ieee_overflow 0
		.amdhsa_exception_fp_ieee_underflow 0
		.amdhsa_exception_fp_ieee_inexact 0
		.amdhsa_exception_int_div_zero 0
	.end_amdhsa_kernel
	.section	.text._ZN9rocsparseL18bsrxmvn_4x4_kernelILj128ELj16E21rocsparse_complex_numIdEliS1_IfES2_S2_EEvT3_20rocsparse_direction_NS_24const_host_device_scalarIT1_EES4_PKS4_PKT2_SD_SA_PKT4_PKT5_S8_PT6_21rocsparse_index_base_b,"axG",@progbits,_ZN9rocsparseL18bsrxmvn_4x4_kernelILj128ELj16E21rocsparse_complex_numIdEliS1_IfES2_S2_EEvT3_20rocsparse_direction_NS_24const_host_device_scalarIT1_EES4_PKS4_PKT2_SD_SA_PKT4_PKT5_S8_PT6_21rocsparse_index_base_b,comdat
.Lfunc_end172:
	.size	_ZN9rocsparseL18bsrxmvn_4x4_kernelILj128ELj16E21rocsparse_complex_numIdEliS1_IfES2_S2_EEvT3_20rocsparse_direction_NS_24const_host_device_scalarIT1_EES4_PKS4_PKT2_SD_SA_PKT4_PKT5_S8_PT6_21rocsparse_index_base_b, .Lfunc_end172-_ZN9rocsparseL18bsrxmvn_4x4_kernelILj128ELj16E21rocsparse_complex_numIdEliS1_IfES2_S2_EEvT3_20rocsparse_direction_NS_24const_host_device_scalarIT1_EES4_PKS4_PKT2_SD_SA_PKT4_PKT5_S8_PT6_21rocsparse_index_base_b
                                        ; -- End function
	.section	.AMDGPU.csdata,"",@progbits
; Kernel info:
; codeLenInByte = 11972
; NumSgprs: 20
; NumVgprs: 137
; ScratchSize: 0
; MemoryBound: 0
; FloatMode: 240
; IeeeMode: 1
; LDSByteSize: 2048 bytes/workgroup (compile time only)
; SGPRBlocks: 2
; VGPRBlocks: 17
; NumSGPRsForWavesPerEU: 20
; NumVGPRsForWavesPerEU: 137
; Occupancy: 10
; WaveLimiterHint : 1
; COMPUTE_PGM_RSRC2:SCRATCH_EN: 0
; COMPUTE_PGM_RSRC2:USER_SGPR: 15
; COMPUTE_PGM_RSRC2:TRAP_HANDLER: 0
; COMPUTE_PGM_RSRC2:TGID_X_EN: 1
; COMPUTE_PGM_RSRC2:TGID_Y_EN: 0
; COMPUTE_PGM_RSRC2:TGID_Z_EN: 0
; COMPUTE_PGM_RSRC2:TIDIG_COMP_CNT: 2
	.section	.text._ZN9rocsparseL18bsrxmvn_4x4_kernelILj128ELj32E21rocsparse_complex_numIdEliS1_IfES2_S2_EEvT3_20rocsparse_direction_NS_24const_host_device_scalarIT1_EES4_PKS4_PKT2_SD_SA_PKT4_PKT5_S8_PT6_21rocsparse_index_base_b,"axG",@progbits,_ZN9rocsparseL18bsrxmvn_4x4_kernelILj128ELj32E21rocsparse_complex_numIdEliS1_IfES2_S2_EEvT3_20rocsparse_direction_NS_24const_host_device_scalarIT1_EES4_PKS4_PKT2_SD_SA_PKT4_PKT5_S8_PT6_21rocsparse_index_base_b,comdat
	.globl	_ZN9rocsparseL18bsrxmvn_4x4_kernelILj128ELj32E21rocsparse_complex_numIdEliS1_IfES2_S2_EEvT3_20rocsparse_direction_NS_24const_host_device_scalarIT1_EES4_PKS4_PKT2_SD_SA_PKT4_PKT5_S8_PT6_21rocsparse_index_base_b ; -- Begin function _ZN9rocsparseL18bsrxmvn_4x4_kernelILj128ELj32E21rocsparse_complex_numIdEliS1_IfES2_S2_EEvT3_20rocsparse_direction_NS_24const_host_device_scalarIT1_EES4_PKS4_PKT2_SD_SA_PKT4_PKT5_S8_PT6_21rocsparse_index_base_b
	.p2align	8
	.type	_ZN9rocsparseL18bsrxmvn_4x4_kernelILj128ELj32E21rocsparse_complex_numIdEliS1_IfES2_S2_EEvT3_20rocsparse_direction_NS_24const_host_device_scalarIT1_EES4_PKS4_PKT2_SD_SA_PKT4_PKT5_S8_PT6_21rocsparse_index_base_b,@function
_ZN9rocsparseL18bsrxmvn_4x4_kernelILj128ELj32E21rocsparse_complex_numIdEliS1_IfES2_S2_EEvT3_20rocsparse_direction_NS_24const_host_device_scalarIT1_EES4_PKS4_PKT2_SD_SA_PKT4_PKT5_S8_PT6_21rocsparse_index_base_b: ; @_ZN9rocsparseL18bsrxmvn_4x4_kernelILj128ELj32E21rocsparse_complex_numIdEliS1_IfES2_S2_EEvT3_20rocsparse_direction_NS_24const_host_device_scalarIT1_EES4_PKS4_PKT2_SD_SA_PKT4_PKT5_S8_PT6_21rocsparse_index_base_b
; %bb.0:
	s_load_b64 s[12:13], s[2:3], 0x68
	s_load_b64 s[16:17], s[0:1], 0x4
	s_load_b128 s[8:11], s[2:3], 0x8
	v_bfe_u32 v2, v0, 10, 10
	s_mov_b64 s[0:1], src_shared_base
	s_load_b128 s[4:7], s[2:3], 0x50
	v_and_b32_e32 v1, 0x3ff, v0
	v_bfe_u32 v0, v0, 20, 10
	s_waitcnt lgkmcnt(0)
	s_bitcmp1_b32 s13, 0
	v_mul_u32_u24_e32 v2, s17, v2
	s_cselect_b32 s0, -1, 0
	v_mov_b32_e32 v23, s11
	s_and_b32 vcc_lo, s0, exec_lo
	s_cselect_b32 s13, s1, s9
	s_lshr_b32 s14, s16, 16
	v_dual_mov_b32 v4, s4 :: v_dual_mov_b32 v5, s5
	s_mul_i32 s14, s14, s17
	v_dual_mov_b32 v7, s13 :: v_dual_mov_b32 v22, s10
	v_mad_u32_u24 v2, s14, v1, v2
	s_xor_b32 s10, s0, -1
	s_delay_alu instid0(VALU_DEP_1) | instskip(SKIP_1) | instid1(VALU_DEP_2)
	v_add_lshl_u32 v0, v2, v0, 3
	v_dual_mov_b32 v2, s8 :: v_dual_mov_b32 v3, s9
	v_add_nc_u32_e32 v6, 0x400, v0
	ds_store_2addr_stride64_b64 v0, v[4:5], v[2:3] offset1:2
	v_cndmask_b32_e64 v6, s8, v6, s0
	flat_load_b64 v[20:21], v[6:7]
	s_cbranch_vccnz .LBB173_2
; %bb.1:
	v_dual_mov_b32 v2, s8 :: v_dual_mov_b32 v3, s9
	flat_load_b64 v[22:23], v[2:3] offset:8
.LBB173_2:
	s_and_b32 s8, s0, exec_lo
	s_cselect_b32 s1, s1, s5
	v_cndmask_b32_e64 v2, s4, v0, s0
	v_mov_b32_e32 v3, s1
	v_dual_mov_b32 v19, s7 :: v_dual_mov_b32 v18, s6
	s_and_not1_b32 vcc_lo, exec_lo, s10
	flat_load_b64 v[16:17], v[2:3]
	s_cbranch_vccnz .LBB173_4
; %bb.3:
	v_dual_mov_b32 v2, s4 :: v_dual_mov_b32 v3, s5
	flat_load_b64 v[18:19], v[2:3] offset:8
.LBB173_4:
	s_waitcnt vmcnt(1) lgkmcnt(1)
	v_cmp_eq_f64_e32 vcc_lo, 0, v[20:21]
	v_cmp_eq_f64_e64 s0, 0, v[22:23]
	s_delay_alu instid0(VALU_DEP_1)
	s_and_b32 s4, vcc_lo, s0
	s_mov_b32 s0, -1
	s_and_saveexec_b32 s1, s4
	s_cbranch_execz .LBB173_6
; %bb.5:
	s_waitcnt vmcnt(0) lgkmcnt(0)
	v_cmp_neq_f64_e32 vcc_lo, 1.0, v[16:17]
	v_cmp_neq_f64_e64 s0, 0, v[18:19]
	s_delay_alu instid0(VALU_DEP_1) | instskip(NEXT) | instid1(SALU_CYCLE_1)
	s_or_b32 s0, vcc_lo, s0
	s_or_not1_b32 s0, s0, exec_lo
.LBB173_6:
	s_or_b32 exec_lo, exec_lo, s1
	s_and_saveexec_b32 s1, s0
	s_cbranch_execz .LBB173_12
; %bb.7:
	s_clause 0x1
	s_load_b64 s[4:5], s[2:3], 0x20
	s_load_b64 s[0:1], s[2:3], 0x0
	v_lshrrev_b32_e32 v0, 5, v1
	s_delay_alu instid0(VALU_DEP_1)
	v_lshl_or_b32 v24, s15, 2, v0
	s_waitcnt lgkmcnt(0)
	s_cmp_lg_u64 s[4:5], 0
	s_cbranch_scc0 .LBB173_13
; %bb.8:
	s_load_b32 s6, s[2:3], 0x18
	s_mov_b32 s7, 0
                                        ; implicit-def: $vgpr0
	s_waitcnt lgkmcnt(0)
	v_cmp_gt_i32_e32 vcc_lo, s6, v24
	s_mov_b32 s6, 0
	s_and_saveexec_b32 s8, vcc_lo
	s_delay_alu instid0(SALU_CYCLE_1)
	s_xor_b32 s8, exec_lo, s8
	s_cbranch_execz .LBB173_10
; %bb.9:
	v_ashrrev_i32_e32 v25, 31, v24
	s_mov_b32 s6, exec_lo
	s_delay_alu instid0(VALU_DEP_1) | instskip(NEXT) | instid1(VALU_DEP_1)
	v_lshlrev_b64 v[2:3], 2, v[24:25]
	v_add_co_u32 v2, vcc_lo, s4, v2
	s_delay_alu instid0(VALU_DEP_2)
	v_add_co_ci_u32_e32 v3, vcc_lo, s5, v3, vcc_lo
	global_load_b32 v0, v[2:3], off
	s_waitcnt vmcnt(0)
	v_subrev_nc_u32_e32 v0, s12, v0
.LBB173_10:
	s_or_b32 exec_lo, exec_lo, s8
	s_delay_alu instid0(SALU_CYCLE_1)
	s_and_b32 vcc_lo, exec_lo, s7
	s_cbranch_vccz .LBB173_14
.LBB173_11:
	v_cmp_gt_i32_e32 vcc_lo, s0, v24
	s_and_not1_b32 s0, s6, exec_lo
	s_and_b32 s4, vcc_lo, exec_lo
	s_delay_alu instid0(SALU_CYCLE_1) | instskip(NEXT) | instid1(SALU_CYCLE_1)
	s_or_b32 s6, s0, s4
	s_and_b32 exec_lo, exec_lo, s6
	s_cbranch_execnz .LBB173_15
.LBB173_12:
	s_nop 0
	s_sendmsg sendmsg(MSG_DEALLOC_VGPRS)
	s_endpgm
.LBB173_13:
	s_mov_b32 s6, 0
                                        ; implicit-def: $vgpr0
	s_cbranch_execnz .LBB173_11
.LBB173_14:
	s_delay_alu instid0(VALU_DEP_1)
	v_mov_b32_e32 v24, v0
	s_and_b32 exec_lo, exec_lo, s6
	s_cbranch_execz .LBB173_12
.LBB173_15:
	s_load_b256 s[4:11], s[2:3], 0x28
	s_delay_alu instid0(VALU_DEP_1) | instskip(SKIP_1) | instid1(VALU_DEP_2)
	v_ashrrev_i32_e32 v25, 31, v24
	v_and_b32_e32 v47, 31, v1
	v_lshlrev_b64 v[2:3], 3, v[24:25]
	s_waitcnt lgkmcnt(0)
	s_delay_alu instid0(VALU_DEP_1) | instskip(NEXT) | instid1(VALU_DEP_2)
	v_add_co_u32 v4, vcc_lo, s4, v2
	v_add_co_ci_u32_e32 v5, vcc_lo, s5, v3, vcc_lo
	v_add_co_u32 v0, vcc_lo, s6, v2
	v_add_co_ci_u32_e32 v2, vcc_lo, s7, v3, vcc_lo
	s_delay_alu instid0(VALU_DEP_4)
	v_add_co_u32 v6, vcc_lo, v4, 8
	global_load_b64 v[39:40], v[4:5], off
	v_add_co_ci_u32_e32 v3, vcc_lo, 0, v5, vcc_lo
	s_cmp_eq_u64 s[6:7], 0
	s_load_b64 s[6:7], s[2:3], 0x48
	s_cselect_b32 vcc_lo, -1, 0
	s_cmp_eq_u32 s1, 1
	v_dual_cndmask_b32 v3, v2, v3 :: v_dual_cndmask_b32 v2, v0, v6
	global_load_b64 v[2:3], v[2:3], off
	s_waitcnt vmcnt(1)
	v_sub_co_u32 v0, vcc_lo, v39, s12
	v_subrev_co_ci_u32_e32 v1, vcc_lo, 0, v40, vcc_lo
	s_delay_alu instid0(VALU_DEP_2) | instskip(NEXT) | instid1(VALU_DEP_2)
	v_add_co_u32 v8, vcc_lo, v0, v47
	v_add_co_ci_u32_e32 v9, vcc_lo, 0, v1, vcc_lo
	s_delay_alu instid0(VALU_DEP_1) | instskip(SKIP_3) | instid1(VALU_DEP_3)
	v_lshlrev_b64 v[0:1], 7, v[8:9]
	s_waitcnt vmcnt(0)
	v_sub_co_u32 v10, vcc_lo, v2, s12
	v_subrev_co_ci_u32_e32 v11, vcc_lo, 0, v3, vcc_lo
	v_add_co_u32 v12, vcc_lo, s10, v0
	s_delay_alu instid0(VALU_DEP_2)
	v_cmp_lt_i64_e64 s0, v[8:9], v[10:11]
	v_add_co_ci_u32_e32 v13, vcc_lo, s11, v1, vcc_lo
	s_cbranch_scc1 .LBB173_27
; %bb.16:
	v_mov_b32_e32 v14, 0
	v_mov_b32_e32 v15, 0
	s_delay_alu instid0(VALU_DEP_1)
	v_dual_mov_b32 v30, v15 :: v_dual_mov_b32 v29, v14
	v_dual_mov_b32 v28, v15 :: v_dual_mov_b32 v27, v14
	;; [unrolled: 1-line block ×7, first 2 shown]
	s_and_saveexec_b32 s5, s0
	s_cbranch_execz .LBB173_26
; %bb.17:
	v_or_b32_e32 v0, 32, v47
	v_not_b32_e32 v3, v39
	v_not_b32_e32 v2, v40
	v_mov_b32_e32 v44, v9
	s_mov_b32 s10, 0
	v_sub_co_u32 v0, s1, v0, s12
	s_delay_alu instid0(VALU_DEP_1) | instskip(SKIP_1) | instid1(VALU_DEP_3)
	v_sub_co_ci_u32_e64 v1, null, 0, 0, s1
	v_sub_co_u32 v4, s1, s12, v47
	v_add_co_u32 v0, vcc_lo, v0, v39
	s_delay_alu instid0(VALU_DEP_3) | instskip(SKIP_2) | instid1(VALU_DEP_2)
	v_add_co_ci_u32_e32 v1, vcc_lo, v1, v40, vcc_lo
	v_sub_co_ci_u32_e64 v5, null, 0, 0, s1
	s_mov_b32 s4, exec_lo
	v_cmp_gt_i64_e32 vcc_lo, v[0:1], v[10:11]
	v_mov_b32_e32 v43, v8
	v_dual_cndmask_b32 v1, v11, v1 :: v_dual_cndmask_b32 v0, v10, v0
	v_add_co_u32 v3, vcc_lo, v4, v3
	v_add_co_ci_u32_e32 v2, vcc_lo, v5, v2, vcc_lo
	s_delay_alu instid0(VALU_DEP_2) | instskip(NEXT) | instid1(VALU_DEP_2)
	v_add_co_u32 v0, vcc_lo, v3, v0
	v_add_co_ci_u32_e32 v1, vcc_lo, v2, v1, vcc_lo
	s_delay_alu instid0(VALU_DEP_2) | instskip(SKIP_3) | instid1(VALU_DEP_4)
	v_lshrrev_b32_e32 v2, 5, v0
	v_mov_b32_e32 v25, 0
	v_mov_b32_e32 v26, 0
	v_dual_mov_b32 v42, v13 :: v_dual_mov_b32 v41, v12
	v_add_nc_u32_e32 v2, 1, v2
	s_delay_alu instid0(VALU_DEP_3)
	v_dual_mov_b32 v14, v25 :: v_dual_mov_b32 v15, v26
	v_mov_b32_e32 v36, v26
	v_mov_b32_e32 v28, v26
	;; [unrolled: 1-line block ×3, first 2 shown]
	v_dual_mov_b32 v32, v26 :: v_dual_mov_b32 v31, v25
	v_dual_mov_b32 v38, v26 :: v_dual_mov_b32 v37, v25
	;; [unrolled: 1-line block ×3, first 2 shown]
	v_dual_mov_b32 v35, v25 :: v_dual_and_b32 v2, 3, v2
	v_mov_b32_e32 v27, v25
	v_mov_b32_e32 v29, v25
	s_delay_alu instid0(VALU_DEP_3)
	v_cmpx_ne_u32_e32 0, v2
	s_cbranch_execz .LBB173_21
; %bb.18:
	v_lshlrev_b64 v[4:5], 2, v[8:9]
	v_dual_mov_b32 v3, 0 :: v_dual_mov_b32 v14, 0
	v_dual_mov_b32 v15, 0 :: v_dual_lshlrev_b32 v2, 2, v2
	v_dual_mov_b32 v44, v9 :: v_dual_mov_b32 v43, v8
	s_delay_alu instid0(VALU_DEP_4)
	v_add_co_u32 v4, vcc_lo, s8, v4
	v_add_co_ci_u32_e32 v5, vcc_lo, s9, v5, vcc_lo
	v_dual_mov_b32 v42, v13 :: v_dual_mov_b32 v41, v12
	v_dual_mov_b32 v30, v15 :: v_dual_mov_b32 v29, v14
	;; [unrolled: 1-line block ×8, first 2 shown]
.LBB173_19:                             ; =>This Inner Loop Header: Depth=1
	global_load_b32 v6, v[4:5], off
	s_clause 0x7
	global_load_b128 v[48:51], v[41:42], off
	global_load_b128 v[52:55], v[41:42], off offset:32
	global_load_b128 v[56:59], v[41:42], off offset:64
	;; [unrolled: 1-line block ×7, first 2 shown]
	v_add_co_u32 v4, s1, 0x80, v4
	s_delay_alu instid0(VALU_DEP_1)
	v_add_co_ci_u32_e64 v5, s1, 0, v5, s1
	s_waitcnt vmcnt(8)
	v_subrev_nc_u32_e32 v6, s12, v6
	s_waitcnt vmcnt(7)
	v_cvt_f64_f32_e32 v[45:46], v49
	s_waitcnt vmcnt(6)
	v_cvt_f64_f32_e32 v[100:101], v54
	;; [unrolled: 2-line block ×3, first 2 shown]
	v_cvt_f64_f32_e32 v[56:57], v57
	v_lshlrev_b32_e32 v6, 2, v6
	s_waitcnt vmcnt(3)
	v_cvt_f64_f32_e32 v[98:99], v64
	v_cvt_f64_f32_e32 v[64:65], v65
	v_cvt_f64_f32_e32 v[54:55], v55
	v_cvt_f64_f32_e32 v[102:103], v58
	v_ashrrev_i32_e32 v7, 31, v6
	v_cvt_f64_f32_e32 v[58:59], v59
	v_cvt_f64_f32_e32 v[104:105], v66
	v_cvt_f64_f32_e32 v[66:67], v67
	s_delay_alu instid0(VALU_DEP_4) | instskip(SKIP_1) | instid1(VALU_DEP_1)
	v_lshlrev_b64 v[6:7], 4, v[6:7]
	s_waitcnt lgkmcnt(0)
	v_add_co_u32 v6, vcc_lo, s6, v6
	s_delay_alu instid0(VALU_DEP_2)
	v_add_co_ci_u32_e32 v7, vcc_lo, s7, v7, vcc_lo
	v_add_co_u32 v41, vcc_lo, 0x1000, v41
	v_add_co_ci_u32_e32 v42, vcc_lo, 0, v42, vcc_lo
	s_clause 0x3
	global_load_b128 v[80:83], v[6:7], off
	global_load_b128 v[84:87], v[6:7], off offset:16
	global_load_b128 v[88:91], v[6:7], off offset:32
	;; [unrolled: 1-line block ×3, first 2 shown]
	v_cvt_f64_f32_e32 v[6:7], v48
	v_cvt_f64_f32_e32 v[48:49], v52
	;; [unrolled: 1-line block ×3, first 2 shown]
	v_add_co_u32 v2, vcc_lo, v2, -4
	v_add_co_ci_u32_e32 v3, vcc_lo, -1, v3, vcc_lo
	v_add_co_u32 v43, vcc_lo, v43, 32
	v_add_co_ci_u32_e32 v44, vcc_lo, 0, v44, vcc_lo
	s_delay_alu instid0(VALU_DEP_3)
	v_cmp_eq_u64_e32 vcc_lo, 0, v[2:3]
	s_or_b32 s10, vcc_lo, s10
	s_waitcnt vmcnt(3)
	v_fma_f64 v[29:30], v[6:7], v[80:81], v[29:30]
	v_fma_f64 v[14:15], v[45:46], v[80:81], v[14:15]
	;; [unrolled: 1-line block ×8, first 2 shown]
	v_cvt_f64_f32_e32 v[80:81], v50
	v_cvt_f64_f32_e32 v[50:51], v51
	v_fma_f64 v[29:30], -v[45:46], v[82:83], v[29:30]
	v_fma_f64 v[6:7], v[6:7], v[82:83], v[14:15]
	v_fma_f64 v[14:15], -v[52:53], v[82:83], v[35:36]
	v_fma_f64 v[27:28], v[48:49], v[82:83], v[27:28]
	;; [unrolled: 2-line block ×4, first 2 shown]
	v_cvt_f64_f32_e32 v[37:38], v68
	v_cvt_f64_f32_e32 v[45:46], v69
	;; [unrolled: 1-line block ×10, first 2 shown]
	s_waitcnt vmcnt(2)
	v_fma_f64 v[29:30], v[80:81], v[84:85], v[29:30]
	v_fma_f64 v[6:7], v[50:51], v[84:85], v[6:7]
	;; [unrolled: 1-line block ×8, first 2 shown]
	v_fma_f64 v[29:30], -v[50:51], v[86:87], v[29:30]
	v_fma_f64 v[6:7], v[80:81], v[86:87], v[6:7]
	v_fma_f64 v[14:15], -v[54:55], v[86:87], v[14:15]
	v_fma_f64 v[27:28], v[100:101], v[86:87], v[27:28]
	;; [unrolled: 2-line block ×4, first 2 shown]
	v_cvt_f64_f32_e32 v[50:51], v70
	v_cvt_f64_f32_e32 v[54:55], v71
	;; [unrolled: 1-line block ×6, first 2 shown]
	s_waitcnt vmcnt(1)
	v_fma_f64 v[29:30], v[37:38], v[88:89], v[29:30]
	v_fma_f64 v[6:7], v[45:46], v[88:89], v[6:7]
	;; [unrolled: 1-line block ×8, first 2 shown]
	v_fma_f64 v[29:30], -v[45:46], v[90:91], v[29:30]
	v_fma_f64 v[6:7], v[37:38], v[90:91], v[6:7]
	v_fma_f64 v[14:15], -v[52:53], v[90:91], v[14:15]
	v_fma_f64 v[27:28], v[48:49], v[90:91], v[27:28]
	;; [unrolled: 2-line block ×4, first 2 shown]
	s_waitcnt vmcnt(0)
	v_fma_f64 v[29:30], v[50:51], v[92:93], v[29:30]
	v_fma_f64 v[6:7], v[54:55], v[92:93], v[6:7]
	;; [unrolled: 1-line block ×8, first 2 shown]
	v_fma_f64 v[29:30], -v[54:55], v[94:95], v[29:30]
	v_fma_f64 v[14:15], v[50:51], v[94:95], v[6:7]
	v_fma_f64 v[35:36], -v[62:63], v[94:95], v[37:38]
	v_fma_f64 v[27:28], v[58:59], v[94:95], v[27:28]
	;; [unrolled: 2-line block ×4, first 2 shown]
	s_and_not1_b32 exec_lo, exec_lo, s10
	s_cbranch_execnz .LBB173_19
; %bb.20:
	s_or_b32 exec_lo, exec_lo, s10
.LBB173_21:
	s_delay_alu instid0(SALU_CYCLE_1) | instskip(NEXT) | instid1(SALU_CYCLE_1)
	s_or_b32 exec_lo, exec_lo, s4
	s_mov_b32 s10, exec_lo
	v_cmpx_lt_u64_e32 0x5f, v[0:1]
	s_cbranch_execz .LBB173_25
; %bb.22:
	v_lshlrev_b64 v[0:1], 2, v[43:44]
	s_mov_b32 s11, 0
	s_delay_alu instid0(VALU_DEP_1) | instskip(NEXT) | instid1(VALU_DEP_2)
	v_add_co_u32 v0, vcc_lo, v0, s8
	v_add_co_ci_u32_e32 v1, vcc_lo, s9, v1, vcc_lo
	s_delay_alu instid0(VALU_DEP_2) | instskip(NEXT) | instid1(VALU_DEP_2)
	v_add_co_u32 v45, vcc_lo, 0x100, v0
	v_add_co_ci_u32_e32 v46, vcc_lo, 0, v1, vcc_lo
.LBB173_23:                             ; =>This Inner Loop Header: Depth=1
	global_load_b32 v56, v[45:46], off offset:-256
	s_clause 0x1
	global_load_b128 v[4:7], v[41:42], off
	global_load_b128 v[0:3], v[41:42], off offset:32
	global_load_b32 v104, v[45:46], off offset:-128
	s_clause 0x1
	global_load_b128 v[48:51], v[41:42], off offset:64
	global_load_b128 v[52:55], v[41:42], off offset:96
	v_add_co_u32 v110, s1, 0x1000, v41
	s_waitcnt vmcnt(5)
	v_subrev_nc_u32_e32 v56, s12, v56
	s_waitcnt vmcnt(4)
	v_cvt_f64_f32_e32 v[112:113], v4
	v_cvt_f64_f32_e32 v[4:5], v5
	s_waitcnt vmcnt(2)
	v_subrev_nc_u32_e32 v104, s12, v104
	v_cvt_f64_f32_e32 v[114:115], v0
	v_lshlrev_b32_e32 v56, 2, v56
	v_cvt_f64_f32_e32 v[0:1], v1
	s_waitcnt vmcnt(1)
	v_cvt_f64_f32_e32 v[116:117], v48
	v_lshlrev_b32_e32 v104, 2, v104
	v_cvt_f64_f32_e32 v[48:49], v49
	v_ashrrev_i32_e32 v57, 31, v56
	s_waitcnt vmcnt(0)
	v_cvt_f64_f32_e32 v[118:119], v52
	v_cvt_f64_f32_e32 v[52:53], v53
	v_ashrrev_i32_e32 v105, 31, v104
	v_cvt_f64_f32_e32 v[122:123], v7
	v_lshlrev_b64 v[56:57], 4, v[56:57]
	v_cvt_f64_f32_e32 v[124:125], v2
	v_cvt_f64_f32_e32 v[126:127], v3
	v_lshlrev_b64 v[104:105], 4, v[104:105]
	v_cvt_f64_f32_e32 v[128:129], v50
	v_cvt_f64_f32_e32 v[50:51], v51
	s_waitcnt lgkmcnt(0)
	v_add_co_u32 v84, vcc_lo, s6, v56
	v_add_co_ci_u32_e32 v85, vcc_lo, s7, v57, vcc_lo
	v_add_co_u32 v108, vcc_lo, v41, 0x2000
	v_add_co_ci_u32_e32 v109, vcc_lo, 0, v42, vcc_lo
	s_clause 0x1
	global_load_b128 v[56:59], v[84:85], off
	global_load_b128 v[60:63], v[84:85], off offset:16
	s_clause 0x3
	global_load_b128 v[64:67], v[41:42], off offset:16
	global_load_b128 v[68:71], v[41:42], off offset:48
	global_load_b128 v[72:75], v[41:42], off offset:80
	global_load_b128 v[76:79], v[41:42], off offset:112
	s_clause 0x1
	global_load_b128 v[80:83], v[84:85], off offset:32
	global_load_b128 v[84:87], v[84:85], off offset:48
	global_load_b32 v134, v[45:46], off
	v_add_co_ci_u32_e64 v111, vcc_lo, 0, v42, s1
	s_clause 0x3
	global_load_b128 v[88:91], v[108:109], off offset:-4096
	global_load_b128 v[92:95], v[110:111], off offset:32
	global_load_b128 v[96:99], v[110:111], off offset:64
	;; [unrolled: 1-line block ×3, first 2 shown]
	v_add_co_u32 v120, vcc_lo, s6, v104
	v_add_co_ci_u32_e32 v121, vcc_lo, s7, v105, vcc_lo
	v_cvt_f64_f32_e32 v[130:131], v54
	v_cvt_f64_f32_e32 v[54:55], v55
	global_load_b128 v[104:107], v[120:121], off
	s_waitcnt vmcnt(13)
	v_fma_f64 v[29:30], v[112:113], v[56:57], v[29:30]
	v_fma_f64 v[14:15], v[4:5], v[56:57], v[14:15]
	v_fma_f64 v[35:36], v[114:115], v[56:57], v[35:36]
	v_fma_f64 v[27:28], v[0:1], v[56:57], v[27:28]
	v_fma_f64 v[37:38], v[116:117], v[56:57], v[37:38]
	v_fma_f64 v[33:34], v[48:49], v[56:57], v[33:34]
	v_fma_f64 v[25:26], v[118:119], v[56:57], v[25:26]
	v_fma_f64 v[31:32], v[52:53], v[56:57], v[31:32]
	v_cvt_f64_f32_e32 v[56:57], v6
	s_waitcnt vmcnt(8)
	v_cvt_f64_f32_e32 v[132:133], v76
	v_cvt_f64_f32_e32 v[76:77], v77
	v_fma_f64 v[4:5], -v[4:5], v[58:59], v[29:30]
	v_fma_f64 v[6:7], v[112:113], v[58:59], v[14:15]
	v_fma_f64 v[14:15], -v[0:1], v[58:59], v[35:36]
	global_load_b128 v[0:3], v[120:121], off offset:16
	v_fma_f64 v[27:28], v[114:115], v[58:59], v[27:28]
	v_fma_f64 v[29:30], -v[48:49], v[58:59], v[37:38]
	v_fma_f64 v[33:34], v[116:117], v[58:59], v[33:34]
	v_fma_f64 v[25:26], -v[52:53], v[58:59], v[25:26]
	v_fma_f64 v[31:32], v[118:119], v[58:59], v[31:32]
	v_cvt_f64_f32_e32 v[116:117], v68
	v_cvt_f64_f32_e32 v[68:69], v69
	;; [unrolled: 1-line block ×4, first 2 shown]
	v_fma_f64 v[37:38], v[56:57], v[60:61], v[4:5]
	v_fma_f64 v[48:49], v[122:123], v[60:61], v[6:7]
	;; [unrolled: 1-line block ×8, first 2 shown]
	s_clause 0x3
	global_load_b128 v[4:7], v[110:111], off offset:16
	global_load_b128 v[25:28], v[110:111], off offset:48
	;; [unrolled: 1-line block ×4, first 2 shown]
	v_cvt_f64_f32_e32 v[110:111], v64
	v_cvt_f64_f32_e32 v[64:65], v65
	v_fma_f64 v[37:38], -v[122:123], v[62:63], v[37:38]
	v_fma_f64 v[56:57], v[56:57], v[62:63], v[48:49]
	v_fma_f64 v[14:15], -v[126:127], v[62:63], v[14:15]
	v_cvt_f64_f32_e32 v[122:123], v71
	v_fma_f64 v[52:53], v[124:125], v[62:63], v[52:53]
	v_fma_f64 v[58:59], -v[50:51], v[62:63], v[58:59]
	v_fma_f64 v[112:113], v[128:129], v[62:63], v[112:113]
	v_fma_f64 v[54:55], -v[54:55], v[62:63], v[114:115]
	v_fma_f64 v[60:61], v[130:131], v[62:63], v[60:61]
	global_load_b128 v[48:51], v[120:121], off offset:32
	v_cvt_f64_f32_e32 v[114:115], v70
	v_cvt_f64_f32_e32 v[124:125], v74
	;; [unrolled: 1-line block ×5, first 2 shown]
	s_waitcnt vmcnt(9)
	v_cvt_f64_f32_e32 v[128:129], v92
	v_cvt_f64_f32_e32 v[92:93], v93
	s_waitcnt vmcnt(8)
	v_cvt_f64_f32_e32 v[130:131], v96
	v_cvt_f64_f32_e32 v[96:97], v97
	v_fma_f64 v[37:38], v[110:111], v[80:81], v[37:38]
	v_fma_f64 v[56:57], v[64:65], v[80:81], v[56:57]
	;; [unrolled: 1-line block ×8, first 2 shown]
	v_cvt_f64_f32_e32 v[80:81], v66
	v_cvt_f64_f32_e32 v[112:113], v67
	v_fma_f64 v[37:38], -v[64:65], v[82:83], v[37:38]
	v_fma_f64 v[56:57], v[110:111], v[82:83], v[56:57]
	v_fma_f64 v[14:15], -v[68:69], v[82:83], v[14:15]
	v_add_co_u32 v110, vcc_lo, 0x2000, v41
	v_fma_f64 v[64:65], v[116:117], v[82:83], v[52:53]
	v_fma_f64 v[58:59], -v[72:73], v[82:83], v[58:59]
	v_fma_f64 v[62:63], v[118:119], v[82:83], v[62:63]
	v_fma_f64 v[66:67], -v[76:77], v[82:83], v[54:55]
	v_fma_f64 v[60:61], v[132:133], v[82:83], v[60:61]
	global_load_b128 v[52:55], v[120:121], off offset:48
	global_load_b32 v135, v[45:46], off offset:128
	v_add_co_ci_u32_e32 v111, vcc_lo, 0, v42, vcc_lo
	v_cvt_f64_f32_e32 v[120:121], v88
	v_cvt_f64_f32_e32 v[88:89], v89
	s_waitcnt vmcnt(9)
	v_cvt_f64_f32_e32 v[132:133], v100
	v_cvt_f64_f32_e32 v[100:101], v101
	v_fma_f64 v[37:38], v[80:81], v[84:85], v[37:38]
	v_fma_f64 v[72:73], v[112:113], v[84:85], v[56:57]
	;; [unrolled: 1-line block ×8, first 2 shown]
	s_clause 0x3
	global_load_b128 v[56:59], v[108:109], off
	global_load_b128 v[60:63], v[110:111], off offset:32
	global_load_b128 v[64:67], v[110:111], off offset:64
	;; [unrolled: 1-line block ×3, first 2 shown]
	v_subrev_nc_u32_e32 v108, s12, v134
	s_delay_alu instid0(VALU_DEP_1) | instskip(NEXT) | instid1(VALU_DEP_1)
	v_lshlrev_b32_e32 v108, 2, v108
	v_ashrrev_i32_e32 v109, 31, v108
	v_fma_f64 v[37:38], -v[112:113], v[86:87], v[37:38]
	v_fma_f64 v[80:81], v[80:81], v[86:87], v[72:73]
	v_fma_f64 v[14:15], -v[122:123], v[86:87], v[14:15]
	s_delay_alu instid0(VALU_DEP_4)
	v_lshlrev_b64 v[72:73], 4, v[108:109]
	v_cvt_f64_f32_e32 v[122:123], v102
	v_fma_f64 v[76:77], v[114:115], v[86:87], v[76:77]
	v_fma_f64 v[82:83], -v[74:75], v[86:87], v[82:83]
	v_fma_f64 v[112:113], v[124:125], v[86:87], v[116:117]
	v_fma_f64 v[78:79], -v[78:79], v[86:87], v[118:119]
	v_fma_f64 v[84:85], v[126:127], v[86:87], v[84:85]
	v_add_co_u32 v108, vcc_lo, s6, v72
	v_add_co_ci_u32_e32 v109, vcc_lo, s7, v73, vcc_lo
	v_cvt_f64_f32_e32 v[114:115], v94
	v_cvt_f64_f32_e32 v[116:117], v95
	v_cvt_f64_f32_e32 v[118:119], v98
	global_load_b128 v[72:75], v[108:109], off
	v_cvt_f64_f32_e32 v[98:99], v99
	v_cvt_f64_f32_e32 v[102:103], v103
	s_waitcnt vmcnt(13)
	v_fma_f64 v[37:38], v[120:121], v[104:105], v[37:38]
	v_fma_f64 v[80:81], v[88:89], v[104:105], v[80:81]
	;; [unrolled: 1-line block ×8, first 2 shown]
	v_cvt_f64_f32_e32 v[104:105], v90
	v_cvt_f64_f32_e32 v[112:113], v91
	v_fma_f64 v[37:38], -v[88:89], v[106:107], v[37:38]
	v_fma_f64 v[80:81], v[120:121], v[106:107], v[80:81]
	v_fma_f64 v[14:15], -v[92:93], v[106:107], v[14:15]
	v_fma_f64 v[88:89], v[128:129], v[106:107], v[76:77]
	;; [unrolled: 2-line block ×3, first 2 shown]
	v_fma_f64 v[90:91], -v[100:101], v[106:107], v[78:79]
	global_load_b128 v[76:79], v[108:109], off offset:16
	v_fma_f64 v[84:85], v[132:133], v[106:107], v[84:85]
	s_waitcnt vmcnt(13)
	v_fma_f64 v[37:38], v[104:105], v[0:1], v[37:38]
	v_fma_f64 v[96:97], v[112:113], v[0:1], v[80:81]
	v_fma_f64 v[14:15], v[114:115], v[0:1], v[14:15]
	v_fma_f64 v[100:101], v[116:117], v[0:1], v[88:89]
	v_fma_f64 v[106:107], v[118:119], v[0:1], v[82:83]
	v_fma_f64 v[120:121], v[98:99], v[0:1], v[86:87]
	v_fma_f64 v[124:125], v[122:123], v[0:1], v[90:91]
	v_fma_f64 v[0:1], v[102:103], v[0:1], v[84:85]
	s_clause 0x3
	global_load_b128 v[80:83], v[110:111], off offset:16
	global_load_b128 v[84:87], v[110:111], off offset:48
	;; [unrolled: 1-line block ×4, first 2 shown]
	s_waitcnt vmcnt(16)
	v_cvt_f64_f32_e32 v[110:111], v4
	v_cvt_f64_f32_e32 v[4:5], v5
	s_waitcnt vmcnt(15)
	v_cvt_f64_f32_e32 v[126:127], v25
	v_cvt_f64_f32_e32 v[25:26], v26
	;; [unrolled: 3-line block ×4, first 2 shown]
	v_fma_f64 v[37:38], -v[112:113], v[2:3], v[37:38]
	v_fma_f64 v[96:97], v[104:105], v[2:3], v[96:97]
	v_fma_f64 v[14:15], -v[116:117], v[2:3], v[14:15]
	v_cvt_f64_f32_e32 v[112:113], v7
	v_cvt_f64_f32_e32 v[116:117], v28
	v_fma_f64 v[100:101], v[114:115], v[2:3], v[100:101]
	v_fma_f64 v[98:99], -v[98:99], v[2:3], v[106:107]
	v_fma_f64 v[104:105], v[118:119], v[2:3], v[120:121]
	v_fma_f64 v[102:103], -v[102:103], v[2:3], v[124:125]
	v_cvt_f64_f32_e32 v[114:115], v27
	v_fma_f64 v[106:107], v[122:123], v[2:3], v[0:1]
	global_load_b128 v[0:3], v[108:109], off offset:32
	v_cvt_f64_f32_e32 v[118:119], v31
	v_cvt_f64_f32_e32 v[120:121], v32
	;; [unrolled: 1-line block ×4, first 2 shown]
	s_waitcnt vmcnt(13)
	v_fma_f64 v[37:38], v[110:111], v[48:49], v[37:38]
	v_fma_f64 v[96:97], v[4:5], v[48:49], v[96:97]
	;; [unrolled: 1-line block ×8, first 2 shown]
	v_cvt_f64_f32_e32 v[106:107], v6
	v_fma_f64 v[27:28], -v[4:5], v[50:51], v[37:38]
	global_load_b128 v[4:7], v[108:109], off offset:48
	v_fma_f64 v[31:32], v[110:111], v[50:51], v[96:97]
	v_fma_f64 v[14:15], -v[25:26], v[50:51], v[14:15]
	v_add_co_u32 v96, vcc_lo, 0x3000, v41
	v_fma_f64 v[25:26], v[126:127], v[50:51], v[100:101]
	v_fma_f64 v[29:30], -v[29:30], v[50:51], v[98:99]
	v_fma_f64 v[35:36], v[128:129], v[50:51], v[104:105]
	v_fma_f64 v[33:34], -v[33:34], v[50:51], v[102:103]
	v_fma_f64 v[37:38], v[130:131], v[50:51], v[48:49]
	v_add_co_ci_u32_e32 v97, vcc_lo, 0, v42, vcc_lo
	v_add_co_u32 v41, s1, 0x4000, v41
	s_waitcnt vmcnt(13)
	v_fma_f64 v[98:99], v[106:107], v[52:53], v[27:28]
	v_fma_f64 v[100:101], v[112:113], v[52:53], v[31:32]
	;; [unrolled: 1-line block ×8, first 2 shown]
	s_clause 0x3
	global_load_b128 v[25:28], v[96:97], off
	global_load_b128 v[29:32], v[96:97], off offset:32
	global_load_b128 v[33:36], v[96:97], off offset:64
	;; [unrolled: 1-line block ×3, first 2 shown]
	s_waitcnt vmcnt(16)
	v_subrev_nc_u32_e32 v52, s12, v135
	s_delay_alu instid0(VALU_DEP_1) | instskip(NEXT) | instid1(VALU_DEP_1)
	v_lshlrev_b32_e32 v52, 2, v52
	v_ashrrev_i32_e32 v53, 31, v52
	s_waitcnt vmcnt(15)
	v_cvt_f64_f32_e32 v[126:127], v56
	v_cvt_f64_f32_e32 v[56:57], v57
	s_waitcnt vmcnt(14)
	v_cvt_f64_f32_e32 v[128:129], v60
	v_cvt_f64_f32_e32 v[60:61], v61
	;; [unrolled: 3-line block ×4, first 2 shown]
	v_lshlrev_b64 v[52:53], 4, v[52:53]
	v_cvt_f64_f32_e32 v[134:135], v71
	v_fma_f64 v[98:99], -v[112:113], v[54:55], v[98:99]
	v_cvt_f64_f32_e32 v[112:113], v58
	v_fma_f64 v[100:101], v[106:107], v[54:55], v[100:101]
	v_fma_f64 v[14:15], -v[116:117], v[54:55], v[14:15]
	v_cvt_f64_f32_e32 v[116:117], v62
	v_fma_f64 v[102:103], v[114:115], v[54:55], v[102:103]
	v_fma_f64 v[104:105], -v[120:121], v[54:55], v[104:105]
	v_fma_f64 v[106:107], v[118:119], v[54:55], v[108:109]
	v_fma_f64 v[108:109], -v[124:125], v[54:55], v[110:111]
	v_fma_f64 v[37:38], v[122:123], v[54:55], v[37:38]
	v_add_co_u32 v110, vcc_lo, s6, v52
	v_add_co_ci_u32_e32 v111, vcc_lo, s7, v53, vcc_lo
	v_cvt_f64_f32_e32 v[114:115], v59
	v_cvt_f64_f32_e32 v[118:119], v63
	;; [unrolled: 1-line block ×3, first 2 shown]
	global_load_b128 v[52:55], v[110:111], off
	v_cvt_f64_f32_e32 v[122:123], v67
	v_cvt_f64_f32_e32 v[124:125], v70
	v_add_co_u32 v43, vcc_lo, 0x80, v43
	v_add_co_ci_u32_e32 v44, vcc_lo, 0, v44, vcc_lo
	v_add_co_u32 v45, vcc_lo, 0x200, v45
	v_add_co_ci_u32_e32 v46, vcc_lo, 0, v46, vcc_lo
	s_delay_alu instid0(VALU_DEP_3) | instskip(SKIP_1) | instid1(VALU_DEP_2)
	v_cmp_ge_i64_e64 s4, v[43:44], v[10:11]
	v_add_co_ci_u32_e64 v42, vcc_lo, 0, v42, s1
	s_or_b32 s11, s4, s11
	s_waitcnt vmcnt(12)
	v_fma_f64 v[98:99], v[126:127], v[72:73], v[98:99]
	v_fma_f64 v[100:101], v[56:57], v[72:73], v[100:101]
	;; [unrolled: 1-line block ×8, first 2 shown]
	v_fma_f64 v[62:63], -v[56:57], v[74:75], v[98:99]
	global_load_b128 v[56:59], v[110:111], off offset:16
	v_fma_f64 v[66:67], v[126:127], v[74:75], v[100:101]
	v_fma_f64 v[14:15], -v[60:61], v[74:75], v[14:15]
	v_fma_f64 v[60:61], v[128:129], v[74:75], v[102:103]
	v_fma_f64 v[64:65], -v[64:65], v[74:75], v[104:105]
	;; [unrolled: 2-line block ×3, first 2 shown]
	v_fma_f64 v[37:38], v[132:133], v[74:75], v[37:38]
	s_waitcnt vmcnt(12)
	v_fma_f64 v[98:99], v[112:113], v[76:77], v[62:63]
	v_fma_f64 v[100:101], v[114:115], v[76:77], v[66:67]
	;; [unrolled: 1-line block ×8, first 2 shown]
	s_clause 0x3
	global_load_b128 v[60:63], v[96:97], off offset:16
	global_load_b128 v[64:67], v[96:97], off offset:48
	;; [unrolled: 1-line block ×4, first 2 shown]
	s_waitcnt vmcnt(15)
	v_cvt_f64_f32_e32 v[96:97], v80
	v_cvt_f64_f32_e32 v[80:81], v81
	s_waitcnt vmcnt(14)
	v_cvt_f64_f32_e32 v[126:127], v84
	v_cvt_f64_f32_e32 v[84:85], v85
	;; [unrolled: 3-line block ×4, first 2 shown]
	v_fma_f64 v[98:99], -v[114:115], v[78:79], v[98:99]
	v_cvt_f64_f32_e32 v[114:115], v90
	v_fma_f64 v[100:101], v[112:113], v[78:79], v[100:101]
	v_fma_f64 v[14:15], -v[118:119], v[78:79], v[14:15]
	v_cvt_f64_f32_e32 v[112:113], v86
	v_cvt_f64_f32_e32 v[86:87], v87
	v_fma_f64 v[102:103], v[116:117], v[78:79], v[102:103]
	v_fma_f64 v[104:105], -v[122:123], v[78:79], v[104:105]
	v_fma_f64 v[106:107], v[120:121], v[78:79], v[106:107]
	v_fma_f64 v[108:109], -v[134:135], v[78:79], v[108:109]
	v_fma_f64 v[37:38], v[124:125], v[78:79], v[37:38]
	global_load_b128 v[76:79], v[110:111], off offset:32
	v_cvt_f64_f32_e32 v[90:91], v91
	v_cvt_f64_f32_e32 v[116:117], v94
	;; [unrolled: 1-line block ×3, first 2 shown]
	s_waitcnt vmcnt(12)
	v_fma_f64 v[98:99], v[96:97], v[0:1], v[98:99]
	v_fma_f64 v[100:101], v[80:81], v[0:1], v[100:101]
	v_fma_f64 v[14:15], v[126:127], v[0:1], v[14:15]
	v_fma_f64 v[102:103], v[84:85], v[0:1], v[102:103]
	v_fma_f64 v[104:105], v[128:129], v[0:1], v[104:105]
	v_fma_f64 v[106:107], v[88:89], v[0:1], v[106:107]
	v_fma_f64 v[108:109], v[130:131], v[0:1], v[108:109]
	v_fma_f64 v[0:1], v[92:93], v[0:1], v[37:38]
	v_cvt_f64_f32_e32 v[37:38], v82
	v_cvt_f64_f32_e32 v[82:83], v83
	v_fma_f64 v[80:81], -v[80:81], v[2:3], v[98:99]
	v_fma_f64 v[96:97], v[96:97], v[2:3], v[100:101]
	v_fma_f64 v[14:15], -v[84:85], v[2:3], v[14:15]
	v_fma_f64 v[84:85], v[126:127], v[2:3], v[102:103]
	;; [unrolled: 2-line block ×4, first 2 shown]
	global_load_b128 v[0:3], v[110:111], off offset:48
	s_waitcnt vmcnt(12)
	v_fma_f64 v[80:81], v[37:38], v[4:5], v[80:81]
	v_fma_f64 v[96:97], v[82:83], v[4:5], v[96:97]
	;; [unrolled: 1-line block ×8, first 2 shown]
	s_waitcnt vmcnt(11)
	v_cvt_f64_f32_e32 v[100:101], v25
	v_cvt_f64_f32_e32 v[25:26], v26
	s_waitcnt vmcnt(10)
	v_cvt_f64_f32_e32 v[102:103], v29
	v_cvt_f64_f32_e32 v[29:30], v30
	s_waitcnt vmcnt(9)
	v_cvt_f64_f32_e32 v[104:105], v33
	v_cvt_f64_f32_e32 v[33:34], v34
	s_waitcnt vmcnt(8)
	v_cvt_f64_f32_e32 v[106:107], v48
	v_cvt_f64_f32_e32 v[48:49], v49
	v_fma_f64 v[80:81], -v[82:83], v[6:7], v[80:81]
	v_fma_f64 v[37:38], v[37:38], v[6:7], v[96:97]
	v_fma_f64 v[14:15], -v[86:87], v[6:7], v[14:15]
	v_fma_f64 v[82:83], v[112:113], v[6:7], v[84:85]
	;; [unrolled: 2-line block ×4, first 2 shown]
	v_cvt_f64_f32_e32 v[90:91], v35
	v_cvt_f64_f32_e32 v[35:36], v36
	;; [unrolled: 1-line block ×4, first 2 shown]
	s_waitcnt vmcnt(7)
	v_fma_f64 v[6:7], v[100:101], v[52:53], v[80:81]
	v_fma_f64 v[37:38], v[25:26], v[52:53], v[37:38]
	;; [unrolled: 1-line block ×8, first 2 shown]
	v_cvt_f64_f32_e32 v[52:53], v27
	v_cvt_f64_f32_e32 v[27:28], v28
	;; [unrolled: 1-line block ×4, first 2 shown]
	v_fma_f64 v[6:7], -v[25:26], v[54:55], v[6:7]
	v_fma_f64 v[25:26], v[100:101], v[54:55], v[37:38]
	v_fma_f64 v[14:15], -v[29:30], v[54:55], v[14:15]
	v_fma_f64 v[29:30], v[102:103], v[54:55], v[80:81]
	;; [unrolled: 2-line block ×4, first 2 shown]
	s_waitcnt vmcnt(6)
	v_fma_f64 v[6:7], v[52:53], v[56:57], v[6:7]
	v_fma_f64 v[25:26], v[27:28], v[56:57], v[25:26]
	;; [unrolled: 1-line block ×8, first 2 shown]
	s_waitcnt vmcnt(5)
	v_cvt_f64_f32_e32 v[54:55], v60
	v_cvt_f64_f32_e32 v[56:57], v61
	s_waitcnt vmcnt(4)
	v_cvt_f64_f32_e32 v[60:61], v64
	v_cvt_f64_f32_e32 v[64:65], v65
	;; [unrolled: 3-line block ×4, first 2 shown]
	v_fma_f64 v[6:7], -v[27:28], v[58:59], v[6:7]
	v_fma_f64 v[25:26], v[52:53], v[58:59], v[25:26]
	v_fma_f64 v[14:15], -v[31:32], v[58:59], v[14:15]
	v_cvt_f64_f32_e32 v[52:53], v70
	v_fma_f64 v[27:28], v[88:89], v[58:59], v[29:30]
	v_fma_f64 v[29:30], -v[35:36], v[58:59], v[33:34]
	v_fma_f64 v[31:32], v[90:91], v[58:59], v[37:38]
	v_fma_f64 v[33:34], -v[50:51], v[58:59], v[48:49]
	v_fma_f64 v[4:5], v[92:93], v[58:59], v[4:5]
	v_cvt_f64_f32_e32 v[35:36], v62
	v_cvt_f64_f32_e32 v[37:38], v63
	v_cvt_f64_f32_e32 v[48:49], v66
	v_cvt_f64_f32_e32 v[50:51], v67
	v_cvt_f64_f32_e32 v[58:59], v71
	v_cvt_f64_f32_e32 v[62:63], v74
	v_cvt_f64_f32_e32 v[66:67], v75
	s_waitcnt vmcnt(1)
	v_fma_f64 v[6:7], v[54:55], v[76:77], v[6:7]
	v_fma_f64 v[25:26], v[56:57], v[76:77], v[25:26]
	;; [unrolled: 1-line block ×8, first 2 shown]
	v_fma_f64 v[6:7], -v[56:57], v[78:79], v[6:7]
	v_fma_f64 v[25:26], v[54:55], v[78:79], v[25:26]
	v_fma_f64 v[14:15], -v[64:65], v[78:79], v[14:15]
	v_fma_f64 v[27:28], v[60:61], v[78:79], v[27:28]
	;; [unrolled: 2-line block ×4, first 2 shown]
	s_waitcnt vmcnt(0)
	v_fma_f64 v[6:7], v[35:36], v[0:1], v[6:7]
	v_fma_f64 v[25:26], v[37:38], v[0:1], v[25:26]
	;; [unrolled: 1-line block ×8, first 2 shown]
	v_fma_f64 v[29:30], -v[37:38], v[2:3], v[6:7]
	v_fma_f64 v[14:15], v[35:36], v[2:3], v[25:26]
	v_fma_f64 v[35:36], -v[50:51], v[2:3], v[54:55]
	v_fma_f64 v[27:28], v[48:49], v[2:3], v[27:28]
	;; [unrolled: 2-line block ×4, first 2 shown]
	s_and_not1_b32 exec_lo, exec_lo, s11
	s_cbranch_execnz .LBB173_23
; %bb.24:
	s_or_b32 exec_lo, exec_lo, s11
.LBB173_25:
	s_delay_alu instid0(SALU_CYCLE_1)
	s_or_b32 exec_lo, exec_lo, s10
.LBB173_26:
	s_delay_alu instid0(SALU_CYCLE_1)
	s_or_b32 exec_lo, exec_lo, s5
	s_cbranch_execz .LBB173_28
	s_branch .LBB173_39
.LBB173_27:
                                        ; implicit-def: $vgpr14_vgpr15
                                        ; implicit-def: $vgpr29_vgpr30
                                        ; implicit-def: $vgpr27_vgpr28
                                        ; implicit-def: $vgpr35_vgpr36
                                        ; implicit-def: $vgpr33_vgpr34
                                        ; implicit-def: $vgpr37_vgpr38
                                        ; implicit-def: $vgpr31_vgpr32
                                        ; implicit-def: $vgpr25_vgpr26
.LBB173_28:
	v_mov_b32_e32 v14, 0
	v_mov_b32_e32 v15, 0
	s_delay_alu instid0(VALU_DEP_1)
	v_dual_mov_b32 v30, v15 :: v_dual_mov_b32 v29, v14
	v_dual_mov_b32 v28, v15 :: v_dual_mov_b32 v27, v14
	;; [unrolled: 1-line block ×7, first 2 shown]
	s_and_saveexec_b32 s1, s0
	s_cbranch_execz .LBB173_38
; %bb.29:
	v_or_b32_e32 v0, 32, v47
	v_not_b32_e32 v3, v39
	v_not_b32_e32 v2, v40
	s_mov_b32 s5, 0
	s_mov_b32 s4, exec_lo
	v_sub_co_u32 v0, s0, v0, s12
	s_delay_alu instid0(VALU_DEP_1) | instskip(SKIP_1) | instid1(VALU_DEP_3)
	v_sub_co_ci_u32_e64 v1, null, 0, 0, s0
	v_sub_co_u32 v4, s0, s12, v47
	v_add_co_u32 v0, vcc_lo, v0, v39
	s_delay_alu instid0(VALU_DEP_3) | instskip(SKIP_1) | instid1(VALU_DEP_2)
	v_add_co_ci_u32_e32 v1, vcc_lo, v1, v40, vcc_lo
	v_sub_co_ci_u32_e64 v5, null, 0, 0, s0
	v_cmp_gt_i64_e32 vcc_lo, v[0:1], v[10:11]
	v_dual_cndmask_b32 v1, v11, v1 :: v_dual_cndmask_b32 v0, v10, v0
	v_add_co_u32 v3, vcc_lo, v4, v3
	s_delay_alu instid0(VALU_DEP_4) | instskip(NEXT) | instid1(VALU_DEP_2)
	v_add_co_ci_u32_e32 v2, vcc_lo, v5, v2, vcc_lo
	v_add_co_u32 v0, vcc_lo, v3, v0
	s_delay_alu instid0(VALU_DEP_2) | instskip(NEXT) | instid1(VALU_DEP_2)
	v_add_co_ci_u32_e32 v1, vcc_lo, v2, v1, vcc_lo
	v_lshrrev_b32_e32 v2, 5, v0
	v_mov_b32_e32 v25, 0
	v_mov_b32_e32 v26, 0
	s_delay_alu instid0(VALU_DEP_2) | instskip(NEXT) | instid1(VALU_DEP_2)
	v_mov_b32_e32 v14, v25
	v_dual_mov_b32 v15, v26 :: v_dual_add_nc_u32 v2, 1, v2
	v_mov_b32_e32 v34, v26
	v_mov_b32_e32 v36, v26
	;; [unrolled: 1-line block ×3, first 2 shown]
	v_dual_mov_b32 v30, v26 :: v_dual_mov_b32 v29, v25
	v_dual_mov_b32 v32, v26 :: v_dual_mov_b32 v31, v25
	;; [unrolled: 1-line block ×3, first 2 shown]
	v_dual_mov_b32 v33, v25 :: v_dual_and_b32 v2, 3, v2
	v_mov_b32_e32 v35, v25
	v_mov_b32_e32 v27, v25
	s_delay_alu instid0(VALU_DEP_3)
	v_cmpx_ne_u32_e32 0, v2
	s_cbranch_execz .LBB173_33
; %bb.30:
	v_lshlrev_b64 v[4:5], 2, v[8:9]
	v_dual_mov_b32 v3, 0 :: v_dual_mov_b32 v14, 0
	v_dual_mov_b32 v15, 0 :: v_dual_lshlrev_b32 v2, 2, v2
	s_delay_alu instid0(VALU_DEP_3) | instskip(NEXT) | instid1(VALU_DEP_4)
	v_add_co_u32 v4, vcc_lo, s8, v4
	v_add_co_ci_u32_e32 v5, vcc_lo, s9, v5, vcc_lo
	s_delay_alu instid0(VALU_DEP_3)
	v_dual_mov_b32 v30, v15 :: v_dual_mov_b32 v29, v14
	v_dual_mov_b32 v28, v15 :: v_dual_mov_b32 v27, v14
	;; [unrolled: 1-line block ×7, first 2 shown]
.LBB173_31:                             ; =>This Inner Loop Header: Depth=1
	global_load_b32 v6, v[4:5], off
	s_clause 0x1
	global_load_b128 v[39:42], v[12:13], off
	global_load_b128 v[43:46], v[12:13], off offset:16
	v_add_co_u32 v4, s0, 0x80, v4
	s_delay_alu instid0(VALU_DEP_1)
	v_add_co_ci_u32_e64 v5, s0, 0, v5, s0
	s_waitcnt vmcnt(2)
	v_subrev_nc_u32_e32 v6, s12, v6
	s_waitcnt vmcnt(1)
	v_cvt_f64_f32_e32 v[88:89], v41
	v_cvt_f64_f32_e32 v[41:42], v42
	s_waitcnt vmcnt(0)
	v_cvt_f64_f32_e32 v[90:91], v43
	v_cvt_f64_f32_e32 v[43:44], v44
	v_lshlrev_b32_e32 v6, 2, v6
	v_cvt_f64_f32_e32 v[92:93], v45
	v_cvt_f64_f32_e32 v[45:46], v46
	s_delay_alu instid0(VALU_DEP_3) | instskip(NEXT) | instid1(VALU_DEP_1)
	v_ashrrev_i32_e32 v7, 31, v6
	v_lshlrev_b64 v[6:7], 4, v[6:7]
	s_waitcnt lgkmcnt(0)
	s_delay_alu instid0(VALU_DEP_1) | instskip(NEXT) | instid1(VALU_DEP_2)
	v_add_co_u32 v6, vcc_lo, s6, v6
	v_add_co_ci_u32_e32 v7, vcc_lo, s7, v7, vcc_lo
	s_clause 0x1
	global_load_b128 v[48:51], v[6:7], off
	global_load_b128 v[52:55], v[6:7], off offset:16
	s_clause 0x3
	global_load_b128 v[56:59], v[12:13], off offset:32
	global_load_b128 v[60:63], v[12:13], off offset:48
	;; [unrolled: 1-line block ×4, first 2 shown]
	s_clause 0x1
	global_load_b128 v[72:75], v[6:7], off offset:32
	global_load_b128 v[76:79], v[6:7], off offset:48
	s_clause 0x1
	global_load_b128 v[80:83], v[12:13], off offset:96
	global_load_b128 v[84:87], v[12:13], off offset:112
	v_cvt_f64_f32_e32 v[6:7], v39
	v_cvt_f64_f32_e32 v[39:40], v40
	v_add_co_u32 v12, vcc_lo, 0x1000, v12
	v_add_co_ci_u32_e32 v13, vcc_lo, 0, v13, vcc_lo
	v_add_co_u32 v2, vcc_lo, v2, -4
	v_add_co_ci_u32_e32 v3, vcc_lo, -1, v3, vcc_lo
	v_add_co_u32 v8, vcc_lo, v8, 32
	v_add_co_ci_u32_e32 v9, vcc_lo, 0, v9, vcc_lo
	s_delay_alu instid0(VALU_DEP_3)
	v_cmp_eq_u64_e32 vcc_lo, 0, v[2:3]
	s_or_b32 s5, vcc_lo, s5
	s_waitcnt vmcnt(9)
	v_fma_f64 v[29:30], v[6:7], v[48:49], v[29:30]
	v_fma_f64 v[14:15], v[39:40], v[48:49], v[14:15]
	;; [unrolled: 1-line block ×8, first 2 shown]
	s_waitcnt vmcnt(7)
	v_cvt_f64_f32_e32 v[48:49], v56
	v_cvt_f64_f32_e32 v[56:57], v57
	;; [unrolled: 1-line block ×4, first 2 shown]
	s_waitcnt vmcnt(6)
	v_cvt_f64_f32_e32 v[96:97], v60
	v_cvt_f64_f32_e32 v[60:61], v61
	;; [unrolled: 1-line block ×4, first 2 shown]
	v_fma_f64 v[29:30], -v[39:40], v[50:51], v[29:30]
	v_fma_f64 v[6:7], v[6:7], v[50:51], v[14:15]
	v_fma_f64 v[14:15], -v[41:42], v[50:51], v[35:36]
	v_fma_f64 v[27:28], v[88:89], v[50:51], v[27:28]
	;; [unrolled: 2-line block ×4, first 2 shown]
	s_waitcnt vmcnt(5)
	v_cvt_f64_f32_e32 v[37:38], v64
	v_cvt_f64_f32_e32 v[39:40], v65
	;; [unrolled: 1-line block ×4, first 2 shown]
	s_waitcnt vmcnt(4)
	v_cvt_f64_f32_e32 v[45:46], v68
	v_cvt_f64_f32_e32 v[50:51], v69
	;; [unrolled: 1-line block ×3, first 2 shown]
	s_waitcnt vmcnt(0)
	v_cvt_f64_f32_e32 v[66:67], v86
	v_cvt_f64_f32_e32 v[68:69], v87
	v_fma_f64 v[29:30], v[48:49], v[52:53], v[29:30]
	v_fma_f64 v[6:7], v[56:57], v[52:53], v[6:7]
	;; [unrolled: 1-line block ×8, first 2 shown]
	v_cvt_f64_f32_e32 v[52:53], v70
	v_fma_f64 v[29:30], -v[56:57], v[54:55], v[29:30]
	v_fma_f64 v[6:7], v[48:49], v[54:55], v[6:7]
	v_fma_f64 v[14:15], -v[58:59], v[54:55], v[14:15]
	v_fma_f64 v[27:28], v[94:95], v[54:55], v[27:28]
	;; [unrolled: 2-line block ×4, first 2 shown]
	v_cvt_f64_f32_e32 v[48:49], v80
	v_cvt_f64_f32_e32 v[54:55], v81
	;; [unrolled: 1-line block ×6, first 2 shown]
	v_fma_f64 v[29:30], v[37:38], v[72:73], v[29:30]
	v_fma_f64 v[6:7], v[39:40], v[72:73], v[6:7]
	v_fma_f64 v[14:15], v[41:42], v[72:73], v[14:15]
	v_fma_f64 v[27:28], v[43:44], v[72:73], v[27:28]
	v_fma_f64 v[35:36], v[45:46], v[72:73], v[35:36]
	v_fma_f64 v[33:34], v[50:51], v[72:73], v[33:34]
	v_fma_f64 v[25:26], v[52:53], v[72:73], v[25:26]
	v_fma_f64 v[31:32], v[64:65], v[72:73], v[31:32]
	v_fma_f64 v[29:30], -v[39:40], v[74:75], v[29:30]
	v_fma_f64 v[6:7], v[37:38], v[74:75], v[6:7]
	v_fma_f64 v[14:15], -v[43:44], v[74:75], v[14:15]
	v_fma_f64 v[27:28], v[41:42], v[74:75], v[27:28]
	;; [unrolled: 2-line block ×4, first 2 shown]
	v_fma_f64 v[29:30], v[48:49], v[76:77], v[29:30]
	v_fma_f64 v[6:7], v[54:55], v[76:77], v[6:7]
	;; [unrolled: 1-line block ×8, first 2 shown]
	v_fma_f64 v[29:30], -v[54:55], v[78:79], v[29:30]
	v_fma_f64 v[14:15], v[48:49], v[78:79], v[6:7]
	v_fma_f64 v[35:36], -v[58:59], v[78:79], v[37:38]
	v_fma_f64 v[27:28], v[56:57], v[78:79], v[27:28]
	;; [unrolled: 2-line block ×4, first 2 shown]
	s_and_not1_b32 exec_lo, exec_lo, s5
	s_cbranch_execnz .LBB173_31
; %bb.32:
	s_or_b32 exec_lo, exec_lo, s5
.LBB173_33:
	s_delay_alu instid0(SALU_CYCLE_1) | instskip(NEXT) | instid1(SALU_CYCLE_1)
	s_or_b32 exec_lo, exec_lo, s4
	s_mov_b32 s4, exec_lo
	v_cmpx_lt_u64_e32 0x5f, v[0:1]
	s_cbranch_execz .LBB173_37
; %bb.34:
	v_lshlrev_b64 v[0:1], 2, v[8:9]
	s_mov_b32 s5, 0
	s_delay_alu instid0(VALU_DEP_1) | instskip(NEXT) | instid1(VALU_DEP_2)
	v_add_co_u32 v0, vcc_lo, v0, s8
	v_add_co_ci_u32_e32 v1, vcc_lo, s9, v1, vcc_lo
	s_delay_alu instid0(VALU_DEP_2) | instskip(NEXT) | instid1(VALU_DEP_2)
	v_add_co_u32 v0, vcc_lo, 0x100, v0
	v_add_co_ci_u32_e32 v1, vcc_lo, 0, v1, vcc_lo
.LBB173_35:                             ; =>This Inner Loop Header: Depth=1
	global_load_b32 v6, v[0:1], off offset:-256
	global_load_b128 v[2:5], v[12:13], off
	global_load_b32 v102, v[0:1], off offset:-128
	global_load_b128 v[39:42], v[12:13], off offset:16
	s_clause 0x1
	global_load_b32 v126, v[0:1], off
	global_load_b32 v128, v[0:1], off offset:128
	s_waitcnt vmcnt(5)
	v_subrev_nc_u32_e32 v6, s12, v6
	s_waitcnt vmcnt(4)
	v_cvt_f64_f32_e32 v[94:95], v2
	s_waitcnt vmcnt(3)
	v_subrev_nc_u32_e32 v2, s12, v102
	v_cvt_f64_f32_e32 v[96:97], v3
	v_cvt_f64_f32_e32 v[98:99], v4
	v_lshlrev_b32_e32 v6, 2, v6
	v_cvt_f64_f32_e32 v[100:101], v5
	v_lshlrev_b32_e32 v2, 2, v2
	s_waitcnt vmcnt(2)
	v_cvt_f64_f32_e32 v[102:103], v39
	v_cvt_f64_f32_e32 v[39:40], v40
	v_ashrrev_i32_e32 v7, 31, v6
	v_cvt_f64_f32_e32 v[104:105], v41
	v_cvt_f64_f32_e32 v[41:42], v42
	v_ashrrev_i32_e32 v3, 31, v2
	s_delay_alu instid0(VALU_DEP_4) | instskip(NEXT) | instid1(VALU_DEP_2)
	v_lshlrev_b64 v[6:7], 4, v[6:7]
	v_lshlrev_b64 v[2:3], 4, v[2:3]
	s_waitcnt lgkmcnt(0)
	s_delay_alu instid0(VALU_DEP_2) | instskip(NEXT) | instid1(VALU_DEP_3)
	v_add_co_u32 v6, vcc_lo, s6, v6
	v_add_co_ci_u32_e32 v7, vcc_lo, s7, v7, vcc_lo
	global_load_b128 v[43:46], v[6:7], off
	s_clause 0x1
	global_load_b128 v[48:51], v[12:13], off offset:32
	global_load_b128 v[52:55], v[12:13], off offset:48
	global_load_b128 v[56:59], v[6:7], off offset:16
	s_clause 0x1
	global_load_b128 v[60:63], v[12:13], off offset:64
	global_load_b128 v[64:67], v[12:13], off offset:80
	global_load_b128 v[68:71], v[6:7], off offset:32
	;; [unrolled: 4-line block ×3, first 2 shown]
	v_add_co_u32 v6, vcc_lo, v12, 0x2000
	v_add_co_ci_u32_e32 v7, vcc_lo, 0, v13, vcc_lo
	v_add_co_u32 v92, vcc_lo, 0x1000, v12
	v_add_co_ci_u32_e32 v93, vcc_lo, 0, v13, vcc_lo
	s_clause 0x1
	global_load_b128 v[84:87], v[6:7], off offset:-4096
	global_load_b128 v[88:91], v[92:93], off offset:16
	v_add_co_u32 v106, vcc_lo, s6, v2
	v_add_co_ci_u32_e32 v107, vcc_lo, s7, v3, vcc_lo
	global_load_b128 v[2:5], v[106:107], off
	s_waitcnt vmcnt(12)
	v_fma_f64 v[108:109], v[94:95], v[43:44], v[29:30]
	v_fma_f64 v[14:15], v[96:97], v[43:44], v[14:15]
	;; [unrolled: 1-line block ×8, first 2 shown]
	s_clause 0x1
	global_load_b128 v[25:28], v[92:93], off offset:32
	global_load_b128 v[29:32], v[92:93], off offset:48
	s_waitcnt vmcnt(13)
	v_cvt_f64_f32_e32 v[114:115], v48
	v_cvt_f64_f32_e32 v[116:117], v49
	;; [unrolled: 1-line block ×4, first 2 shown]
	s_waitcnt vmcnt(12)
	v_cvt_f64_f32_e32 v[122:123], v52
	v_cvt_f64_f32_e32 v[52:53], v53
	;; [unrolled: 1-line block ×4, first 2 shown]
	v_fma_f64 v[48:49], -v[96:97], v[45:46], v[108:109]
	v_fma_f64 v[14:15], v[94:95], v[45:46], v[14:15]
	v_fma_f64 v[50:51], -v[100:101], v[45:46], v[35:36]
	v_fma_f64 v[94:95], v[98:99], v[45:46], v[110:111]
	;; [unrolled: 2-line block ×4, first 2 shown]
	global_load_b128 v[33:36], v[106:107], off offset:16
	s_waitcnt vmcnt(11)
	v_cvt_f64_f32_e32 v[104:105], v60
	v_cvt_f64_f32_e32 v[60:61], v61
	;; [unrolled: 1-line block ×4, first 2 shown]
	s_waitcnt vmcnt(10)
	v_cvt_f64_f32_e32 v[110:111], v64
	v_cvt_f64_f32_e32 v[64:65], v65
	;; [unrolled: 1-line block ×4, first 2 shown]
	v_fma_f64 v[45:46], v[114:115], v[56:57], v[48:49]
	v_fma_f64 v[14:15], v[116:117], v[56:57], v[14:15]
	;; [unrolled: 1-line block ×8, first 2 shown]
	s_clause 0x2
	global_load_b128 v[37:40], v[92:93], off offset:64
	global_load_b128 v[41:44], v[92:93], off offset:80
	;; [unrolled: 1-line block ×3, first 2 shown]
	v_fma_f64 v[45:46], -v[116:117], v[58:59], v[45:46]
	v_fma_f64 v[14:15], v[114:115], v[58:59], v[14:15]
	v_fma_f64 v[96:97], -v[120:121], v[58:59], v[96:97]
	v_fma_f64 v[94:95], v[118:119], v[58:59], v[94:95]
	;; [unrolled: 2-line block ×4, first 2 shown]
	global_load_b128 v[52:55], v[106:107], off offset:32
	s_waitcnt vmcnt(12)
	v_cvt_f64_f32_e32 v[114:115], v74
	v_cvt_f64_f32_e32 v[74:75], v75
	s_waitcnt vmcnt(11)
	v_cvt_f64_f32_e32 v[116:117], v76
	v_cvt_f64_f32_e32 v[76:77], v77
	;; [unrolled: 1-line block ×4, first 2 shown]
	v_subrev_nc_u32_e32 v122, s12, v126
	s_waitcnt vmcnt(8)
	v_cvt_f64_f32_e32 v[120:121], v90
	v_cvt_f64_f32_e32 v[90:91], v91
	v_fma_f64 v[45:46], v[104:105], v[68:69], v[45:46]
	v_fma_f64 v[14:15], v[60:61], v[68:69], v[14:15]
	;; [unrolled: 1-line block ×8, first 2 shown]
	global_load_b128 v[56:59], v[92:93], off offset:112
	v_cvt_f64_f32_e32 v[92:93], v72
	v_cvt_f64_f32_e32 v[72:73], v73
	v_fma_f64 v[45:46], -v[60:61], v[70:71], v[45:46]
	v_fma_f64 v[14:15], v[104:105], v[70:71], v[14:15]
	v_fma_f64 v[96:97], -v[62:63], v[70:71], v[96:97]
	global_load_b128 v[60:63], v[106:107], off offset:48
	v_fma_f64 v[94:95], v[108:109], v[70:71], v[94:95]
	v_fma_f64 v[64:65], -v[64:65], v[70:71], v[98:99]
	v_fma_f64 v[98:99], v[110:111], v[70:71], v[100:101]
	v_fma_f64 v[66:67], -v[66:67], v[70:71], v[102:103]
	v_fma_f64 v[68:69], v[112:113], v[70:71], v[68:69]
	v_add_co_u32 v100, vcc_lo, 0x2000, v12
	v_add_co_ci_u32_e32 v101, vcc_lo, 0, v13, vcc_lo
	v_cvt_f64_f32_e32 v[106:107], v85
	v_cvt_f64_f32_e32 v[108:109], v86
	;; [unrolled: 1-line block ×5, first 2 shown]
	v_fma_f64 v[45:46], v[92:93], v[80:81], v[45:46]
	v_fma_f64 v[14:15], v[72:73], v[80:81], v[14:15]
	;; [unrolled: 1-line block ×8, first 2 shown]
	s_clause 0x1
	global_load_b128 v[64:67], v[6:7], off
	global_load_b128 v[68:71], v[100:101], off offset:16
	v_cvt_f64_f32_e32 v[6:7], v84
	v_lshlrev_b32_e32 v84, 2, v122
	s_delay_alu instid0(VALU_DEP_1) | instskip(SKIP_3) | instid1(VALU_DEP_4)
	v_ashrrev_i32_e32 v85, 31, v84
	v_fma_f64 v[45:46], -v[72:73], v[82:83], v[45:46]
	v_fma_f64 v[14:15], v[92:93], v[82:83], v[14:15]
	v_fma_f64 v[86:87], -v[74:75], v[82:83], v[96:97]
	v_lshlrev_b64 v[72:73], 4, v[84:85]
	v_fma_f64 v[92:93], v[114:115], v[82:83], v[94:95]
	v_fma_f64 v[94:95], -v[76:77], v[82:83], v[102:103]
	v_fma_f64 v[96:97], v[116:117], v[82:83], v[98:99]
	v_fma_f64 v[98:99], -v[78:79], v[82:83], v[104:105]
	v_fma_f64 v[80:81], v[118:119], v[82:83], v[80:81]
	v_add_co_u32 v102, vcc_lo, s6, v72
	v_add_co_ci_u32_e32 v103, vcc_lo, s7, v73, vcc_lo
	s_clause 0x1
	global_load_b128 v[72:75], v[102:103], off
	global_load_b128 v[76:79], v[102:103], off offset:16
	s_waitcnt vmcnt(13)
	v_fma_f64 v[45:46], v[6:7], v[2:3], v[45:46]
	v_fma_f64 v[14:15], v[106:107], v[2:3], v[14:15]
	;; [unrolled: 1-line block ×8, first 2 shown]
	s_clause 0x1
	global_load_b128 v[80:83], v[100:101], off offset:32
	global_load_b128 v[84:87], v[100:101], off offset:48
	s_waitcnt vmcnt(14)
	v_cvt_f64_f32_e32 v[114:115], v25
	v_cvt_f64_f32_e32 v[116:117], v26
	;; [unrolled: 1-line block ×4, first 2 shown]
	s_waitcnt vmcnt(13)
	v_cvt_f64_f32_e32 v[124:125], v29
	v_cvt_f64_f32_e32 v[29:30], v30
	;; [unrolled: 1-line block ×4, first 2 shown]
	v_fma_f64 v[25:26], -v[106:107], v[4:5], v[45:46]
	v_fma_f64 v[6:7], v[6:7], v[4:5], v[14:15]
	v_fma_f64 v[14:15], -v[110:111], v[4:5], v[104:105]
	v_fma_f64 v[27:28], v[108:109], v[4:5], v[92:93]
	;; [unrolled: 2-line block ×4, first 2 shown]
	s_waitcnt vmcnt(12)
	v_fma_f64 v[92:93], v[114:115], v[33:34], v[25:26]
	v_fma_f64 v[6:7], v[116:117], v[33:34], v[6:7]
	;; [unrolled: 1-line block ×8, first 2 shown]
	s_clause 0x1
	global_load_b128 v[2:5], v[100:101], off offset:64
	global_load_b128 v[25:28], v[100:101], off offset:80
	s_waitcnt vmcnt(13)
	v_cvt_f64_f32_e32 v[96:97], v37
	v_cvt_f64_f32_e32 v[98:99], v38
	;; [unrolled: 1-line block ×4, first 2 shown]
	s_waitcnt vmcnt(12)
	v_cvt_f64_f32_e32 v[108:109], v41
	v_cvt_f64_f32_e32 v[41:42], v42
	;; [unrolled: 1-line block ×4, first 2 shown]
	s_waitcnt vmcnt(11)
	v_cvt_f64_f32_e32 v[112:113], v49
	v_fma_f64 v[37:38], -v[116:117], v[35:36], v[92:93]
	v_fma_f64 v[6:7], v[114:115], v[35:36], v[6:7]
	v_fma_f64 v[14:15], -v[122:123], v[35:36], v[14:15]
	v_cvt_f64_f32_e32 v[114:115], v50
	v_fma_f64 v[39:40], v[118:119], v[35:36], v[94:95]
	v_fma_f64 v[45:46], -v[29:30], v[35:36], v[45:46]
	v_fma_f64 v[88:89], v[124:125], v[35:36], v[88:89]
	v_fma_f64 v[90:91], -v[31:32], v[35:36], v[90:91]
	v_fma_f64 v[33:34], v[126:127], v[35:36], v[33:34]
	global_load_b128 v[29:32], v[102:103], off offset:32
	v_cvt_f64_f32_e32 v[116:117], v51
	v_subrev_nc_u32_e32 v122, s12, v128
	s_waitcnt vmcnt(11)
	v_fma_f64 v[92:93], v[96:97], v[52:53], v[37:38]
	v_fma_f64 v[6:7], v[98:99], v[52:53], v[6:7]
	;; [unrolled: 1-line block ×8, first 2 shown]
	s_clause 0x1
	global_load_b128 v[33:36], v[100:101], off offset:96
	global_load_b128 v[37:40], v[100:101], off offset:112
	v_cvt_f64_f32_e32 v[100:101], v48
	s_waitcnt vmcnt(12)
	v_cvt_f64_f32_e32 v[118:119], v56
	v_cvt_f64_f32_e32 v[56:57], v57
	;; [unrolled: 1-line block ×4, first 2 shown]
	v_fma_f64 v[48:49], -v[98:99], v[54:55], v[92:93]
	v_fma_f64 v[6:7], v[96:97], v[54:55], v[6:7]
	v_fma_f64 v[14:15], -v[106:107], v[54:55], v[14:15]
	v_add_co_u32 v92, vcc_lo, 0x3000, v12
	v_fma_f64 v[50:51], v[104:105], v[54:55], v[94:95]
	v_fma_f64 v[45:46], -v[41:42], v[54:55], v[45:46]
	v_fma_f64 v[88:89], v[108:109], v[54:55], v[88:89]
	v_fma_f64 v[90:91], -v[43:44], v[54:55], v[90:91]
	v_fma_f64 v[52:53], v[110:111], v[54:55], v[52:53]
	global_load_b128 v[41:44], v[102:103], off offset:48
	v_add_co_ci_u32_e32 v93, vcc_lo, 0, v13, vcc_lo
	v_add_co_u32 v12, s0, 0x4000, v12
	s_delay_alu instid0(VALU_DEP_1)
	v_add_co_ci_u32_e64 v13, s0, 0, v13, s0
	s_waitcnt vmcnt(12)
	v_fma_f64 v[94:95], v[100:101], v[60:61], v[48:49]
	v_fma_f64 v[6:7], v[112:113], v[60:61], v[6:7]
	;; [unrolled: 1-line block ×8, first 2 shown]
	s_clause 0x1
	global_load_b128 v[48:51], v[92:93], off
	global_load_b128 v[52:55], v[92:93], off offset:16
	s_waitcnt vmcnt(13)
	v_cvt_f64_f32_e32 v[98:99], v64
	v_lshlrev_b32_e32 v64, 2, v122
	v_cvt_f64_f32_e32 v[102:103], v65
	v_cvt_f64_f32_e32 v[104:105], v66
	;; [unrolled: 1-line block ×3, first 2 shown]
	s_waitcnt vmcnt(12)
	v_cvt_f64_f32_e32 v[108:109], v68
	v_cvt_f64_f32_e32 v[68:69], v69
	;; [unrolled: 1-line block ×4, first 2 shown]
	v_ashrrev_i32_e32 v65, 31, v64
	v_fma_f64 v[66:67], -v[112:113], v[62:63], v[94:95]
	v_fma_f64 v[6:7], v[100:101], v[62:63], v[6:7]
	v_fma_f64 v[14:15], -v[116:117], v[62:63], v[14:15]
	v_fma_f64 v[94:95], v[114:115], v[62:63], v[96:97]
	;; [unrolled: 2-line block ×4, first 2 shown]
	v_lshlrev_b64 v[56:57], 4, v[64:65]
	s_delay_alu instid0(VALU_DEP_1) | instskip(NEXT) | instid1(VALU_DEP_2)
	v_add_co_u32 v96, vcc_lo, s6, v56
	v_add_co_ci_u32_e32 v97, vcc_lo, s7, v57, vcc_lo
	v_add_co_u32 v8, vcc_lo, 0x80, v8
	v_add_co_ci_u32_e32 v9, vcc_lo, 0, v9, vcc_lo
	global_load_b128 v[56:59], v[96:97], off
	v_add_co_u32 v0, vcc_lo, 0x200, v0
	v_add_co_ci_u32_e32 v1, vcc_lo, 0, v1, vcc_lo
	v_cmp_ge_i64_e32 vcc_lo, v[8:9], v[10:11]
	s_or_b32 s5, vcc_lo, s5
	s_waitcnt vmcnt(12)
	v_fma_f64 v[100:101], v[98:99], v[72:73], v[66:67]
	v_fma_f64 v[6:7], v[102:103], v[72:73], v[6:7]
	;; [unrolled: 1-line block ×8, first 2 shown]
	s_clause 0x1
	global_load_b128 v[60:63], v[92:93], off offset:32
	global_load_b128 v[64:67], v[92:93], off offset:48
	s_waitcnt vmcnt(12)
	v_cvt_f64_f32_e32 v[112:113], v80
	v_cvt_f64_f32_e32 v[114:115], v81
	;; [unrolled: 1-line block ×4, first 2 shown]
	s_waitcnt vmcnt(11)
	v_cvt_f64_f32_e32 v[120:121], v84
	v_cvt_f64_f32_e32 v[84:85], v85
	;; [unrolled: 1-line block ×4, first 2 shown]
	v_fma_f64 v[80:81], -v[102:103], v[74:75], v[100:101]
	v_fma_f64 v[6:7], v[98:99], v[74:75], v[6:7]
	v_fma_f64 v[14:15], -v[106:107], v[74:75], v[14:15]
	v_fma_f64 v[82:83], v[104:105], v[74:75], v[94:95]
	v_fma_f64 v[45:46], -v[68:69], v[74:75], v[45:46]
	v_fma_f64 v[88:89], v[108:109], v[74:75], v[88:89]
	v_fma_f64 v[90:91], -v[70:71], v[74:75], v[90:91]
	v_fma_f64 v[72:73], v[110:111], v[74:75], v[72:73]
	global_load_b128 v[68:71], v[96:97], off offset:16
	v_fma_f64 v[94:95], v[112:113], v[76:77], v[80:81]
	v_fma_f64 v[6:7], v[114:115], v[76:77], v[6:7]
	;; [unrolled: 1-line block ×8, first 2 shown]
	s_clause 0x1
	global_load_b128 v[72:75], v[92:93], off offset:64
	global_load_b128 v[80:83], v[92:93], off offset:80
	s_waitcnt vmcnt(13)
	v_cvt_f64_f32_e32 v[100:101], v2
	v_cvt_f64_f32_e32 v[102:103], v3
	;; [unrolled: 1-line block ×4, first 2 shown]
	s_waitcnt vmcnt(12)
	v_cvt_f64_f32_e32 v[108:109], v25
	v_cvt_f64_f32_e32 v[110:111], v26
	;; [unrolled: 1-line block ×4, first 2 shown]
	global_load_b128 v[2:5], v[96:97], off offset:32
	v_fma_f64 v[25:26], -v[114:115], v[78:79], v[94:95]
	v_fma_f64 v[6:7], v[112:113], v[78:79], v[6:7]
	v_fma_f64 v[14:15], -v[118:119], v[78:79], v[14:15]
	v_fma_f64 v[27:28], v[116:117], v[78:79], v[98:99]
	;; [unrolled: 2-line block ×4, first 2 shown]
	s_waitcnt vmcnt(12)
	v_fma_f64 v[88:89], v[100:101], v[29:30], v[25:26]
	v_fma_f64 v[6:7], v[102:103], v[29:30], v[6:7]
	;; [unrolled: 1-line block ×8, first 2 shown]
	s_clause 0x1
	global_load_b128 v[25:28], v[92:93], off offset:96
	global_load_b128 v[76:79], v[92:93], off offset:112
	s_waitcnt vmcnt(13)
	v_cvt_f64_f32_e32 v[92:93], v33
	v_cvt_f64_f32_e32 v[33:34], v34
	;; [unrolled: 1-line block ×4, first 2 shown]
	s_waitcnt vmcnt(12)
	v_cvt_f64_f32_e32 v[98:99], v37
	v_cvt_f64_f32_e32 v[37:38], v38
	;; [unrolled: 1-line block ×4, first 2 shown]
	v_fma_f64 v[88:89], -v[102:103], v[31:32], v[88:89]
	v_fma_f64 v[6:7], v[100:101], v[31:32], v[6:7]
	v_fma_f64 v[14:15], -v[106:107], v[31:32], v[14:15]
	v_fma_f64 v[90:91], v[104:105], v[31:32], v[90:91]
	;; [unrolled: 2-line block ×4, first 2 shown]
	global_load_b128 v[29:32], v[96:97], off offset:48
	s_waitcnt vmcnt(12)
	v_fma_f64 v[88:89], v[92:93], v[41:42], v[88:89]
	v_fma_f64 v[6:7], v[33:34], v[41:42], v[6:7]
	v_fma_f64 v[14:15], v[94:95], v[41:42], v[14:15]
	v_fma_f64 v[90:91], v[35:36], v[41:42], v[90:91]
	v_fma_f64 v[45:46], v[98:99], v[41:42], v[45:46]
	v_fma_f64 v[84:85], v[37:38], v[41:42], v[84:85]
	v_fma_f64 v[86:87], v[112:113], v[41:42], v[86:87]
	v_fma_f64 v[41:42], v[39:40], v[41:42], v[100:101]
	s_waitcnt vmcnt(11)
	v_cvt_f64_f32_e32 v[96:97], v48
	v_cvt_f64_f32_e32 v[48:49], v49
	v_cvt_f64_f32_e32 v[100:101], v50
	v_cvt_f64_f32_e32 v[50:51], v51
	s_waitcnt vmcnt(10)
	v_cvt_f64_f32_e32 v[102:103], v52
	v_cvt_f64_f32_e32 v[52:53], v53
	v_cvt_f64_f32_e32 v[104:105], v54
	v_cvt_f64_f32_e32 v[54:55], v55
	v_fma_f64 v[33:34], -v[33:34], v[43:44], v[88:89]
	v_fma_f64 v[6:7], v[92:93], v[43:44], v[6:7]
	v_fma_f64 v[14:15], -v[35:36], v[43:44], v[14:15]
	v_fma_f64 v[35:36], v[94:95], v[43:44], v[90:91]
	v_fma_f64 v[37:38], -v[37:38], v[43:44], v[45:46]
	v_fma_f64 v[45:46], v[98:99], v[43:44], v[84:85]
	v_fma_f64 v[39:40], -v[39:40], v[43:44], v[86:87]
	v_fma_f64 v[41:42], v[112:113], v[43:44], v[41:42]
	s_waitcnt vmcnt(9)
	v_fma_f64 v[33:34], v[96:97], v[56:57], v[33:34]
	v_fma_f64 v[6:7], v[48:49], v[56:57], v[6:7]
	v_fma_f64 v[14:15], v[100:101], v[56:57], v[14:15]
	v_fma_f64 v[35:36], v[50:51], v[56:57], v[35:36]
	v_fma_f64 v[37:38], v[102:103], v[56:57], v[37:38]
	v_fma_f64 v[43:44], v[52:53], v[56:57], v[45:46]
	v_fma_f64 v[39:40], v[104:105], v[56:57], v[39:40]
	v_fma_f64 v[41:42], v[54:55], v[56:57], v[41:42]
	s_waitcnt vmcnt(8)
	v_cvt_f64_f32_e32 v[45:46], v60
	v_cvt_f64_f32_e32 v[56:57], v61
	v_cvt_f64_f32_e32 v[60:61], v62
	v_cvt_f64_f32_e32 v[62:63], v63
	s_waitcnt vmcnt(7)
	v_cvt_f64_f32_e32 v[84:85], v64
	v_cvt_f64_f32_e32 v[64:65], v65
	v_cvt_f64_f32_e32 v[86:87], v66
	v_cvt_f64_f32_e32 v[66:67], v67
	v_fma_f64 v[33:34], -v[48:49], v[58:59], v[33:34]
	v_fma_f64 v[6:7], v[96:97], v[58:59], v[6:7]
	v_fma_f64 v[14:15], -v[50:51], v[58:59], v[14:15]
	v_fma_f64 v[35:36], v[100:101], v[58:59], v[35:36]
	v_fma_f64 v[37:38], -v[52:53], v[58:59], v[37:38]
	v_fma_f64 v[43:44], v[102:103], v[58:59], v[43:44]
	v_fma_f64 v[39:40], -v[54:55], v[58:59], v[39:40]
	v_fma_f64 v[41:42], v[104:105], v[58:59], v[41:42]
	;; [unrolled: 27-line block ×4, first 2 shown]
	s_waitcnt vmcnt(0)
	v_fma_f64 v[4:5], v[41:42], v[29:30], v[33:34]
	v_fma_f64 v[6:7], v[25:26], v[29:30], v[6:7]
	;; [unrolled: 1-line block ×8, first 2 shown]
	v_fma_f64 v[29:30], -v[25:26], v[31:32], v[4:5]
	v_fma_f64 v[14:15], v[41:42], v[31:32], v[6:7]
	v_fma_f64 v[35:36], -v[27:28], v[31:32], v[33:34]
	v_fma_f64 v[27:28], v[45:46], v[31:32], v[48:49]
	;; [unrolled: 2-line block ×4, first 2 shown]
	s_and_not1_b32 exec_lo, exec_lo, s5
	s_cbranch_execnz .LBB173_35
; %bb.36:
	s_or_b32 exec_lo, exec_lo, s5
.LBB173_37:
	s_delay_alu instid0(SALU_CYCLE_1)
	s_or_b32 exec_lo, exec_lo, s4
.LBB173_38:
	s_delay_alu instid0(SALU_CYCLE_1)
	s_or_b32 exec_lo, exec_lo, s1
.LBB173_39:
	v_mbcnt_lo_u32_b32 v41, -1, 0
	s_delay_alu instid0(VALU_DEP_1) | instskip(NEXT) | instid1(VALU_DEP_1)
	v_xor_b32_e32 v0, 16, v41
	v_cmp_gt_i32_e32 vcc_lo, 32, v0
	v_cndmask_b32_e32 v0, v41, v0, vcc_lo
	s_delay_alu instid0(VALU_DEP_1)
	v_lshlrev_b32_e32 v40, 2, v0
	ds_bpermute_b32 v12, v40, v25
	ds_bpermute_b32 v13, v40, v26
	s_waitcnt lgkmcnt(0)
	v_add_f64 v[12:13], v[25:26], v[12:13]
	v_xor_b32_e32 v25, 8, v41
	s_delay_alu instid0(VALU_DEP_1)
	v_cmp_gt_i32_e32 vcc_lo, 32, v25
	v_cndmask_b32_e32 v25, v41, v25, vcc_lo
	ds_bpermute_b32 v0, v40, v29
	ds_bpermute_b32 v1, v40, v30
	;; [unrolled: 1-line block ×14, first 2 shown]
	s_waitcnt lgkmcnt(12)
	v_add_f64 v[0:1], v[29:30], v[0:1]
	s_waitcnt lgkmcnt(10)
	v_add_f64 v[2:3], v[14:15], v[2:3]
	;; [unrolled: 2-line block ×7, first 2 shown]
	v_lshlrev_b32_e32 v40, 2, v25
	ds_bpermute_b32 v37, v40, v12
	ds_bpermute_b32 v38, v40, v13
	;; [unrolled: 1-line block ×16, first 2 shown]
	s_waitcnt lgkmcnt(14)
	v_add_f64 v[12:13], v[12:13], v[37:38]
	s_waitcnt lgkmcnt(12)
	v_add_f64 v[0:1], v[0:1], v[25:26]
	v_xor_b32_e32 v25, 4, v41
	s_waitcnt lgkmcnt(10)
	v_add_f64 v[2:3], v[2:3], v[27:28]
	s_waitcnt lgkmcnt(8)
	v_add_f64 v[4:5], v[4:5], v[29:30]
	;; [unrolled: 2-line block ×3, first 2 shown]
	v_cmp_gt_i32_e32 vcc_lo, 32, v25
	s_waitcnt lgkmcnt(4)
	v_add_f64 v[8:9], v[8:9], v[33:34]
	s_waitcnt lgkmcnt(2)
	v_add_f64 v[10:11], v[10:11], v[35:36]
	;; [unrolled: 2-line block ×3, first 2 shown]
	v_cndmask_b32_e32 v25, v41, v25, vcc_lo
	s_delay_alu instid0(VALU_DEP_1)
	v_lshlrev_b32_e32 v40, 2, v25
	ds_bpermute_b32 v37, v40, v12
	ds_bpermute_b32 v38, v40, v13
	;; [unrolled: 1-line block ×16, first 2 shown]
	s_waitcnt lgkmcnt(14)
	v_add_f64 v[12:13], v[12:13], v[37:38]
	s_waitcnt lgkmcnt(12)
	v_add_f64 v[0:1], v[0:1], v[25:26]
	;; [unrolled: 2-line block ×8, first 2 shown]
	v_xor_b32_e32 v14, 2, v41
	s_delay_alu instid0(VALU_DEP_1) | instskip(SKIP_1) | instid1(VALU_DEP_1)
	v_cmp_gt_i32_e32 vcc_lo, 32, v14
	v_cndmask_b32_e32 v14, v41, v14, vcc_lo
	v_lshlrev_b32_e32 v40, 2, v14
	ds_bpermute_b32 v37, v40, v12
	ds_bpermute_b32 v38, v40, v13
	;; [unrolled: 1-line block ×16, first 2 shown]
	s_waitcnt lgkmcnt(12)
	v_add_f64 v[0:1], v[0:1], v[14:15]
	s_waitcnt lgkmcnt(10)
	v_add_f64 v[27:28], v[2:3], v[27:28]
	;; [unrolled: 2-line block ×4, first 2 shown]
	v_add_f64 v[6:7], v[12:13], v[37:38]
	s_waitcnt lgkmcnt(4)
	v_add_f64 v[4:5], v[8:9], v[33:34]
	v_xor_b32_e32 v12, 1, v41
	s_waitcnt lgkmcnt(2)
	v_add_f64 v[10:11], v[10:11], v[35:36]
	s_waitcnt lgkmcnt(0)
	v_add_f64 v[8:9], v[25:26], v[39:40]
	v_cmp_gt_i32_e32 vcc_lo, 32, v12
	v_cndmask_b32_e32 v12, v41, v12, vcc_lo
	v_cmp_eq_u32_e32 vcc_lo, 31, v47
	s_delay_alu instid0(VALU_DEP_2)
	v_lshlrev_b32_e32 v34, 2, v12
	ds_bpermute_b32 v12, v34, v0
	ds_bpermute_b32 v13, v34, v1
	;; [unrolled: 1-line block ×16, first 2 shown]
	s_and_b32 exec_lo, exec_lo, vcc_lo
	s_cbranch_execz .LBB173_12
; %bb.40:
	s_waitcnt lgkmcnt(12)
	v_add_f64 v[27:28], v[27:28], v[39:40]
	s_waitcnt lgkmcnt(8)
	v_add_f64 v[14:15], v[14:15], v[37:38]
	;; [unrolled: 2-line block ×4, first 2 shown]
	v_add_f64 v[0:1], v[0:1], v[12:13]
	v_add_f64 v[2:3], v[2:3], v[25:26]
	;; [unrolled: 1-line block ×4, first 2 shown]
	v_cmp_eq_f64_e32 vcc_lo, 0, v[16:17]
	v_cmp_eq_f64_e64 s0, 0, v[18:19]
	s_load_b64 s[2:3], s[2:3], 0x60
	v_mul_f64 v[4:5], v[27:28], -v[22:23]
	v_mul_f64 v[6:7], v[20:21], v[27:28]
	v_mul_f64 v[27:28], v[14:15], -v[22:23]
	v_mul_f64 v[31:32], v[20:21], v[14:15]
	;; [unrolled: 2-line block ×4, first 2 shown]
	s_and_b32 s0, vcc_lo, s0
	v_fma_f64 v[12:13], v[20:21], v[0:1], v[4:5]
	v_fma_f64 v[14:15], v[22:23], v[0:1], v[6:7]
	;; [unrolled: 1-line block ×8, first 2 shown]
	v_lshlrev_b32_e32 v20, 2, v24
	s_and_saveexec_b32 s1, s0
	s_delay_alu instid0(SALU_CYCLE_1)
	s_xor_b32 s0, exec_lo, s1
	s_cbranch_execz .LBB173_42
; %bb.41:
	s_delay_alu instid0(VALU_DEP_1) | instskip(NEXT) | instid1(VALU_DEP_1)
	v_ashrrev_i32_e32 v21, 31, v20
                                        ; implicit-def: $vgpr18_vgpr19
	v_lshlrev_b64 v[16:17], 4, v[20:21]
                                        ; implicit-def: $vgpr20
	s_waitcnt lgkmcnt(0)
	s_delay_alu instid0(VALU_DEP_1) | instskip(NEXT) | instid1(VALU_DEP_2)
	v_add_co_u32 v16, vcc_lo, s2, v16
	v_add_co_ci_u32_e32 v17, vcc_lo, s3, v17, vcc_lo
	s_clause 0x3
	global_store_b128 v[16:17], v[12:15], off
	global_store_b128 v[16:17], v[8:11], off offset:16
	global_store_b128 v[16:17], v[4:7], off offset:32
	;; [unrolled: 1-line block ×3, first 2 shown]
                                        ; implicit-def: $vgpr16_vgpr17
                                        ; implicit-def: $vgpr12_vgpr13
                                        ; implicit-def: $vgpr8_vgpr9
                                        ; implicit-def: $vgpr4_vgpr5
                                        ; implicit-def: $vgpr0_vgpr1
.LBB173_42:
	s_and_not1_saveexec_b32 s0, s0
	s_cbranch_execz .LBB173_12
; %bb.43:
	v_ashrrev_i32_e32 v21, 31, v20
	s_delay_alu instid0(VALU_DEP_1) | instskip(SKIP_1) | instid1(VALU_DEP_1)
	v_lshlrev_b64 v[20:21], 4, v[20:21]
	s_waitcnt lgkmcnt(0)
	v_add_co_u32 v36, vcc_lo, s2, v20
	s_delay_alu instid0(VALU_DEP_2)
	v_add_co_ci_u32_e32 v37, vcc_lo, s3, v21, vcc_lo
	s_clause 0x3
	global_load_b128 v[20:23], v[36:37], off
	global_load_b128 v[24:27], v[36:37], off offset:16
	global_load_b128 v[28:31], v[36:37], off offset:32
	;; [unrolled: 1-line block ×3, first 2 shown]
	s_waitcnt vmcnt(3)
	v_fma_f64 v[12:13], v[16:17], v[20:21], v[12:13]
	v_fma_f64 v[14:15], v[18:19], v[20:21], v[14:15]
	s_waitcnt vmcnt(2)
	v_fma_f64 v[8:9], v[16:17], v[24:25], v[8:9]
	v_fma_f64 v[10:11], v[18:19], v[24:25], v[10:11]
	;; [unrolled: 3-line block ×4, first 2 shown]
	v_fma_f64 v[0:1], -v[18:19], v[22:23], v[12:13]
	v_fma_f64 v[2:3], v[16:17], v[22:23], v[14:15]
	v_fma_f64 v[4:5], -v[18:19], v[26:27], v[8:9]
	v_fma_f64 v[6:7], v[16:17], v[26:27], v[10:11]
	v_fma_f64 v[8:9], -v[18:19], v[30:31], v[20:21]
	v_fma_f64 v[10:11], v[16:17], v[30:31], v[24:25]
	v_fma_f64 v[12:13], -v[18:19], v[34:35], v[28:29]
	v_fma_f64 v[14:15], v[16:17], v[34:35], v[32:33]
	s_clause 0x3
	global_store_b128 v[36:37], v[0:3], off
	global_store_b128 v[36:37], v[4:7], off offset:16
	global_store_b128 v[36:37], v[8:11], off offset:32
	;; [unrolled: 1-line block ×3, first 2 shown]
	s_nop 0
	s_sendmsg sendmsg(MSG_DEALLOC_VGPRS)
	s_endpgm
	.section	.rodata,"a",@progbits
	.p2align	6, 0x0
	.amdhsa_kernel _ZN9rocsparseL18bsrxmvn_4x4_kernelILj128ELj32E21rocsparse_complex_numIdEliS1_IfES2_S2_EEvT3_20rocsparse_direction_NS_24const_host_device_scalarIT1_EES4_PKS4_PKT2_SD_SA_PKT4_PKT5_S8_PT6_21rocsparse_index_base_b
		.amdhsa_group_segment_fixed_size 2048
		.amdhsa_private_segment_fixed_size 0
		.amdhsa_kernarg_size 112
		.amdhsa_user_sgpr_count 15
		.amdhsa_user_sgpr_dispatch_ptr 1
		.amdhsa_user_sgpr_queue_ptr 0
		.amdhsa_user_sgpr_kernarg_segment_ptr 1
		.amdhsa_user_sgpr_dispatch_id 0
		.amdhsa_user_sgpr_private_segment_size 0
		.amdhsa_wavefront_size32 1
		.amdhsa_uses_dynamic_stack 0
		.amdhsa_enable_private_segment 0
		.amdhsa_system_sgpr_workgroup_id_x 1
		.amdhsa_system_sgpr_workgroup_id_y 0
		.amdhsa_system_sgpr_workgroup_id_z 0
		.amdhsa_system_sgpr_workgroup_info 0
		.amdhsa_system_vgpr_workitem_id 2
		.amdhsa_next_free_vgpr 136
		.amdhsa_next_free_sgpr 18
		.amdhsa_reserve_vcc 1
		.amdhsa_float_round_mode_32 0
		.amdhsa_float_round_mode_16_64 0
		.amdhsa_float_denorm_mode_32 3
		.amdhsa_float_denorm_mode_16_64 3
		.amdhsa_dx10_clamp 1
		.amdhsa_ieee_mode 1
		.amdhsa_fp16_overflow 0
		.amdhsa_workgroup_processor_mode 1
		.amdhsa_memory_ordered 1
		.amdhsa_forward_progress 0
		.amdhsa_shared_vgpr_count 0
		.amdhsa_exception_fp_ieee_invalid_op 0
		.amdhsa_exception_fp_denorm_src 0
		.amdhsa_exception_fp_ieee_div_zero 0
		.amdhsa_exception_fp_ieee_overflow 0
		.amdhsa_exception_fp_ieee_underflow 0
		.amdhsa_exception_fp_ieee_inexact 0
		.amdhsa_exception_int_div_zero 0
	.end_amdhsa_kernel
	.section	.text._ZN9rocsparseL18bsrxmvn_4x4_kernelILj128ELj32E21rocsparse_complex_numIdEliS1_IfES2_S2_EEvT3_20rocsparse_direction_NS_24const_host_device_scalarIT1_EES4_PKS4_PKT2_SD_SA_PKT4_PKT5_S8_PT6_21rocsparse_index_base_b,"axG",@progbits,_ZN9rocsparseL18bsrxmvn_4x4_kernelILj128ELj32E21rocsparse_complex_numIdEliS1_IfES2_S2_EEvT3_20rocsparse_direction_NS_24const_host_device_scalarIT1_EES4_PKS4_PKT2_SD_SA_PKT4_PKT5_S8_PT6_21rocsparse_index_base_b,comdat
.Lfunc_end173:
	.size	_ZN9rocsparseL18bsrxmvn_4x4_kernelILj128ELj32E21rocsparse_complex_numIdEliS1_IfES2_S2_EEvT3_20rocsparse_direction_NS_24const_host_device_scalarIT1_EES4_PKS4_PKT2_SD_SA_PKT4_PKT5_S8_PT6_21rocsparse_index_base_b, .Lfunc_end173-_ZN9rocsparseL18bsrxmvn_4x4_kernelILj128ELj32E21rocsparse_complex_numIdEliS1_IfES2_S2_EEvT3_20rocsparse_direction_NS_24const_host_device_scalarIT1_EES4_PKS4_PKT2_SD_SA_PKT4_PKT5_S8_PT6_21rocsparse_index_base_b
                                        ; -- End function
	.section	.AMDGPU.csdata,"",@progbits
; Kernel info:
; codeLenInByte = 12324
; NumSgprs: 20
; NumVgprs: 136
; ScratchSize: 0
; MemoryBound: 0
; FloatMode: 240
; IeeeMode: 1
; LDSByteSize: 2048 bytes/workgroup (compile time only)
; SGPRBlocks: 2
; VGPRBlocks: 16
; NumSGPRsForWavesPerEU: 20
; NumVGPRsForWavesPerEU: 136
; Occupancy: 10
; WaveLimiterHint : 1
; COMPUTE_PGM_RSRC2:SCRATCH_EN: 0
; COMPUTE_PGM_RSRC2:USER_SGPR: 15
; COMPUTE_PGM_RSRC2:TRAP_HANDLER: 0
; COMPUTE_PGM_RSRC2:TGID_X_EN: 1
; COMPUTE_PGM_RSRC2:TGID_Y_EN: 0
; COMPUTE_PGM_RSRC2:TGID_Z_EN: 0
; COMPUTE_PGM_RSRC2:TIDIG_COMP_CNT: 2
	.section	.text._ZN9rocsparseL18bsrxmvn_4x4_kernelILj128ELj64E21rocsparse_complex_numIdEliS1_IfES2_S2_EEvT3_20rocsparse_direction_NS_24const_host_device_scalarIT1_EES4_PKS4_PKT2_SD_SA_PKT4_PKT5_S8_PT6_21rocsparse_index_base_b,"axG",@progbits,_ZN9rocsparseL18bsrxmvn_4x4_kernelILj128ELj64E21rocsparse_complex_numIdEliS1_IfES2_S2_EEvT3_20rocsparse_direction_NS_24const_host_device_scalarIT1_EES4_PKS4_PKT2_SD_SA_PKT4_PKT5_S8_PT6_21rocsparse_index_base_b,comdat
	.globl	_ZN9rocsparseL18bsrxmvn_4x4_kernelILj128ELj64E21rocsparse_complex_numIdEliS1_IfES2_S2_EEvT3_20rocsparse_direction_NS_24const_host_device_scalarIT1_EES4_PKS4_PKT2_SD_SA_PKT4_PKT5_S8_PT6_21rocsparse_index_base_b ; -- Begin function _ZN9rocsparseL18bsrxmvn_4x4_kernelILj128ELj64E21rocsparse_complex_numIdEliS1_IfES2_S2_EEvT3_20rocsparse_direction_NS_24const_host_device_scalarIT1_EES4_PKS4_PKT2_SD_SA_PKT4_PKT5_S8_PT6_21rocsparse_index_base_b
	.p2align	8
	.type	_ZN9rocsparseL18bsrxmvn_4x4_kernelILj128ELj64E21rocsparse_complex_numIdEliS1_IfES2_S2_EEvT3_20rocsparse_direction_NS_24const_host_device_scalarIT1_EES4_PKS4_PKT2_SD_SA_PKT4_PKT5_S8_PT6_21rocsparse_index_base_b,@function
_ZN9rocsparseL18bsrxmvn_4x4_kernelILj128ELj64E21rocsparse_complex_numIdEliS1_IfES2_S2_EEvT3_20rocsparse_direction_NS_24const_host_device_scalarIT1_EES4_PKS4_PKT2_SD_SA_PKT4_PKT5_S8_PT6_21rocsparse_index_base_b: ; @_ZN9rocsparseL18bsrxmvn_4x4_kernelILj128ELj64E21rocsparse_complex_numIdEliS1_IfES2_S2_EEvT3_20rocsparse_direction_NS_24const_host_device_scalarIT1_EES4_PKS4_PKT2_SD_SA_PKT4_PKT5_S8_PT6_21rocsparse_index_base_b
; %bb.0:
	s_load_b64 s[12:13], s[2:3], 0x68
	s_load_b64 s[16:17], s[0:1], 0x4
	s_load_b128 s[8:11], s[2:3], 0x8
	v_bfe_u32 v2, v0, 10, 10
	s_mov_b64 s[0:1], src_shared_base
	s_load_b128 s[4:7], s[2:3], 0x50
	v_and_b32_e32 v1, 0x3ff, v0
	v_bfe_u32 v0, v0, 20, 10
	s_waitcnt lgkmcnt(0)
	s_bitcmp1_b32 s13, 0
	v_mul_u32_u24_e32 v2, s17, v2
	s_cselect_b32 s0, -1, 0
	v_mov_b32_e32 v23, s11
	s_and_b32 vcc_lo, s0, exec_lo
	s_cselect_b32 s13, s1, s9
	s_lshr_b32 s14, s16, 16
	v_dual_mov_b32 v4, s4 :: v_dual_mov_b32 v5, s5
	s_mul_i32 s14, s14, s17
	v_dual_mov_b32 v7, s13 :: v_dual_mov_b32 v22, s10
	v_mad_u32_u24 v2, s14, v1, v2
	s_xor_b32 s10, s0, -1
	s_delay_alu instid0(VALU_DEP_1) | instskip(SKIP_1) | instid1(VALU_DEP_2)
	v_add_lshl_u32 v0, v2, v0, 3
	v_dual_mov_b32 v2, s8 :: v_dual_mov_b32 v3, s9
	v_add_nc_u32_e32 v6, 0x400, v0
	ds_store_2addr_stride64_b64 v0, v[4:5], v[2:3] offset1:2
	v_cndmask_b32_e64 v6, s8, v6, s0
	flat_load_b64 v[20:21], v[6:7]
	s_cbranch_vccnz .LBB174_2
; %bb.1:
	v_dual_mov_b32 v2, s8 :: v_dual_mov_b32 v3, s9
	flat_load_b64 v[22:23], v[2:3] offset:8
.LBB174_2:
	s_and_b32 s8, s0, exec_lo
	s_cselect_b32 s1, s1, s5
	v_cndmask_b32_e64 v2, s4, v0, s0
	v_mov_b32_e32 v3, s1
	v_dual_mov_b32 v19, s7 :: v_dual_mov_b32 v18, s6
	s_and_not1_b32 vcc_lo, exec_lo, s10
	flat_load_b64 v[16:17], v[2:3]
	s_cbranch_vccnz .LBB174_4
; %bb.3:
	v_dual_mov_b32 v2, s4 :: v_dual_mov_b32 v3, s5
	flat_load_b64 v[18:19], v[2:3] offset:8
.LBB174_4:
	s_waitcnt vmcnt(1) lgkmcnt(1)
	v_cmp_eq_f64_e32 vcc_lo, 0, v[20:21]
	v_cmp_eq_f64_e64 s0, 0, v[22:23]
	s_delay_alu instid0(VALU_DEP_1)
	s_and_b32 s4, vcc_lo, s0
	s_mov_b32 s0, -1
	s_and_saveexec_b32 s1, s4
	s_cbranch_execz .LBB174_6
; %bb.5:
	s_waitcnt vmcnt(0) lgkmcnt(0)
	v_cmp_neq_f64_e32 vcc_lo, 1.0, v[16:17]
	v_cmp_neq_f64_e64 s0, 0, v[18:19]
	s_delay_alu instid0(VALU_DEP_1) | instskip(NEXT) | instid1(SALU_CYCLE_1)
	s_or_b32 s0, vcc_lo, s0
	s_or_not1_b32 s0, s0, exec_lo
.LBB174_6:
	s_or_b32 exec_lo, exec_lo, s1
	s_and_saveexec_b32 s1, s0
	s_cbranch_execz .LBB174_12
; %bb.7:
	s_clause 0x1
	s_load_b64 s[4:5], s[2:3], 0x20
	s_load_b64 s[0:1], s[2:3], 0x0
	v_lshrrev_b32_e32 v0, 6, v1
	s_delay_alu instid0(VALU_DEP_1)
	v_lshl_or_b32 v24, s15, 1, v0
	s_waitcnt lgkmcnt(0)
	s_cmp_lg_u64 s[4:5], 0
	s_cbranch_scc0 .LBB174_13
; %bb.8:
	s_load_b32 s6, s[2:3], 0x18
	s_mov_b32 s7, 0
                                        ; implicit-def: $vgpr0
	s_waitcnt lgkmcnt(0)
	v_cmp_gt_i32_e32 vcc_lo, s6, v24
	s_mov_b32 s6, 0
	s_and_saveexec_b32 s8, vcc_lo
	s_delay_alu instid0(SALU_CYCLE_1)
	s_xor_b32 s8, exec_lo, s8
	s_cbranch_execz .LBB174_10
; %bb.9:
	v_ashrrev_i32_e32 v25, 31, v24
	s_mov_b32 s6, exec_lo
	s_delay_alu instid0(VALU_DEP_1) | instskip(NEXT) | instid1(VALU_DEP_1)
	v_lshlrev_b64 v[2:3], 2, v[24:25]
	v_add_co_u32 v2, vcc_lo, s4, v2
	s_delay_alu instid0(VALU_DEP_2)
	v_add_co_ci_u32_e32 v3, vcc_lo, s5, v3, vcc_lo
	global_load_b32 v0, v[2:3], off
	s_waitcnt vmcnt(0)
	v_subrev_nc_u32_e32 v0, s12, v0
.LBB174_10:
	s_or_b32 exec_lo, exec_lo, s8
	s_delay_alu instid0(SALU_CYCLE_1)
	s_and_b32 vcc_lo, exec_lo, s7
	s_cbranch_vccz .LBB174_14
.LBB174_11:
	v_cmp_gt_i32_e32 vcc_lo, s0, v24
	s_and_not1_b32 s0, s6, exec_lo
	s_and_b32 s4, vcc_lo, exec_lo
	s_delay_alu instid0(SALU_CYCLE_1) | instskip(NEXT) | instid1(SALU_CYCLE_1)
	s_or_b32 s6, s0, s4
	s_and_b32 exec_lo, exec_lo, s6
	s_cbranch_execnz .LBB174_15
.LBB174_12:
	s_nop 0
	s_sendmsg sendmsg(MSG_DEALLOC_VGPRS)
	s_endpgm
.LBB174_13:
	s_mov_b32 s6, 0
                                        ; implicit-def: $vgpr0
	s_cbranch_execnz .LBB174_11
.LBB174_14:
	s_delay_alu instid0(VALU_DEP_1)
	v_mov_b32_e32 v24, v0
	s_and_b32 exec_lo, exec_lo, s6
	s_cbranch_execz .LBB174_12
.LBB174_15:
	s_load_b256 s[4:11], s[2:3], 0x28
	s_delay_alu instid0(VALU_DEP_1) | instskip(SKIP_1) | instid1(VALU_DEP_2)
	v_ashrrev_i32_e32 v25, 31, v24
	v_and_b32_e32 v47, 63, v1
	v_lshlrev_b64 v[2:3], 3, v[24:25]
	s_waitcnt lgkmcnt(0)
	s_delay_alu instid0(VALU_DEP_1) | instskip(NEXT) | instid1(VALU_DEP_2)
	v_add_co_u32 v4, vcc_lo, s4, v2
	v_add_co_ci_u32_e32 v5, vcc_lo, s5, v3, vcc_lo
	v_add_co_u32 v0, vcc_lo, s6, v2
	v_add_co_ci_u32_e32 v2, vcc_lo, s7, v3, vcc_lo
	s_delay_alu instid0(VALU_DEP_4)
	v_add_co_u32 v6, vcc_lo, v4, 8
	global_load_b64 v[39:40], v[4:5], off
	v_add_co_ci_u32_e32 v3, vcc_lo, 0, v5, vcc_lo
	s_cmp_eq_u64 s[6:7], 0
	s_load_b64 s[4:5], s[2:3], 0x48
	s_cselect_b32 vcc_lo, -1, 0
	s_cmp_eq_u32 s1, 1
	v_dual_cndmask_b32 v3, v2, v3 :: v_dual_cndmask_b32 v2, v0, v6
	global_load_b64 v[2:3], v[2:3], off
	s_waitcnt vmcnt(1)
	v_sub_co_u32 v0, vcc_lo, v39, s12
	v_subrev_co_ci_u32_e32 v1, vcc_lo, 0, v40, vcc_lo
	s_delay_alu instid0(VALU_DEP_2) | instskip(NEXT) | instid1(VALU_DEP_2)
	v_add_co_u32 v8, vcc_lo, v0, v47
	v_add_co_ci_u32_e32 v9, vcc_lo, 0, v1, vcc_lo
	s_delay_alu instid0(VALU_DEP_1) | instskip(SKIP_3) | instid1(VALU_DEP_3)
	v_lshlrev_b64 v[0:1], 7, v[8:9]
	s_waitcnt vmcnt(0)
	v_sub_co_u32 v10, vcc_lo, v2, s12
	v_subrev_co_ci_u32_e32 v11, vcc_lo, 0, v3, vcc_lo
	v_add_co_u32 v12, vcc_lo, s10, v0
	s_delay_alu instid0(VALU_DEP_2)
	v_cmp_lt_i64_e64 s0, v[8:9], v[10:11]
	v_add_co_ci_u32_e32 v13, vcc_lo, s11, v1, vcc_lo
	s_cbranch_scc1 .LBB174_27
; %bb.16:
	v_mov_b32_e32 v14, 0
	v_mov_b32_e32 v15, 0
	s_delay_alu instid0(VALU_DEP_1)
	v_dual_mov_b32 v30, v15 :: v_dual_mov_b32 v29, v14
	v_dual_mov_b32 v28, v15 :: v_dual_mov_b32 v27, v14
	;; [unrolled: 1-line block ×7, first 2 shown]
	s_and_saveexec_b32 s6, s0
	s_cbranch_execz .LBB174_26
; %bb.17:
	v_or_b32_e32 v0, 64, v47
	v_not_b32_e32 v3, v39
	v_not_b32_e32 v2, v40
	v_mov_b32_e32 v44, v9
	s_mov_b32 s10, 0
	v_sub_co_u32 v0, s1, v0, s12
	s_delay_alu instid0(VALU_DEP_1) | instskip(SKIP_1) | instid1(VALU_DEP_3)
	v_sub_co_ci_u32_e64 v1, null, 0, 0, s1
	v_sub_co_u32 v4, s1, s12, v47
	v_add_co_u32 v0, vcc_lo, v0, v39
	s_delay_alu instid0(VALU_DEP_3) | instskip(SKIP_2) | instid1(VALU_DEP_2)
	v_add_co_ci_u32_e32 v1, vcc_lo, v1, v40, vcc_lo
	v_sub_co_ci_u32_e64 v5, null, 0, 0, s1
	s_mov_b32 s7, exec_lo
	v_cmp_gt_i64_e32 vcc_lo, v[0:1], v[10:11]
	v_mov_b32_e32 v43, v8
	v_dual_cndmask_b32 v1, v11, v1 :: v_dual_cndmask_b32 v0, v10, v0
	v_add_co_u32 v3, vcc_lo, v4, v3
	v_add_co_ci_u32_e32 v2, vcc_lo, v5, v2, vcc_lo
	s_delay_alu instid0(VALU_DEP_2) | instskip(NEXT) | instid1(VALU_DEP_2)
	v_add_co_u32 v0, vcc_lo, v3, v0
	v_add_co_ci_u32_e32 v1, vcc_lo, v2, v1, vcc_lo
	s_delay_alu instid0(VALU_DEP_2) | instskip(SKIP_3) | instid1(VALU_DEP_4)
	v_lshrrev_b32_e32 v2, 6, v0
	v_mov_b32_e32 v25, 0
	v_mov_b32_e32 v26, 0
	v_dual_mov_b32 v42, v13 :: v_dual_mov_b32 v41, v12
	v_add_nc_u32_e32 v2, 1, v2
	s_delay_alu instid0(VALU_DEP_3)
	v_dual_mov_b32 v14, v25 :: v_dual_mov_b32 v15, v26
	v_mov_b32_e32 v36, v26
	v_mov_b32_e32 v28, v26
	;; [unrolled: 1-line block ×3, first 2 shown]
	v_dual_mov_b32 v32, v26 :: v_dual_mov_b32 v31, v25
	v_dual_mov_b32 v38, v26 :: v_dual_mov_b32 v37, v25
	;; [unrolled: 1-line block ×3, first 2 shown]
	v_dual_mov_b32 v35, v25 :: v_dual_and_b32 v2, 3, v2
	v_mov_b32_e32 v27, v25
	v_mov_b32_e32 v29, v25
	s_delay_alu instid0(VALU_DEP_3)
	v_cmpx_ne_u32_e32 0, v2
	s_cbranch_execz .LBB174_21
; %bb.18:
	v_lshlrev_b64 v[4:5], 2, v[8:9]
	v_dual_mov_b32 v3, 0 :: v_dual_mov_b32 v14, 0
	v_dual_mov_b32 v15, 0 :: v_dual_lshlrev_b32 v2, 2, v2
	v_dual_mov_b32 v44, v9 :: v_dual_mov_b32 v43, v8
	s_delay_alu instid0(VALU_DEP_4)
	v_add_co_u32 v4, vcc_lo, s8, v4
	v_add_co_ci_u32_e32 v5, vcc_lo, s9, v5, vcc_lo
	v_dual_mov_b32 v42, v13 :: v_dual_mov_b32 v41, v12
	v_dual_mov_b32 v30, v15 :: v_dual_mov_b32 v29, v14
	;; [unrolled: 1-line block ×8, first 2 shown]
.LBB174_19:                             ; =>This Inner Loop Header: Depth=1
	global_load_b32 v6, v[4:5], off
	s_clause 0x7
	global_load_b128 v[48:51], v[41:42], off
	global_load_b128 v[52:55], v[41:42], off offset:32
	global_load_b128 v[56:59], v[41:42], off offset:64
	;; [unrolled: 1-line block ×7, first 2 shown]
	v_add_co_u32 v4, s1, 0x100, v4
	s_delay_alu instid0(VALU_DEP_1)
	v_add_co_ci_u32_e64 v5, s1, 0, v5, s1
	s_waitcnt vmcnt(8)
	v_subrev_nc_u32_e32 v6, s12, v6
	s_waitcnt vmcnt(7)
	v_cvt_f64_f32_e32 v[45:46], v49
	s_waitcnt vmcnt(6)
	v_cvt_f64_f32_e32 v[100:101], v54
	;; [unrolled: 2-line block ×3, first 2 shown]
	v_cvt_f64_f32_e32 v[56:57], v57
	v_lshlrev_b32_e32 v6, 2, v6
	s_waitcnt vmcnt(3)
	v_cvt_f64_f32_e32 v[98:99], v64
	v_cvt_f64_f32_e32 v[64:65], v65
	;; [unrolled: 1-line block ×4, first 2 shown]
	v_ashrrev_i32_e32 v7, 31, v6
	v_cvt_f64_f32_e32 v[58:59], v59
	v_cvt_f64_f32_e32 v[104:105], v66
	;; [unrolled: 1-line block ×3, first 2 shown]
	s_delay_alu instid0(VALU_DEP_4) | instskip(SKIP_1) | instid1(VALU_DEP_1)
	v_lshlrev_b64 v[6:7], 4, v[6:7]
	s_waitcnt lgkmcnt(0)
	v_add_co_u32 v6, vcc_lo, s4, v6
	s_delay_alu instid0(VALU_DEP_2)
	v_add_co_ci_u32_e32 v7, vcc_lo, s5, v7, vcc_lo
	v_add_co_u32 v41, vcc_lo, 0x2000, v41
	v_add_co_ci_u32_e32 v42, vcc_lo, 0, v42, vcc_lo
	s_clause 0x3
	global_load_b128 v[80:83], v[6:7], off
	global_load_b128 v[84:87], v[6:7], off offset:16
	global_load_b128 v[88:91], v[6:7], off offset:32
	;; [unrolled: 1-line block ×3, first 2 shown]
	v_cvt_f64_f32_e32 v[6:7], v48
	v_cvt_f64_f32_e32 v[48:49], v52
	;; [unrolled: 1-line block ×3, first 2 shown]
	v_add_co_u32 v2, vcc_lo, v2, -4
	v_add_co_ci_u32_e32 v3, vcc_lo, -1, v3, vcc_lo
	v_add_co_u32 v43, vcc_lo, v43, 64
	v_add_co_ci_u32_e32 v44, vcc_lo, 0, v44, vcc_lo
	s_delay_alu instid0(VALU_DEP_3)
	v_cmp_eq_u64_e32 vcc_lo, 0, v[2:3]
	s_or_b32 s10, vcc_lo, s10
	s_waitcnt vmcnt(3)
	v_fma_f64 v[29:30], v[6:7], v[80:81], v[29:30]
	v_fma_f64 v[14:15], v[45:46], v[80:81], v[14:15]
	v_fma_f64 v[35:36], v[48:49], v[80:81], v[35:36]
	v_fma_f64 v[27:28], v[52:53], v[80:81], v[27:28]
	v_fma_f64 v[37:38], v[96:97], v[80:81], v[37:38]
	v_fma_f64 v[33:34], v[56:57], v[80:81], v[33:34]
	v_fma_f64 v[25:26], v[98:99], v[80:81], v[25:26]
	v_fma_f64 v[31:32], v[64:65], v[80:81], v[31:32]
	v_cvt_f64_f32_e32 v[80:81], v50
	v_cvt_f64_f32_e32 v[50:51], v51
	v_fma_f64 v[29:30], -v[45:46], v[82:83], v[29:30]
	v_fma_f64 v[6:7], v[6:7], v[82:83], v[14:15]
	v_fma_f64 v[14:15], -v[52:53], v[82:83], v[35:36]
	v_fma_f64 v[27:28], v[48:49], v[82:83], v[27:28]
	;; [unrolled: 2-line block ×4, first 2 shown]
	v_cvt_f64_f32_e32 v[37:38], v68
	v_cvt_f64_f32_e32 v[45:46], v69
	;; [unrolled: 1-line block ×10, first 2 shown]
	s_waitcnt vmcnt(2)
	v_fma_f64 v[29:30], v[80:81], v[84:85], v[29:30]
	v_fma_f64 v[6:7], v[50:51], v[84:85], v[6:7]
	;; [unrolled: 1-line block ×8, first 2 shown]
	v_fma_f64 v[29:30], -v[50:51], v[86:87], v[29:30]
	v_fma_f64 v[6:7], v[80:81], v[86:87], v[6:7]
	v_fma_f64 v[14:15], -v[54:55], v[86:87], v[14:15]
	v_fma_f64 v[27:28], v[100:101], v[86:87], v[27:28]
	;; [unrolled: 2-line block ×4, first 2 shown]
	v_cvt_f64_f32_e32 v[50:51], v70
	v_cvt_f64_f32_e32 v[54:55], v71
	;; [unrolled: 1-line block ×6, first 2 shown]
	s_waitcnt vmcnt(1)
	v_fma_f64 v[29:30], v[37:38], v[88:89], v[29:30]
	v_fma_f64 v[6:7], v[45:46], v[88:89], v[6:7]
	;; [unrolled: 1-line block ×8, first 2 shown]
	v_fma_f64 v[29:30], -v[45:46], v[90:91], v[29:30]
	v_fma_f64 v[6:7], v[37:38], v[90:91], v[6:7]
	v_fma_f64 v[14:15], -v[52:53], v[90:91], v[14:15]
	v_fma_f64 v[27:28], v[48:49], v[90:91], v[27:28]
	;; [unrolled: 2-line block ×4, first 2 shown]
	s_waitcnt vmcnt(0)
	v_fma_f64 v[29:30], v[50:51], v[92:93], v[29:30]
	v_fma_f64 v[6:7], v[54:55], v[92:93], v[6:7]
	;; [unrolled: 1-line block ×8, first 2 shown]
	v_fma_f64 v[29:30], -v[54:55], v[94:95], v[29:30]
	v_fma_f64 v[14:15], v[50:51], v[94:95], v[6:7]
	v_fma_f64 v[35:36], -v[62:63], v[94:95], v[37:38]
	v_fma_f64 v[27:28], v[58:59], v[94:95], v[27:28]
	;; [unrolled: 2-line block ×4, first 2 shown]
	s_and_not1_b32 exec_lo, exec_lo, s10
	s_cbranch_execnz .LBB174_19
; %bb.20:
	s_or_b32 exec_lo, exec_lo, s10
.LBB174_21:
	s_delay_alu instid0(SALU_CYCLE_1) | instskip(NEXT) | instid1(SALU_CYCLE_1)
	s_or_b32 exec_lo, exec_lo, s7
	s_mov_b32 s7, exec_lo
	v_cmpx_lt_u64_e32 0xbf, v[0:1]
	s_cbranch_execz .LBB174_25
; %bb.22:
	v_lshlrev_b64 v[0:1], 2, v[43:44]
	s_mov_b32 s10, 0
	s_delay_alu instid0(VALU_DEP_1) | instskip(NEXT) | instid1(VALU_DEP_2)
	v_add_co_u32 v0, vcc_lo, v0, s8
	v_add_co_ci_u32_e32 v1, vcc_lo, s9, v1, vcc_lo
	s_delay_alu instid0(VALU_DEP_2) | instskip(NEXT) | instid1(VALU_DEP_2)
	v_add_co_u32 v45, vcc_lo, 0x200, v0
	v_add_co_ci_u32_e32 v46, vcc_lo, 0, v1, vcc_lo
.LBB174_23:                             ; =>This Inner Loop Header: Depth=1
	global_load_b32 v48, v[45:46], off offset:-512
	s_clause 0x1
	global_load_b128 v[4:7], v[41:42], off
	global_load_b128 v[0:3], v[41:42], off offset:32
	global_load_b32 v105, v[45:46], off offset:-256
	s_clause 0x1
	global_load_b128 v[49:52], v[41:42], off offset:64
	global_load_b128 v[53:56], v[41:42], off offset:96
	s_clause 0x1
	global_load_b32 v133, v[45:46], off
	global_load_b32 v134, v[45:46], off offset:256
	s_waitcnt vmcnt(7)
	v_subrev_nc_u32_e32 v48, s12, v48
	s_waitcnt vmcnt(6)
	v_cvt_f64_f32_e32 v[111:112], v4
	v_cvt_f64_f32_e32 v[4:5], v5
	s_waitcnt vmcnt(4)
	v_subrev_nc_u32_e32 v105, s12, v105
	v_cvt_f64_f32_e32 v[113:114], v0
	v_lshlrev_b32_e32 v57, 2, v48
	v_cvt_f64_f32_e32 v[0:1], v1
	s_waitcnt vmcnt(3)
	v_cvt_f64_f32_e32 v[48:49], v49
	v_lshlrev_b32_e32 v105, 2, v105
	v_cvt_f64_f32_e32 v[115:116], v50
	v_ashrrev_i32_e32 v58, 31, v57
	s_waitcnt vmcnt(2)
	v_cvt_f64_f32_e32 v[117:118], v53
	v_cvt_f64_f32_e32 v[53:54], v54
	v_ashrrev_i32_e32 v106, 31, v105
	v_cvt_f64_f32_e32 v[121:122], v7
	v_lshlrev_b64 v[57:58], 4, v[57:58]
	v_cvt_f64_f32_e32 v[123:124], v2
	v_cvt_f64_f32_e32 v[125:126], v3
	v_lshlrev_b64 v[105:106], 4, v[105:106]
	v_cvt_f64_f32_e32 v[50:51], v51
	v_cvt_f64_f32_e32 v[127:128], v52
	s_waitcnt lgkmcnt(0)
	v_add_co_u32 v85, vcc_lo, s4, v57
	v_add_co_ci_u32_e32 v86, vcc_lo, s5, v58, vcc_lo
	v_add_co_u32 v109, vcc_lo, 0x2000, v41
	v_add_co_ci_u32_e32 v110, vcc_lo, 0, v42, vcc_lo
	s_clause 0x1
	global_load_b128 v[57:60], v[85:86], off
	global_load_b128 v[61:64], v[85:86], off offset:16
	s_clause 0x3
	global_load_b128 v[65:68], v[41:42], off offset:16
	global_load_b128 v[69:72], v[41:42], off offset:48
	;; [unrolled: 1-line block ×4, first 2 shown]
	s_clause 0x1
	global_load_b128 v[81:84], v[85:86], off offset:32
	global_load_b128 v[85:88], v[85:86], off offset:48
	v_add_co_u32 v119, vcc_lo, s4, v105
	s_clause 0x3
	global_load_b128 v[89:92], v[109:110], off
	global_load_b128 v[93:96], v[109:110], off offset:32
	global_load_b128 v[97:100], v[109:110], off offset:64
	;; [unrolled: 1-line block ×3, first 2 shown]
	v_add_co_ci_u32_e32 v120, vcc_lo, s5, v106, vcc_lo
	v_cvt_f64_f32_e32 v[129:130], v55
	v_cvt_f64_f32_e32 v[55:56], v56
	global_load_b128 v[105:108], v[119:120], off
	s_waitcnt vmcnt(12)
	v_fma_f64 v[29:30], v[111:112], v[57:58], v[29:30]
	v_fma_f64 v[14:15], v[4:5], v[57:58], v[14:15]
	;; [unrolled: 1-line block ×8, first 2 shown]
	v_cvt_f64_f32_e32 v[57:58], v6
	s_waitcnt vmcnt(7)
	v_cvt_f64_f32_e32 v[131:132], v77
	v_cvt_f64_f32_e32 v[77:78], v78
	v_fma_f64 v[4:5], -v[4:5], v[59:60], v[29:30]
	v_fma_f64 v[6:7], v[111:112], v[59:60], v[14:15]
	v_fma_f64 v[14:15], -v[0:1], v[59:60], v[35:36]
	global_load_b128 v[0:3], v[119:120], off offset:16
	v_fma_f64 v[27:28], v[113:114], v[59:60], v[27:28]
	v_fma_f64 v[29:30], -v[115:116], v[59:60], v[37:38]
	v_fma_f64 v[33:34], v[48:49], v[59:60], v[33:34]
	v_fma_f64 v[25:26], -v[53:54], v[59:60], v[25:26]
	v_fma_f64 v[31:32], v[117:118], v[59:60], v[31:32]
	v_cvt_f64_f32_e32 v[115:116], v69
	v_cvt_f64_f32_e32 v[69:70], v70
	;; [unrolled: 1-line block ×4, first 2 shown]
	v_fma_f64 v[37:38], v[57:58], v[61:62], v[4:5]
	v_fma_f64 v[48:49], v[121:122], v[61:62], v[6:7]
	;; [unrolled: 1-line block ×8, first 2 shown]
	s_clause 0x3
	global_load_b128 v[4:7], v[109:110], off offset:16
	global_load_b128 v[25:28], v[109:110], off offset:48
	;; [unrolled: 1-line block ×4, first 2 shown]
	v_cvt_f64_f32_e32 v[109:110], v65
	v_cvt_f64_f32_e32 v[65:66], v66
	v_fma_f64 v[37:38], -v[121:122], v[63:64], v[37:38]
	v_fma_f64 v[57:58], v[57:58], v[63:64], v[48:49]
	v_fma_f64 v[14:15], -v[125:126], v[63:64], v[14:15]
	v_cvt_f64_f32_e32 v[121:122], v72
	v_fma_f64 v[52:53], v[123:124], v[63:64], v[52:53]
	v_fma_f64 v[59:60], -v[127:128], v[63:64], v[59:60]
	v_fma_f64 v[111:112], v[50:51], v[63:64], v[111:112]
	v_fma_f64 v[54:55], -v[55:56], v[63:64], v[113:114]
	v_fma_f64 v[61:62], v[129:130], v[63:64], v[61:62]
	global_load_b128 v[48:51], v[119:120], off offset:32
	v_cvt_f64_f32_e32 v[113:114], v71
	v_cvt_f64_f32_e32 v[123:124], v75
	;; [unrolled: 1-line block ×5, first 2 shown]
	s_waitcnt vmcnt(9)
	v_cvt_f64_f32_e32 v[127:128], v93
	v_cvt_f64_f32_e32 v[93:94], v94
	s_waitcnt vmcnt(8)
	v_cvt_f64_f32_e32 v[129:130], v97
	v_cvt_f64_f32_e32 v[97:98], v98
	v_fma_f64 v[37:38], v[109:110], v[81:82], v[37:38]
	v_fma_f64 v[56:57], v[65:66], v[81:82], v[57:58]
	;; [unrolled: 1-line block ×8, first 2 shown]
	v_cvt_f64_f32_e32 v[81:82], v67
	v_cvt_f64_f32_e32 v[111:112], v68
	v_fma_f64 v[37:38], -v[65:66], v[83:84], v[37:38]
	v_fma_f64 v[56:57], v[109:110], v[83:84], v[56:57]
	v_fma_f64 v[14:15], -v[69:70], v[83:84], v[14:15]
	v_add_co_u32 v109, vcc_lo, 0x4000, v41
	v_fma_f64 v[65:66], v[115:116], v[83:84], v[52:53]
	v_fma_f64 v[58:59], -v[73:74], v[83:84], v[58:59]
	v_fma_f64 v[62:63], v[117:118], v[83:84], v[63:64]
	v_fma_f64 v[67:68], -v[77:78], v[83:84], v[54:55]
	global_load_b128 v[52:55], v[119:120], off offset:48
	v_fma_f64 v[60:61], v[131:132], v[83:84], v[60:61]
	v_add_co_ci_u32_e32 v110, vcc_lo, 0, v42, vcc_lo
	v_subrev_nc_u32_e32 v74, s12, v133
	v_cvt_f64_f32_e32 v[119:120], v89
	v_cvt_f64_f32_e32 v[89:90], v90
	s_waitcnt vmcnt(8)
	v_cvt_f64_f32_e32 v[131:132], v101
	v_cvt_f64_f32_e32 v[101:102], v102
	v_lshlrev_b32_e32 v74, 2, v74
	v_fma_f64 v[37:38], v[81:82], v[85:86], v[37:38]
	v_fma_f64 v[72:73], v[111:112], v[85:86], v[56:57]
	v_fma_f64 v[14:15], v[113:114], v[85:86], v[14:15]
	v_fma_f64 v[77:78], v[121:122], v[85:86], v[65:66]
	v_fma_f64 v[83:84], v[123:124], v[85:86], v[58:59]
	v_fma_f64 v[115:116], v[75:76], v[85:86], v[62:63]
	v_fma_f64 v[117:118], v[125:126], v[85:86], v[67:68]
	v_fma_f64 v[85:86], v[79:80], v[85:86], v[60:61]
	s_clause 0x3
	global_load_b128 v[56:59], v[109:110], off
	global_load_b128 v[60:63], v[109:110], off offset:32
	global_load_b128 v[64:67], v[109:110], off offset:64
	;; [unrolled: 1-line block ×3, first 2 shown]
	v_fma_f64 v[37:38], -v[111:112], v[87:88], v[37:38]
	v_fma_f64 v[81:82], v[81:82], v[87:88], v[72:73]
	v_fma_f64 v[14:15], -v[121:122], v[87:88], v[14:15]
	v_cvt_f64_f32_e32 v[121:122], v99
	v_cvt_f64_f32_e32 v[99:100], v100
	v_fma_f64 v[77:78], v[113:114], v[87:88], v[77:78]
	v_fma_f64 v[83:84], -v[75:76], v[87:88], v[83:84]
	v_fma_f64 v[111:112], v[123:124], v[87:88], v[115:116]
	v_fma_f64 v[79:80], -v[79:80], v[87:88], v[117:118]
	v_ashrrev_i32_e32 v75, 31, v74
	v_fma_f64 v[85:86], v[125:126], v[87:88], v[85:86]
	v_cvt_f64_f32_e32 v[115:116], v95
	v_cvt_f64_f32_e32 v[117:118], v96
	;; [unrolled: 1-line block ×3, first 2 shown]
	v_lshlrev_b64 v[72:73], 4, v[74:75]
	v_cvt_f64_f32_e32 v[103:104], v104
	s_delay_alu instid0(VALU_DEP_2) | instskip(NEXT) | instid1(VALU_DEP_3)
	v_add_co_u32 v113, vcc_lo, s4, v72
	v_add_co_ci_u32_e32 v114, vcc_lo, s5, v73, vcc_lo
	global_load_b128 v[72:75], v[113:114], off
	s_waitcnt vmcnt(12)
	v_fma_f64 v[37:38], v[119:120], v[105:106], v[37:38]
	v_fma_f64 v[81:82], v[89:90], v[105:106], v[81:82]
	;; [unrolled: 1-line block ×7, first 2 shown]
	v_cvt_f64_f32_e32 v[111:112], v92
	v_fma_f64 v[85:86], v[101:102], v[105:106], v[85:86]
	v_cvt_f64_f32_e32 v[105:106], v91
	v_fma_f64 v[37:38], -v[89:90], v[107:108], v[37:38]
	v_fma_f64 v[80:81], v[119:120], v[107:108], v[81:82]
	v_fma_f64 v[14:15], -v[93:94], v[107:108], v[14:15]
	v_fma_f64 v[89:90], v[127:128], v[107:108], v[76:77]
	;; [unrolled: 2-line block ×3, first 2 shown]
	v_fma_f64 v[91:92], -v[101:102], v[107:108], v[78:79]
	global_load_b128 v[76:79], v[113:114], off offset:16
	v_fma_f64 v[84:85], v[131:132], v[107:108], v[85:86]
	s_waitcnt vmcnt(12)
	v_fma_f64 v[37:38], v[105:106], v[0:1], v[37:38]
	v_fma_f64 v[96:97], v[111:112], v[0:1], v[80:81]
	;; [unrolled: 1-line block ×8, first 2 shown]
	s_clause 0x3
	global_load_b128 v[80:83], v[109:110], off offset:16
	global_load_b128 v[84:87], v[109:110], off offset:48
	global_load_b128 v[88:91], v[109:110], off offset:80
	global_load_b128 v[92:95], v[109:110], off offset:112
	s_waitcnt vmcnt(15)
	v_cvt_f64_f32_e32 v[109:110], v4
	v_cvt_f64_f32_e32 v[4:5], v5
	s_waitcnt vmcnt(14)
	v_cvt_f64_f32_e32 v[127:128], v25
	v_cvt_f64_f32_e32 v[25:26], v26
	;; [unrolled: 3-line block ×4, first 2 shown]
	v_fma_f64 v[37:38], -v[111:112], v[2:3], v[37:38]
	v_fma_f64 v[96:97], v[105:106], v[2:3], v[96:97]
	v_fma_f64 v[14:15], -v[117:118], v[2:3], v[14:15]
	v_cvt_f64_f32_e32 v[111:112], v7
	v_cvt_f64_f32_e32 v[117:118], v28
	v_fma_f64 v[101:102], v[115:116], v[2:3], v[101:102]
	v_fma_f64 v[98:99], -v[99:100], v[2:3], v[107:108]
	v_fma_f64 v[105:106], v[121:122], v[2:3], v[119:120]
	v_fma_f64 v[103:104], -v[103:104], v[2:3], v[125:126]
	v_cvt_f64_f32_e32 v[115:116], v27
	v_fma_f64 v[107:108], v[123:124], v[2:3], v[0:1]
	global_load_b128 v[0:3], v[113:114], off offset:32
	v_cvt_f64_f32_e32 v[119:120], v31
	v_cvt_f64_f32_e32 v[121:122], v32
	v_cvt_f64_f32_e32 v[123:124], v35
	v_cvt_f64_f32_e32 v[125:126], v36
	s_waitcnt vmcnt(12)
	v_fma_f64 v[37:38], v[109:110], v[48:49], v[37:38]
	v_fma_f64 v[96:97], v[4:5], v[48:49], v[96:97]
	;; [unrolled: 1-line block ×8, first 2 shown]
	v_cvt_f64_f32_e32 v[107:108], v6
	v_fma_f64 v[27:28], -v[4:5], v[50:51], v[37:38]
	global_load_b128 v[4:7], v[113:114], off offset:48
	v_fma_f64 v[31:32], v[109:110], v[50:51], v[96:97]
	v_fma_f64 v[14:15], -v[25:26], v[50:51], v[14:15]
	v_add_co_u32 v96, vcc_lo, 0x6000, v41
	v_fma_f64 v[25:26], v[127:128], v[50:51], v[100:101]
	v_fma_f64 v[29:30], -v[29:30], v[50:51], v[98:99]
	v_fma_f64 v[35:36], v[129:130], v[50:51], v[105:106]
	v_fma_f64 v[33:34], -v[33:34], v[50:51], v[102:103]
	v_fma_f64 v[37:38], v[131:132], v[50:51], v[48:49]
	v_add_co_ci_u32_e32 v97, vcc_lo, 0, v42, vcc_lo
	v_add_co_u32 v41, s1, 0x8000, v41
	s_delay_alu instid0(VALU_DEP_1)
	v_add_co_ci_u32_e64 v42, s1, 0, v42, s1
	s_waitcnt vmcnt(12)
	v_fma_f64 v[98:99], v[107:108], v[52:53], v[27:28]
	v_fma_f64 v[100:101], v[111:112], v[52:53], v[31:32]
	;; [unrolled: 1-line block ×8, first 2 shown]
	s_clause 0x3
	global_load_b128 v[25:28], v[96:97], off
	global_load_b128 v[29:32], v[96:97], off offset:32
	global_load_b128 v[33:36], v[96:97], off offset:64
	;; [unrolled: 1-line block ×3, first 2 shown]
	v_subrev_nc_u32_e32 v52, s12, v134
	s_delay_alu instid0(VALU_DEP_1) | instskip(NEXT) | instid1(VALU_DEP_1)
	v_lshlrev_b32_e32 v52, 2, v52
	v_ashrrev_i32_e32 v53, 31, v52
	s_waitcnt vmcnt(15)
	v_cvt_f64_f32_e32 v[127:128], v56
	v_cvt_f64_f32_e32 v[56:57], v57
	s_waitcnt vmcnt(14)
	v_cvt_f64_f32_e32 v[129:130], v60
	v_cvt_f64_f32_e32 v[60:61], v61
	;; [unrolled: 3-line block ×4, first 2 shown]
	v_lshlrev_b64 v[52:53], 4, v[52:53]
	v_cvt_f64_f32_e32 v[135:136], v71
	v_fma_f64 v[98:99], -v[111:112], v[54:55], v[98:99]
	v_fma_f64 v[100:101], v[107:108], v[54:55], v[100:101]
	v_fma_f64 v[14:15], -v[117:118], v[54:55], v[14:15]
	v_fma_f64 v[102:103], v[115:116], v[54:55], v[102:103]
	v_fma_f64 v[104:105], -v[121:122], v[54:55], v[104:105]
	v_fma_f64 v[106:107], v[119:120], v[54:55], v[109:110]
	v_fma_f64 v[108:109], -v[125:126], v[54:55], v[113:114]
	v_fma_f64 v[37:38], v[123:124], v[54:55], v[37:38]
	v_add_co_u32 v110, vcc_lo, s4, v52
	v_add_co_ci_u32_e32 v111, vcc_lo, s5, v53, vcc_lo
	v_cvt_f64_f32_e32 v[112:113], v58
	v_cvt_f64_f32_e32 v[114:115], v59
	;; [unrolled: 1-line block ×3, first 2 shown]
	global_load_b128 v[52:55], v[110:111], off
	v_cvt_f64_f32_e32 v[118:119], v63
	v_cvt_f64_f32_e32 v[120:121], v66
	;; [unrolled: 1-line block ×4, first 2 shown]
	v_add_co_u32 v43, vcc_lo, 0x100, v43
	v_add_co_ci_u32_e32 v44, vcc_lo, 0, v44, vcc_lo
	v_add_co_u32 v45, vcc_lo, 0x400, v45
	v_add_co_ci_u32_e32 v46, vcc_lo, 0, v46, vcc_lo
	s_delay_alu instid0(VALU_DEP_3)
	v_cmp_ge_i64_e32 vcc_lo, v[43:44], v[10:11]
	s_or_b32 s10, vcc_lo, s10
	s_waitcnt vmcnt(12)
	v_fma_f64 v[98:99], v[127:128], v[72:73], v[98:99]
	v_fma_f64 v[100:101], v[56:57], v[72:73], v[100:101]
	v_fma_f64 v[14:15], v[129:130], v[72:73], v[14:15]
	v_fma_f64 v[102:103], v[60:61], v[72:73], v[102:103]
	v_fma_f64 v[104:105], v[131:132], v[72:73], v[104:105]
	v_fma_f64 v[106:107], v[64:65], v[72:73], v[106:107]
	v_fma_f64 v[108:109], v[133:134], v[72:73], v[108:109]
	v_fma_f64 v[37:38], v[68:69], v[72:73], v[37:38]
	v_fma_f64 v[62:63], -v[56:57], v[74:75], v[98:99]
	global_load_b128 v[56:59], v[110:111], off offset:16
	v_fma_f64 v[66:67], v[127:128], v[74:75], v[100:101]
	v_fma_f64 v[14:15], -v[60:61], v[74:75], v[14:15]
	v_fma_f64 v[60:61], v[129:130], v[74:75], v[102:103]
	v_fma_f64 v[64:65], -v[64:65], v[74:75], v[104:105]
	;; [unrolled: 2-line block ×3, first 2 shown]
	v_fma_f64 v[37:38], v[133:134], v[74:75], v[37:38]
	s_waitcnt vmcnt(12)
	v_fma_f64 v[98:99], v[112:113], v[76:77], v[62:63]
	v_fma_f64 v[100:101], v[114:115], v[76:77], v[66:67]
	;; [unrolled: 1-line block ×8, first 2 shown]
	s_clause 0x3
	global_load_b128 v[60:63], v[96:97], off offset:16
	global_load_b128 v[64:67], v[96:97], off offset:48
	;; [unrolled: 1-line block ×4, first 2 shown]
	s_waitcnt vmcnt(15)
	v_cvt_f64_f32_e32 v[96:97], v80
	v_cvt_f64_f32_e32 v[80:81], v81
	s_waitcnt vmcnt(14)
	v_cvt_f64_f32_e32 v[126:127], v84
	v_cvt_f64_f32_e32 v[84:85], v85
	;; [unrolled: 3-line block ×4, first 2 shown]
	v_fma_f64 v[98:99], -v[114:115], v[78:79], v[98:99]
	v_cvt_f64_f32_e32 v[114:115], v90
	v_fma_f64 v[100:101], v[112:113], v[78:79], v[100:101]
	v_fma_f64 v[14:15], -v[118:119], v[78:79], v[14:15]
	v_fma_f64 v[102:103], v[116:117], v[78:79], v[102:103]
	v_fma_f64 v[104:105], -v[122:123], v[78:79], v[104:105]
	;; [unrolled: 2-line block ×3, first 2 shown]
	v_fma_f64 v[37:38], v[124:125], v[78:79], v[37:38]
	global_load_b128 v[76:79], v[110:111], off offset:32
	v_cvt_f64_f32_e32 v[112:113], v86
	v_cvt_f64_f32_e32 v[86:87], v87
	;; [unrolled: 1-line block ×5, first 2 shown]
	s_waitcnt vmcnt(12)
	v_fma_f64 v[98:99], v[96:97], v[0:1], v[98:99]
	v_fma_f64 v[100:101], v[80:81], v[0:1], v[100:101]
	;; [unrolled: 1-line block ×8, first 2 shown]
	v_cvt_f64_f32_e32 v[37:38], v82
	v_cvt_f64_f32_e32 v[82:83], v83
	v_fma_f64 v[80:81], -v[80:81], v[2:3], v[98:99]
	v_fma_f64 v[96:97], v[96:97], v[2:3], v[100:101]
	v_fma_f64 v[14:15], -v[84:85], v[2:3], v[14:15]
	v_fma_f64 v[84:85], v[126:127], v[2:3], v[102:103]
	;; [unrolled: 2-line block ×4, first 2 shown]
	global_load_b128 v[0:3], v[110:111], off offset:48
	s_waitcnt vmcnt(12)
	v_fma_f64 v[80:81], v[37:38], v[4:5], v[80:81]
	v_fma_f64 v[96:97], v[82:83], v[4:5], v[96:97]
	v_fma_f64 v[14:15], v[112:113], v[4:5], v[14:15]
	v_fma_f64 v[84:85], v[86:87], v[4:5], v[84:85]
	v_fma_f64 v[88:89], v[114:115], v[4:5], v[88:89]
	v_fma_f64 v[98:99], v[90:91], v[4:5], v[98:99]
	v_fma_f64 v[92:93], v[116:117], v[4:5], v[92:93]
	v_fma_f64 v[4:5], v[94:95], v[4:5], v[100:101]
	s_waitcnt vmcnt(11)
	v_cvt_f64_f32_e32 v[100:101], v25
	v_cvt_f64_f32_e32 v[25:26], v26
	s_waitcnt vmcnt(10)
	v_cvt_f64_f32_e32 v[102:103], v29
	v_cvt_f64_f32_e32 v[29:30], v30
	s_waitcnt vmcnt(9)
	v_cvt_f64_f32_e32 v[104:105], v33
	v_cvt_f64_f32_e32 v[33:34], v34
	s_waitcnt vmcnt(8)
	v_cvt_f64_f32_e32 v[106:107], v48
	v_cvt_f64_f32_e32 v[48:49], v49
	v_fma_f64 v[80:81], -v[82:83], v[6:7], v[80:81]
	v_fma_f64 v[37:38], v[37:38], v[6:7], v[96:97]
	v_fma_f64 v[14:15], -v[86:87], v[6:7], v[14:15]
	v_fma_f64 v[82:83], v[112:113], v[6:7], v[84:85]
	;; [unrolled: 2-line block ×4, first 2 shown]
	v_cvt_f64_f32_e32 v[90:91], v35
	v_cvt_f64_f32_e32 v[35:36], v36
	v_cvt_f64_f32_e32 v[92:93], v50
	v_cvt_f64_f32_e32 v[50:51], v51
	s_waitcnt vmcnt(7)
	v_fma_f64 v[6:7], v[100:101], v[52:53], v[80:81]
	v_fma_f64 v[37:38], v[25:26], v[52:53], v[37:38]
	;; [unrolled: 1-line block ×8, first 2 shown]
	v_cvt_f64_f32_e32 v[52:53], v27
	v_cvt_f64_f32_e32 v[27:28], v28
	;; [unrolled: 1-line block ×4, first 2 shown]
	v_fma_f64 v[6:7], -v[25:26], v[54:55], v[6:7]
	v_fma_f64 v[25:26], v[100:101], v[54:55], v[37:38]
	v_fma_f64 v[14:15], -v[29:30], v[54:55], v[14:15]
	v_fma_f64 v[29:30], v[102:103], v[54:55], v[80:81]
	;; [unrolled: 2-line block ×4, first 2 shown]
	s_waitcnt vmcnt(6)
	v_fma_f64 v[6:7], v[52:53], v[56:57], v[6:7]
	v_fma_f64 v[25:26], v[27:28], v[56:57], v[25:26]
	;; [unrolled: 1-line block ×8, first 2 shown]
	s_waitcnt vmcnt(5)
	v_cvt_f64_f32_e32 v[54:55], v60
	v_cvt_f64_f32_e32 v[56:57], v61
	s_waitcnt vmcnt(4)
	v_cvt_f64_f32_e32 v[60:61], v64
	v_cvt_f64_f32_e32 v[64:65], v65
	;; [unrolled: 3-line block ×4, first 2 shown]
	v_fma_f64 v[6:7], -v[27:28], v[58:59], v[6:7]
	v_fma_f64 v[25:26], v[52:53], v[58:59], v[25:26]
	v_fma_f64 v[14:15], -v[31:32], v[58:59], v[14:15]
	v_fma_f64 v[27:28], v[88:89], v[58:59], v[29:30]
	;; [unrolled: 2-line block ×4, first 2 shown]
	v_cvt_f64_f32_e32 v[35:36], v62
	v_cvt_f64_f32_e32 v[37:38], v63
	;; [unrolled: 1-line block ×8, first 2 shown]
	s_waitcnt vmcnt(1)
	v_fma_f64 v[6:7], v[54:55], v[76:77], v[6:7]
	v_fma_f64 v[25:26], v[56:57], v[76:77], v[25:26]
	;; [unrolled: 1-line block ×8, first 2 shown]
	v_fma_f64 v[6:7], -v[56:57], v[78:79], v[6:7]
	v_fma_f64 v[25:26], v[54:55], v[78:79], v[25:26]
	v_fma_f64 v[14:15], -v[64:65], v[78:79], v[14:15]
	v_fma_f64 v[27:28], v[60:61], v[78:79], v[27:28]
	;; [unrolled: 2-line block ×4, first 2 shown]
	s_waitcnt vmcnt(0)
	v_fma_f64 v[6:7], v[35:36], v[0:1], v[6:7]
	v_fma_f64 v[25:26], v[37:38], v[0:1], v[25:26]
	;; [unrolled: 1-line block ×8, first 2 shown]
	v_fma_f64 v[29:30], -v[37:38], v[2:3], v[6:7]
	v_fma_f64 v[14:15], v[35:36], v[2:3], v[25:26]
	v_fma_f64 v[35:36], -v[50:51], v[2:3], v[54:55]
	v_fma_f64 v[27:28], v[48:49], v[2:3], v[27:28]
	;; [unrolled: 2-line block ×4, first 2 shown]
	s_and_not1_b32 exec_lo, exec_lo, s10
	s_cbranch_execnz .LBB174_23
; %bb.24:
	s_or_b32 exec_lo, exec_lo, s10
.LBB174_25:
	s_delay_alu instid0(SALU_CYCLE_1)
	s_or_b32 exec_lo, exec_lo, s7
.LBB174_26:
	s_delay_alu instid0(SALU_CYCLE_1)
	s_or_b32 exec_lo, exec_lo, s6
	s_cbranch_execz .LBB174_28
	s_branch .LBB174_39
.LBB174_27:
                                        ; implicit-def: $vgpr14_vgpr15
                                        ; implicit-def: $vgpr29_vgpr30
                                        ; implicit-def: $vgpr27_vgpr28
                                        ; implicit-def: $vgpr35_vgpr36
                                        ; implicit-def: $vgpr33_vgpr34
                                        ; implicit-def: $vgpr37_vgpr38
                                        ; implicit-def: $vgpr31_vgpr32
                                        ; implicit-def: $vgpr25_vgpr26
.LBB174_28:
	v_mov_b32_e32 v14, 0
	v_mov_b32_e32 v15, 0
	s_delay_alu instid0(VALU_DEP_1)
	v_dual_mov_b32 v30, v15 :: v_dual_mov_b32 v29, v14
	v_dual_mov_b32 v28, v15 :: v_dual_mov_b32 v27, v14
	;; [unrolled: 1-line block ×7, first 2 shown]
	s_and_saveexec_b32 s1, s0
	s_cbranch_execz .LBB174_38
; %bb.29:
	v_or_b32_e32 v0, 64, v47
	v_not_b32_e32 v3, v39
	v_not_b32_e32 v2, v40
	s_mov_b32 s7, 0
	s_mov_b32 s6, exec_lo
	v_sub_co_u32 v0, s0, v0, s12
	s_delay_alu instid0(VALU_DEP_1) | instskip(SKIP_1) | instid1(VALU_DEP_3)
	v_sub_co_ci_u32_e64 v1, null, 0, 0, s0
	v_sub_co_u32 v4, s0, s12, v47
	v_add_co_u32 v0, vcc_lo, v0, v39
	s_delay_alu instid0(VALU_DEP_3) | instskip(SKIP_1) | instid1(VALU_DEP_2)
	v_add_co_ci_u32_e32 v1, vcc_lo, v1, v40, vcc_lo
	v_sub_co_ci_u32_e64 v5, null, 0, 0, s0
	v_cmp_gt_i64_e32 vcc_lo, v[0:1], v[10:11]
	v_dual_cndmask_b32 v1, v11, v1 :: v_dual_cndmask_b32 v0, v10, v0
	v_add_co_u32 v3, vcc_lo, v4, v3
	s_delay_alu instid0(VALU_DEP_4) | instskip(NEXT) | instid1(VALU_DEP_2)
	v_add_co_ci_u32_e32 v2, vcc_lo, v5, v2, vcc_lo
	v_add_co_u32 v0, vcc_lo, v3, v0
	s_delay_alu instid0(VALU_DEP_2) | instskip(NEXT) | instid1(VALU_DEP_2)
	v_add_co_ci_u32_e32 v1, vcc_lo, v2, v1, vcc_lo
	v_lshrrev_b32_e32 v2, 6, v0
	v_mov_b32_e32 v25, 0
	v_mov_b32_e32 v26, 0
	s_delay_alu instid0(VALU_DEP_2) | instskip(NEXT) | instid1(VALU_DEP_2)
	v_mov_b32_e32 v14, v25
	v_dual_mov_b32 v15, v26 :: v_dual_add_nc_u32 v2, 1, v2
	v_mov_b32_e32 v34, v26
	v_mov_b32_e32 v36, v26
	;; [unrolled: 1-line block ×3, first 2 shown]
	v_dual_mov_b32 v30, v26 :: v_dual_mov_b32 v29, v25
	v_dual_mov_b32 v32, v26 :: v_dual_mov_b32 v31, v25
	;; [unrolled: 1-line block ×3, first 2 shown]
	v_dual_mov_b32 v33, v25 :: v_dual_and_b32 v2, 3, v2
	v_mov_b32_e32 v35, v25
	v_mov_b32_e32 v27, v25
	s_delay_alu instid0(VALU_DEP_3)
	v_cmpx_ne_u32_e32 0, v2
	s_cbranch_execz .LBB174_33
; %bb.30:
	v_lshlrev_b64 v[4:5], 2, v[8:9]
	v_dual_mov_b32 v3, 0 :: v_dual_mov_b32 v14, 0
	v_dual_mov_b32 v15, 0 :: v_dual_lshlrev_b32 v2, 2, v2
	s_delay_alu instid0(VALU_DEP_3) | instskip(NEXT) | instid1(VALU_DEP_4)
	v_add_co_u32 v4, vcc_lo, s8, v4
	v_add_co_ci_u32_e32 v5, vcc_lo, s9, v5, vcc_lo
	s_delay_alu instid0(VALU_DEP_3)
	v_dual_mov_b32 v30, v15 :: v_dual_mov_b32 v29, v14
	v_dual_mov_b32 v28, v15 :: v_dual_mov_b32 v27, v14
	;; [unrolled: 1-line block ×7, first 2 shown]
.LBB174_31:                             ; =>This Inner Loop Header: Depth=1
	global_load_b32 v6, v[4:5], off
	s_clause 0x1
	global_load_b128 v[39:42], v[12:13], off
	global_load_b128 v[43:46], v[12:13], off offset:16
	v_add_co_u32 v4, s0, 0x100, v4
	s_delay_alu instid0(VALU_DEP_1)
	v_add_co_ci_u32_e64 v5, s0, 0, v5, s0
	s_waitcnt vmcnt(2)
	v_subrev_nc_u32_e32 v6, s12, v6
	s_waitcnt vmcnt(1)
	v_cvt_f64_f32_e32 v[88:89], v41
	v_cvt_f64_f32_e32 v[41:42], v42
	s_waitcnt vmcnt(0)
	v_cvt_f64_f32_e32 v[90:91], v43
	v_cvt_f64_f32_e32 v[43:44], v44
	v_lshlrev_b32_e32 v6, 2, v6
	v_cvt_f64_f32_e32 v[92:93], v45
	v_cvt_f64_f32_e32 v[45:46], v46
	s_delay_alu instid0(VALU_DEP_3) | instskip(NEXT) | instid1(VALU_DEP_1)
	v_ashrrev_i32_e32 v7, 31, v6
	v_lshlrev_b64 v[6:7], 4, v[6:7]
	s_waitcnt lgkmcnt(0)
	s_delay_alu instid0(VALU_DEP_1) | instskip(NEXT) | instid1(VALU_DEP_2)
	v_add_co_u32 v6, vcc_lo, s4, v6
	v_add_co_ci_u32_e32 v7, vcc_lo, s5, v7, vcc_lo
	s_clause 0x1
	global_load_b128 v[48:51], v[6:7], off
	global_load_b128 v[52:55], v[6:7], off offset:16
	s_clause 0x3
	global_load_b128 v[56:59], v[12:13], off offset:32
	global_load_b128 v[60:63], v[12:13], off offset:48
	;; [unrolled: 1-line block ×4, first 2 shown]
	s_clause 0x1
	global_load_b128 v[72:75], v[6:7], off offset:32
	global_load_b128 v[76:79], v[6:7], off offset:48
	s_clause 0x1
	global_load_b128 v[80:83], v[12:13], off offset:96
	global_load_b128 v[84:87], v[12:13], off offset:112
	v_cvt_f64_f32_e32 v[6:7], v39
	v_cvt_f64_f32_e32 v[39:40], v40
	v_add_co_u32 v12, vcc_lo, 0x2000, v12
	v_add_co_ci_u32_e32 v13, vcc_lo, 0, v13, vcc_lo
	v_add_co_u32 v2, vcc_lo, v2, -4
	v_add_co_ci_u32_e32 v3, vcc_lo, -1, v3, vcc_lo
	v_add_co_u32 v8, vcc_lo, v8, 64
	v_add_co_ci_u32_e32 v9, vcc_lo, 0, v9, vcc_lo
	s_delay_alu instid0(VALU_DEP_3)
	v_cmp_eq_u64_e32 vcc_lo, 0, v[2:3]
	s_or_b32 s7, vcc_lo, s7
	s_waitcnt vmcnt(9)
	v_fma_f64 v[29:30], v[6:7], v[48:49], v[29:30]
	v_fma_f64 v[14:15], v[39:40], v[48:49], v[14:15]
	;; [unrolled: 1-line block ×8, first 2 shown]
	s_waitcnt vmcnt(7)
	v_cvt_f64_f32_e32 v[48:49], v56
	v_cvt_f64_f32_e32 v[56:57], v57
	;; [unrolled: 1-line block ×4, first 2 shown]
	s_waitcnt vmcnt(6)
	v_cvt_f64_f32_e32 v[96:97], v60
	v_cvt_f64_f32_e32 v[60:61], v61
	;; [unrolled: 1-line block ×4, first 2 shown]
	v_fma_f64 v[29:30], -v[39:40], v[50:51], v[29:30]
	v_fma_f64 v[6:7], v[6:7], v[50:51], v[14:15]
	v_fma_f64 v[14:15], -v[41:42], v[50:51], v[35:36]
	v_fma_f64 v[27:28], v[88:89], v[50:51], v[27:28]
	;; [unrolled: 2-line block ×4, first 2 shown]
	s_waitcnt vmcnt(5)
	v_cvt_f64_f32_e32 v[37:38], v64
	v_cvt_f64_f32_e32 v[39:40], v65
	;; [unrolled: 1-line block ×4, first 2 shown]
	s_waitcnt vmcnt(4)
	v_cvt_f64_f32_e32 v[45:46], v68
	v_cvt_f64_f32_e32 v[50:51], v69
	v_cvt_f64_f32_e32 v[64:65], v71
	s_waitcnt vmcnt(0)
	v_cvt_f64_f32_e32 v[66:67], v86
	v_cvt_f64_f32_e32 v[68:69], v87
	v_fma_f64 v[29:30], v[48:49], v[52:53], v[29:30]
	v_fma_f64 v[6:7], v[56:57], v[52:53], v[6:7]
	;; [unrolled: 1-line block ×8, first 2 shown]
	v_cvt_f64_f32_e32 v[52:53], v70
	v_fma_f64 v[29:30], -v[56:57], v[54:55], v[29:30]
	v_fma_f64 v[6:7], v[48:49], v[54:55], v[6:7]
	v_fma_f64 v[14:15], -v[58:59], v[54:55], v[14:15]
	v_fma_f64 v[27:28], v[94:95], v[54:55], v[27:28]
	v_fma_f64 v[35:36], -v[60:61], v[54:55], v[35:36]
	v_fma_f64 v[33:34], v[96:97], v[54:55], v[33:34]
	v_fma_f64 v[25:26], -v[62:63], v[54:55], v[25:26]
	v_fma_f64 v[31:32], v[98:99], v[54:55], v[31:32]
	v_cvt_f64_f32_e32 v[48:49], v80
	v_cvt_f64_f32_e32 v[54:55], v81
	;; [unrolled: 1-line block ×6, first 2 shown]
	v_fma_f64 v[29:30], v[37:38], v[72:73], v[29:30]
	v_fma_f64 v[6:7], v[39:40], v[72:73], v[6:7]
	;; [unrolled: 1-line block ×8, first 2 shown]
	v_fma_f64 v[29:30], -v[39:40], v[74:75], v[29:30]
	v_fma_f64 v[6:7], v[37:38], v[74:75], v[6:7]
	v_fma_f64 v[14:15], -v[43:44], v[74:75], v[14:15]
	v_fma_f64 v[27:28], v[41:42], v[74:75], v[27:28]
	;; [unrolled: 2-line block ×4, first 2 shown]
	v_fma_f64 v[29:30], v[48:49], v[76:77], v[29:30]
	v_fma_f64 v[6:7], v[54:55], v[76:77], v[6:7]
	;; [unrolled: 1-line block ×8, first 2 shown]
	v_fma_f64 v[29:30], -v[54:55], v[78:79], v[29:30]
	v_fma_f64 v[14:15], v[48:49], v[78:79], v[6:7]
	v_fma_f64 v[35:36], -v[58:59], v[78:79], v[37:38]
	v_fma_f64 v[27:28], v[56:57], v[78:79], v[27:28]
	;; [unrolled: 2-line block ×4, first 2 shown]
	s_and_not1_b32 exec_lo, exec_lo, s7
	s_cbranch_execnz .LBB174_31
; %bb.32:
	s_or_b32 exec_lo, exec_lo, s7
.LBB174_33:
	s_delay_alu instid0(SALU_CYCLE_1) | instskip(NEXT) | instid1(SALU_CYCLE_1)
	s_or_b32 exec_lo, exec_lo, s6
	s_mov_b32 s6, exec_lo
	v_cmpx_lt_u64_e32 0xbf, v[0:1]
	s_cbranch_execz .LBB174_37
; %bb.34:
	v_lshlrev_b64 v[0:1], 2, v[8:9]
	s_mov_b32 s7, 0
	s_delay_alu instid0(VALU_DEP_1) | instskip(NEXT) | instid1(VALU_DEP_2)
	v_add_co_u32 v0, vcc_lo, v0, s8
	v_add_co_ci_u32_e32 v1, vcc_lo, s9, v1, vcc_lo
	s_delay_alu instid0(VALU_DEP_2) | instskip(NEXT) | instid1(VALU_DEP_2)
	v_add_co_u32 v4, vcc_lo, 0x200, v0
	v_add_co_ci_u32_e32 v5, vcc_lo, 0, v1, vcc_lo
.LBB174_35:                             ; =>This Inner Loop Header: Depth=1
	global_load_b32 v6, v[4:5], off offset:-512
	global_load_b128 v[0:3], v[12:13], off
	global_load_b32 v100, v[4:5], off offset:-256
	global_load_b128 v[39:42], v[12:13], off offset:16
	s_clause 0x1
	global_load_b32 v124, v[4:5], off
	global_load_b32 v128, v[4:5], off offset:256
	s_waitcnt vmcnt(5)
	v_subrev_nc_u32_e32 v6, s12, v6
	s_waitcnt vmcnt(4)
	v_cvt_f64_f32_e32 v[92:93], v0
	s_waitcnt vmcnt(3)
	v_subrev_nc_u32_e32 v0, s12, v100
	v_cvt_f64_f32_e32 v[94:95], v1
	v_cvt_f64_f32_e32 v[96:97], v2
	v_lshlrev_b32_e32 v6, 2, v6
	v_cvt_f64_f32_e32 v[98:99], v3
	v_lshlrev_b32_e32 v0, 2, v0
	s_waitcnt vmcnt(2)
	v_cvt_f64_f32_e32 v[100:101], v39
	v_cvt_f64_f32_e32 v[39:40], v40
	v_ashrrev_i32_e32 v7, 31, v6
	v_cvt_f64_f32_e32 v[102:103], v41
	v_cvt_f64_f32_e32 v[41:42], v42
	v_ashrrev_i32_e32 v1, 31, v0
	s_delay_alu instid0(VALU_DEP_4) | instskip(NEXT) | instid1(VALU_DEP_2)
	v_lshlrev_b64 v[6:7], 4, v[6:7]
	v_lshlrev_b64 v[0:1], 4, v[0:1]
	s_waitcnt lgkmcnt(0)
	s_delay_alu instid0(VALU_DEP_2) | instskip(NEXT) | instid1(VALU_DEP_3)
	v_add_co_u32 v6, vcc_lo, s4, v6
	v_add_co_ci_u32_e32 v7, vcc_lo, s5, v7, vcc_lo
	global_load_b128 v[43:46], v[6:7], off
	s_clause 0x1
	global_load_b128 v[48:51], v[12:13], off offset:32
	global_load_b128 v[52:55], v[12:13], off offset:48
	global_load_b128 v[56:59], v[6:7], off offset:16
	s_clause 0x1
	global_load_b128 v[60:63], v[12:13], off offset:64
	global_load_b128 v[64:67], v[12:13], off offset:80
	global_load_b128 v[68:71], v[6:7], off offset:32
	s_clause 0x1
	global_load_b128 v[72:75], v[12:13], off offset:96
	global_load_b128 v[76:79], v[12:13], off offset:112
	global_load_b128 v[80:83], v[6:7], off offset:48
	v_add_co_u32 v6, vcc_lo, 0x2000, v12
	v_add_co_ci_u32_e32 v7, vcc_lo, 0, v13, vcc_lo
	v_add_co_u32 v104, vcc_lo, s4, v0
	s_clause 0x1
	global_load_b128 v[84:87], v[6:7], off
	global_load_b128 v[88:91], v[6:7], off offset:16
	v_add_co_ci_u32_e32 v105, vcc_lo, s5, v1, vcc_lo
	global_load_b128 v[0:3], v[104:105], off
	s_waitcnt vmcnt(12)
	v_fma_f64 v[106:107], v[92:93], v[43:44], v[29:30]
	v_fma_f64 v[14:15], v[94:95], v[43:44], v[14:15]
	;; [unrolled: 1-line block ×8, first 2 shown]
	s_clause 0x1
	global_load_b128 v[25:28], v[6:7], off offset:32
	global_load_b128 v[29:32], v[6:7], off offset:48
	s_waitcnt vmcnt(13)
	v_cvt_f64_f32_e32 v[112:113], v48
	v_cvt_f64_f32_e32 v[48:49], v49
	v_cvt_f64_f32_e32 v[114:115], v50
	v_cvt_f64_f32_e32 v[50:51], v51
	s_waitcnt vmcnt(12)
	v_cvt_f64_f32_e32 v[116:117], v52
	v_cvt_f64_f32_e32 v[52:53], v53
	v_cvt_f64_f32_e32 v[118:119], v54
	v_cvt_f64_f32_e32 v[54:55], v55
	;; [unrolled: 5-line block ×3, first 2 shown]
	v_fma_f64 v[94:95], -v[94:95], v[45:46], v[106:107]
	v_fma_f64 v[14:15], v[92:93], v[45:46], v[14:15]
	v_fma_f64 v[92:93], -v[98:99], v[45:46], v[35:36]
	v_fma_f64 v[96:97], v[96:97], v[45:46], v[108:109]
	v_fma_f64 v[37:38], -v[39:40], v[45:46], v[37:38]
	v_fma_f64 v[39:40], v[100:101], v[45:46], v[33:34]
	v_fma_f64 v[41:42], -v[41:42], v[45:46], v[110:111]
	v_fma_f64 v[43:44], v[102:103], v[45:46], v[43:44]
	global_load_b128 v[33:36], v[104:105], off offset:16
	v_cvt_f64_f32_e32 v[102:103], v60
	v_cvt_f64_f32_e32 v[106:107], v61
	;; [unrolled: 1-line block ×4, first 2 shown]
	v_fma_f64 v[45:46], v[112:113], v[56:57], v[94:95]
	v_fma_f64 v[14:15], v[48:49], v[56:57], v[14:15]
	;; [unrolled: 1-line block ×8, first 2 shown]
	s_clause 0x1
	global_load_b128 v[37:40], v[6:7], off offset:64
	global_load_b128 v[41:44], v[6:7], off offset:80
	v_fma_f64 v[45:46], -v[48:49], v[58:59], v[45:46]
	v_fma_f64 v[14:15], v[112:113], v[58:59], v[14:15]
	v_fma_f64 v[60:61], -v[50:51], v[58:59], v[92:93]
	v_fma_f64 v[62:63], v[114:115], v[58:59], v[94:95]
	;; [unrolled: 2-line block ×4, first 2 shown]
	s_clause 0x1
	global_load_b128 v[48:51], v[104:105], off offset:32
	global_load_b128 v[52:55], v[104:105], off offset:48
	s_waitcnt vmcnt(12)
	v_cvt_f64_f32_e32 v[104:105], v74
	v_cvt_f64_f32_e32 v[74:75], v75
	s_waitcnt vmcnt(11)
	v_cvt_f64_f32_e32 v[112:113], v76
	v_cvt_f64_f32_e32 v[76:77], v77
	;; [unrolled: 1-line block ×4, first 2 shown]
	s_waitcnt vmcnt(9)
	v_cvt_f64_f32_e32 v[116:117], v87
	s_waitcnt vmcnt(8)
	v_cvt_f64_f32_e32 v[118:119], v88
	v_cvt_f64_f32_e32 v[88:89], v89
	v_fma_f64 v[45:46], v[102:103], v[68:69], v[45:46]
	v_fma_f64 v[14:15], v[106:107], v[68:69], v[14:15]
	;; [unrolled: 1-line block ×8, first 2 shown]
	s_clause 0x1
	global_load_b128 v[56:59], v[6:7], off offset:96
	global_load_b128 v[60:63], v[6:7], off offset:112
	v_cvt_f64_f32_e32 v[6:7], v72
	v_cvt_f64_f32_e32 v[72:73], v73
	v_fma_f64 v[45:46], -v[106:107], v[70:71], v[45:46]
	v_fma_f64 v[14:15], v[102:103], v[70:71], v[14:15]
	v_fma_f64 v[98:99], -v[110:111], v[70:71], v[98:99]
	v_fma_f64 v[100:101], v[108:109], v[70:71], v[100:101]
	;; [unrolled: 2-line block ×4, first 2 shown]
	v_add_co_u32 v94, vcc_lo, 0x4000, v12
	v_add_co_ci_u32_e32 v95, vcc_lo, 0, v13, vcc_lo
	v_subrev_nc_u32_e32 v122, s12, v124
	v_cvt_f64_f32_e32 v[106:107], v84
	v_cvt_f64_f32_e32 v[108:109], v85
	;; [unrolled: 1-line block ×5, first 2 shown]
	v_lshlrev_b32_e32 v84, 2, v122
	s_delay_alu instid0(VALU_DEP_1)
	v_ashrrev_i32_e32 v85, 31, v84
	v_fma_f64 v[45:46], v[6:7], v[80:81], v[45:46]
	v_fma_f64 v[14:15], v[72:73], v[80:81], v[14:15]
	;; [unrolled: 1-line block ×8, first 2 shown]
	s_clause 0x1
	global_load_b128 v[64:67], v[94:95], off
	global_load_b128 v[68:71], v[94:95], off offset:16
	v_fma_f64 v[45:46], -v[72:73], v[82:83], v[45:46]
	v_fma_f64 v[6:7], v[6:7], v[82:83], v[14:15]
	v_fma_f64 v[14:15], -v[74:75], v[82:83], v[96:97]
	v_fma_f64 v[86:87], v[104:105], v[82:83], v[98:99]
	;; [unrolled: 2-line block ×4, first 2 shown]
	v_lshlrev_b64 v[72:73], 4, v[84:85]
	s_delay_alu instid0(VALU_DEP_1) | instskip(NEXT) | instid1(VALU_DEP_2)
	v_add_co_u32 v100, vcc_lo, s4, v72
	v_add_co_ci_u32_e32 v101, vcc_lo, s5, v73, vcc_lo
	s_clause 0x1
	global_load_b128 v[72:75], v[100:101], off
	global_load_b128 v[76:79], v[100:101], off offset:16
	s_waitcnt vmcnt(13)
	v_fma_f64 v[45:46], v[106:107], v[0:1], v[45:46]
	v_fma_f64 v[6:7], v[108:109], v[0:1], v[6:7]
	;; [unrolled: 1-line block ×8, first 2 shown]
	s_clause 0x1
	global_load_b128 v[80:83], v[94:95], off offset:32
	global_load_b128 v[84:87], v[94:95], off offset:48
	s_waitcnt vmcnt(14)
	v_cvt_f64_f32_e32 v[104:105], v25
	v_cvt_f64_f32_e32 v[112:113], v26
	v_cvt_f64_f32_e32 v[114:115], v27
	v_cvt_f64_f32_e32 v[122:123], v28
	s_waitcnt vmcnt(13)
	v_cvt_f64_f32_e32 v[124:125], v29
	v_cvt_f64_f32_e32 v[29:30], v30
	;; [unrolled: 1-line block ×4, first 2 shown]
	v_fma_f64 v[25:26], -v[108:109], v[2:3], v[45:46]
	v_fma_f64 v[6:7], v[106:107], v[2:3], v[6:7]
	v_fma_f64 v[14:15], -v[116:117], v[2:3], v[14:15]
	v_fma_f64 v[27:28], v[110:111], v[2:3], v[102:103]
	;; [unrolled: 2-line block ×4, first 2 shown]
	s_waitcnt vmcnt(12)
	v_fma_f64 v[92:93], v[104:105], v[33:34], v[25:26]
	v_fma_f64 v[6:7], v[112:113], v[33:34], v[6:7]
	;; [unrolled: 1-line block ×8, first 2 shown]
	s_clause 0x1
	global_load_b128 v[0:3], v[94:95], off offset:64
	global_load_b128 v[25:28], v[94:95], off offset:80
	s_waitcnt vmcnt(13)
	v_cvt_f64_f32_e32 v[98:99], v37
	v_cvt_f64_f32_e32 v[102:103], v38
	;; [unrolled: 1-line block ×4, first 2 shown]
	s_waitcnt vmcnt(12)
	v_cvt_f64_f32_e32 v[110:111], v41
	v_cvt_f64_f32_e32 v[41:42], v42
	;; [unrolled: 1-line block ×4, first 2 shown]
	v_fma_f64 v[37:38], -v[112:113], v[35:36], v[92:93]
	v_fma_f64 v[6:7], v[104:105], v[35:36], v[6:7]
	v_fma_f64 v[14:15], -v[122:123], v[35:36], v[14:15]
	v_fma_f64 v[39:40], v[114:115], v[35:36], v[96:97]
	;; [unrolled: 2-line block ×4, first 2 shown]
	global_load_b128 v[29:32], v[100:101], off offset:32
	v_subrev_nc_u32_e32 v122, s12, v128
	s_waitcnt vmcnt(12)
	v_fma_f64 v[92:93], v[98:99], v[48:49], v[37:38]
	v_fma_f64 v[6:7], v[102:103], v[48:49], v[6:7]
	;; [unrolled: 1-line block ×8, first 2 shown]
	s_clause 0x1
	global_load_b128 v[33:36], v[94:95], off offset:96
	global_load_b128 v[37:40], v[94:95], off offset:112
	s_waitcnt vmcnt(12)
	v_cvt_f64_f32_e32 v[94:95], v56
	v_cvt_f64_f32_e32 v[104:105], v57
	v_cvt_f64_f32_e32 v[112:113], v58
	v_cvt_f64_f32_e32 v[114:115], v59
	s_waitcnt vmcnt(11)
	v_cvt_f64_f32_e32 v[118:119], v60
	v_cvt_f64_f32_e32 v[60:61], v61
	;; [unrolled: 1-line block ×4, first 2 shown]
	v_fma_f64 v[56:57], -v[102:103], v[50:51], v[92:93]
	v_fma_f64 v[6:7], v[98:99], v[50:51], v[6:7]
	v_fma_f64 v[14:15], -v[108:109], v[50:51], v[14:15]
	v_fma_f64 v[58:59], v[106:107], v[50:51], v[96:97]
	v_fma_f64 v[45:46], -v[41:42], v[50:51], v[45:46]
	v_fma_f64 v[88:89], v[110:111], v[50:51], v[88:89]
	v_fma_f64 v[90:91], -v[43:44], v[50:51], v[90:91]
	v_fma_f64 v[48:49], v[116:117], v[50:51], v[48:49]
	global_load_b128 v[41:44], v[100:101], off offset:48
	v_add_co_u32 v92, vcc_lo, 0x6000, v12
	v_add_co_ci_u32_e32 v93, vcc_lo, 0, v13, vcc_lo
	v_add_co_u32 v12, s0, 0x8000, v12
	s_delay_alu instid0(VALU_DEP_1)
	v_add_co_ci_u32_e64 v13, s0, 0, v13, s0
	v_fma_f64 v[96:97], v[94:95], v[52:53], v[56:57]
	v_fma_f64 v[6:7], v[104:105], v[52:53], v[6:7]
	;; [unrolled: 1-line block ×8, first 2 shown]
	s_clause 0x1
	global_load_b128 v[48:51], v[92:93], off
	global_load_b128 v[56:59], v[92:93], off offset:16
	s_waitcnt vmcnt(13)
	v_cvt_f64_f32_e32 v[100:101], v64
	v_lshlrev_b32_e32 v64, 2, v122
	v_cvt_f64_f32_e32 v[102:103], v65
	v_cvt_f64_f32_e32 v[106:107], v66
	v_cvt_f64_f32_e32 v[108:109], v67
	s_waitcnt vmcnt(12)
	v_cvt_f64_f32_e32 v[110:111], v68
	v_cvt_f64_f32_e32 v[68:69], v69
	;; [unrolled: 1-line block ×4, first 2 shown]
	v_ashrrev_i32_e32 v65, 31, v64
	v_fma_f64 v[66:67], -v[104:105], v[54:55], v[96:97]
	v_fma_f64 v[6:7], v[94:95], v[54:55], v[6:7]
	v_fma_f64 v[14:15], -v[114:115], v[54:55], v[14:15]
	v_fma_f64 v[94:95], v[112:113], v[54:55], v[98:99]
	;; [unrolled: 2-line block ×4, first 2 shown]
	v_lshlrev_b64 v[52:53], 4, v[64:65]
	s_delay_alu instid0(VALU_DEP_1) | instskip(NEXT) | instid1(VALU_DEP_2)
	v_add_co_u32 v90, vcc_lo, s4, v52
	v_add_co_ci_u32_e32 v91, vcc_lo, s5, v53, vcc_lo
	v_add_co_u32 v8, vcc_lo, 0x100, v8
	v_add_co_ci_u32_e32 v9, vcc_lo, 0, v9, vcc_lo
	global_load_b128 v[52:55], v[90:91], off
	v_add_co_u32 v4, vcc_lo, 0x400, v4
	v_add_co_ci_u32_e32 v5, vcc_lo, 0, v5, vcc_lo
	v_cmp_ge_i64_e32 vcc_lo, v[8:9], v[10:11]
	s_or_b32 s7, vcc_lo, s7
	s_waitcnt vmcnt(12)
	v_fma_f64 v[96:97], v[100:101], v[72:73], v[66:67]
	v_fma_f64 v[6:7], v[102:103], v[72:73], v[6:7]
	;; [unrolled: 1-line block ×8, first 2 shown]
	s_clause 0x1
	global_load_b128 v[60:63], v[92:93], off offset:32
	global_load_b128 v[64:67], v[92:93], off offset:48
	s_waitcnt vmcnt(12)
	v_cvt_f64_f32_e32 v[88:89], v80
	v_cvt_f64_f32_e32 v[112:113], v81
	;; [unrolled: 1-line block ×4, first 2 shown]
	s_waitcnt vmcnt(11)
	v_cvt_f64_f32_e32 v[120:121], v84
	v_cvt_f64_f32_e32 v[84:85], v85
	;; [unrolled: 1-line block ×4, first 2 shown]
	v_fma_f64 v[80:81], -v[102:103], v[74:75], v[96:97]
	v_fma_f64 v[6:7], v[100:101], v[74:75], v[6:7]
	v_fma_f64 v[14:15], -v[108:109], v[74:75], v[14:15]
	v_fma_f64 v[82:83], v[106:107], v[74:75], v[94:95]
	;; [unrolled: 2-line block ×4, first 2 shown]
	global_load_b128 v[68:71], v[90:91], off offset:16
	v_fma_f64 v[98:99], v[88:89], v[76:77], v[80:81]
	v_fma_f64 v[6:7], v[112:113], v[76:77], v[6:7]
	;; [unrolled: 1-line block ×8, first 2 shown]
	s_clause 0x1
	global_load_b128 v[72:75], v[92:93], off offset:64
	global_load_b128 v[80:83], v[92:93], off offset:80
	s_waitcnt vmcnt(13)
	v_cvt_f64_f32_e32 v[102:103], v0
	v_cvt_f64_f32_e32 v[104:105], v1
	;; [unrolled: 1-line block ×4, first 2 shown]
	s_waitcnt vmcnt(12)
	v_cvt_f64_f32_e32 v[110:111], v25
	v_cvt_f64_f32_e32 v[116:117], v26
	;; [unrolled: 1-line block ×4, first 2 shown]
	global_load_b128 v[0:3], v[90:91], off offset:32
	v_fma_f64 v[25:26], -v[112:113], v[78:79], v[98:99]
	v_fma_f64 v[6:7], v[88:89], v[78:79], v[6:7]
	v_fma_f64 v[14:15], -v[118:119], v[78:79], v[14:15]
	v_fma_f64 v[27:28], v[114:115], v[78:79], v[100:101]
	;; [unrolled: 2-line block ×4, first 2 shown]
	s_waitcnt vmcnt(12)
	v_fma_f64 v[88:89], v[102:103], v[29:30], v[25:26]
	v_fma_f64 v[6:7], v[104:105], v[29:30], v[6:7]
	v_fma_f64 v[14:15], v[106:107], v[29:30], v[14:15]
	v_fma_f64 v[94:95], v[108:109], v[29:30], v[27:28]
	v_fma_f64 v[45:46], v[110:111], v[29:30], v[45:46]
	v_fma_f64 v[84:85], v[116:117], v[29:30], v[84:85]
	v_fma_f64 v[86:87], v[124:125], v[29:30], v[86:87]
	v_fma_f64 v[29:30], v[126:127], v[29:30], v[76:77]
	s_clause 0x1
	global_load_b128 v[25:28], v[92:93], off offset:96
	global_load_b128 v[76:79], v[92:93], off offset:112
	s_waitcnt vmcnt(13)
	v_cvt_f64_f32_e32 v[92:93], v33
	v_cvt_f64_f32_e32 v[33:34], v34
	;; [unrolled: 1-line block ×4, first 2 shown]
	s_waitcnt vmcnt(12)
	v_cvt_f64_f32_e32 v[98:99], v37
	v_cvt_f64_f32_e32 v[37:38], v38
	;; [unrolled: 1-line block ×4, first 2 shown]
	v_fma_f64 v[88:89], -v[104:105], v[31:32], v[88:89]
	v_fma_f64 v[6:7], v[102:103], v[31:32], v[6:7]
	v_fma_f64 v[14:15], -v[108:109], v[31:32], v[14:15]
	v_fma_f64 v[94:95], v[106:107], v[31:32], v[94:95]
	;; [unrolled: 2-line block ×4, first 2 shown]
	global_load_b128 v[29:32], v[90:91], off offset:48
	s_waitcnt vmcnt(12)
	v_fma_f64 v[88:89], v[92:93], v[41:42], v[88:89]
	v_fma_f64 v[6:7], v[33:34], v[41:42], v[6:7]
	v_fma_f64 v[14:15], v[96:97], v[41:42], v[14:15]
	v_fma_f64 v[90:91], v[35:36], v[41:42], v[94:95]
	v_fma_f64 v[45:46], v[98:99], v[41:42], v[45:46]
	v_fma_f64 v[84:85], v[37:38], v[41:42], v[84:85]
	v_fma_f64 v[86:87], v[100:101], v[41:42], v[86:87]
	v_fma_f64 v[41:42], v[39:40], v[41:42], v[102:103]
	s_waitcnt vmcnt(11)
	v_cvt_f64_f32_e32 v[94:95], v48
	v_cvt_f64_f32_e32 v[48:49], v49
	v_cvt_f64_f32_e32 v[102:103], v50
	v_cvt_f64_f32_e32 v[50:51], v51
	s_waitcnt vmcnt(10)
	v_cvt_f64_f32_e32 v[104:105], v56
	v_cvt_f64_f32_e32 v[56:57], v57
	v_cvt_f64_f32_e32 v[106:107], v58
	v_cvt_f64_f32_e32 v[58:59], v59
	v_fma_f64 v[33:34], -v[33:34], v[43:44], v[88:89]
	v_fma_f64 v[6:7], v[92:93], v[43:44], v[6:7]
	v_fma_f64 v[14:15], -v[35:36], v[43:44], v[14:15]
	v_fma_f64 v[35:36], v[96:97], v[43:44], v[90:91]
	v_fma_f64 v[37:38], -v[37:38], v[43:44], v[45:46]
	v_fma_f64 v[45:46], v[98:99], v[43:44], v[84:85]
	v_fma_f64 v[39:40], -v[39:40], v[43:44], v[86:87]
	v_fma_f64 v[41:42], v[100:101], v[43:44], v[41:42]
	s_waitcnt vmcnt(9)
	v_fma_f64 v[33:34], v[94:95], v[52:53], v[33:34]
	v_fma_f64 v[6:7], v[48:49], v[52:53], v[6:7]
	v_fma_f64 v[14:15], v[102:103], v[52:53], v[14:15]
	v_fma_f64 v[35:36], v[50:51], v[52:53], v[35:36]
	v_fma_f64 v[37:38], v[104:105], v[52:53], v[37:38]
	v_fma_f64 v[43:44], v[56:57], v[52:53], v[45:46]
	v_fma_f64 v[39:40], v[106:107], v[52:53], v[39:40]
	v_fma_f64 v[41:42], v[58:59], v[52:53], v[41:42]
	s_waitcnt vmcnt(8)
	v_cvt_f64_f32_e32 v[45:46], v60
	v_cvt_f64_f32_e32 v[52:53], v61
	v_cvt_f64_f32_e32 v[60:61], v62
	v_cvt_f64_f32_e32 v[62:63], v63
	s_waitcnt vmcnt(7)
	v_cvt_f64_f32_e32 v[84:85], v64
	v_cvt_f64_f32_e32 v[64:65], v65
	v_cvt_f64_f32_e32 v[86:87], v66
	v_cvt_f64_f32_e32 v[66:67], v67
	v_fma_f64 v[33:34], -v[48:49], v[54:55], v[33:34]
	v_fma_f64 v[6:7], v[94:95], v[54:55], v[6:7]
	v_fma_f64 v[14:15], -v[50:51], v[54:55], v[14:15]
	v_fma_f64 v[35:36], v[102:103], v[54:55], v[35:36]
	v_fma_f64 v[37:38], -v[56:57], v[54:55], v[37:38]
	v_fma_f64 v[43:44], v[104:105], v[54:55], v[43:44]
	v_fma_f64 v[39:40], -v[58:59], v[54:55], v[39:40]
	v_fma_f64 v[41:42], v[106:107], v[54:55], v[41:42]
	;; [unrolled: 27-line block ×4, first 2 shown]
	s_waitcnt vmcnt(0)
	v_fma_f64 v[2:3], v[41:42], v[29:30], v[33:34]
	v_fma_f64 v[6:7], v[25:26], v[29:30], v[6:7]
	v_fma_f64 v[33:34], v[45:46], v[29:30], v[14:15]
	v_fma_f64 v[48:49], v[27:28], v[29:30], v[35:36]
	v_fma_f64 v[37:38], v[52:53], v[29:30], v[37:38]
	v_fma_f64 v[43:44], v[60:61], v[29:30], v[43:44]
	v_fma_f64 v[39:40], v[62:63], v[29:30], v[39:40]
	v_fma_f64 v[0:1], v[64:65], v[29:30], v[0:1]
	v_fma_f64 v[29:30], -v[25:26], v[31:32], v[2:3]
	v_fma_f64 v[14:15], v[41:42], v[31:32], v[6:7]
	v_fma_f64 v[35:36], -v[27:28], v[31:32], v[33:34]
	v_fma_f64 v[27:28], v[45:46], v[31:32], v[48:49]
	;; [unrolled: 2-line block ×4, first 2 shown]
	s_and_not1_b32 exec_lo, exec_lo, s7
	s_cbranch_execnz .LBB174_35
; %bb.36:
	s_or_b32 exec_lo, exec_lo, s7
.LBB174_37:
	s_delay_alu instid0(SALU_CYCLE_1)
	s_or_b32 exec_lo, exec_lo, s6
.LBB174_38:
	s_delay_alu instid0(SALU_CYCLE_1)
	s_or_b32 exec_lo, exec_lo, s1
.LBB174_39:
	v_mbcnt_lo_u32_b32 v41, -1, 0
	s_delay_alu instid0(VALU_DEP_1) | instskip(NEXT) | instid1(VALU_DEP_1)
	v_or_b32_e32 v0, 32, v41
	v_cmp_gt_i32_e32 vcc_lo, 32, v0
	v_cndmask_b32_e32 v0, v41, v0, vcc_lo
	s_delay_alu instid0(VALU_DEP_1)
	v_lshlrev_b32_e32 v40, 2, v0
	ds_bpermute_b32 v12, v40, v25
	ds_bpermute_b32 v13, v40, v26
	s_waitcnt lgkmcnt(0)
	v_add_f64 v[12:13], v[25:26], v[12:13]
	v_xor_b32_e32 v25, 16, v41
	s_delay_alu instid0(VALU_DEP_1)
	v_cmp_gt_i32_e32 vcc_lo, 32, v25
	v_cndmask_b32_e32 v25, v41, v25, vcc_lo
	ds_bpermute_b32 v0, v40, v29
	ds_bpermute_b32 v1, v40, v30
	;; [unrolled: 1-line block ×14, first 2 shown]
	s_waitcnt lgkmcnt(12)
	v_add_f64 v[0:1], v[29:30], v[0:1]
	s_waitcnt lgkmcnt(10)
	v_add_f64 v[2:3], v[14:15], v[2:3]
	;; [unrolled: 2-line block ×7, first 2 shown]
	v_lshlrev_b32_e32 v40, 2, v25
	ds_bpermute_b32 v37, v40, v12
	ds_bpermute_b32 v38, v40, v13
	;; [unrolled: 1-line block ×16, first 2 shown]
	s_waitcnt lgkmcnt(14)
	v_add_f64 v[12:13], v[12:13], v[37:38]
	s_waitcnt lgkmcnt(12)
	v_add_f64 v[0:1], v[0:1], v[25:26]
	v_xor_b32_e32 v25, 8, v41
	s_waitcnt lgkmcnt(10)
	v_add_f64 v[2:3], v[2:3], v[27:28]
	s_waitcnt lgkmcnt(8)
	v_add_f64 v[4:5], v[4:5], v[29:30]
	;; [unrolled: 2-line block ×3, first 2 shown]
	v_cmp_gt_i32_e32 vcc_lo, 32, v25
	s_waitcnt lgkmcnt(4)
	v_add_f64 v[8:9], v[8:9], v[33:34]
	s_waitcnt lgkmcnt(2)
	v_add_f64 v[10:11], v[10:11], v[35:36]
	;; [unrolled: 2-line block ×3, first 2 shown]
	v_cndmask_b32_e32 v25, v41, v25, vcc_lo
	s_delay_alu instid0(VALU_DEP_1)
	v_lshlrev_b32_e32 v40, 2, v25
	ds_bpermute_b32 v37, v40, v12
	ds_bpermute_b32 v38, v40, v13
	ds_bpermute_b32 v25, v40, v0
	ds_bpermute_b32 v26, v40, v1
	ds_bpermute_b32 v27, v40, v2
	ds_bpermute_b32 v28, v40, v3
	ds_bpermute_b32 v29, v40, v4
	ds_bpermute_b32 v30, v40, v5
	ds_bpermute_b32 v31, v40, v6
	ds_bpermute_b32 v32, v40, v7
	ds_bpermute_b32 v33, v40, v8
	ds_bpermute_b32 v34, v40, v9
	ds_bpermute_b32 v35, v40, v10
	ds_bpermute_b32 v36, v40, v11
	ds_bpermute_b32 v39, v40, v14
	ds_bpermute_b32 v40, v40, v15
	s_waitcnt lgkmcnt(14)
	v_add_f64 v[12:13], v[12:13], v[37:38]
	s_waitcnt lgkmcnt(12)
	v_add_f64 v[0:1], v[0:1], v[25:26]
	v_xor_b32_e32 v25, 4, v41
	s_waitcnt lgkmcnt(10)
	v_add_f64 v[2:3], v[2:3], v[27:28]
	s_waitcnt lgkmcnt(8)
	v_add_f64 v[4:5], v[4:5], v[29:30]
	;; [unrolled: 2-line block ×3, first 2 shown]
	v_cmp_gt_i32_e32 vcc_lo, 32, v25
	s_waitcnt lgkmcnt(4)
	v_add_f64 v[8:9], v[8:9], v[33:34]
	s_waitcnt lgkmcnt(2)
	v_add_f64 v[10:11], v[10:11], v[35:36]
	;; [unrolled: 2-line block ×3, first 2 shown]
	v_cndmask_b32_e32 v25, v41, v25, vcc_lo
	s_delay_alu instid0(VALU_DEP_1)
	v_lshlrev_b32_e32 v40, 2, v25
	ds_bpermute_b32 v37, v40, v12
	ds_bpermute_b32 v38, v40, v13
	;; [unrolled: 1-line block ×16, first 2 shown]
	s_waitcnt lgkmcnt(14)
	v_add_f64 v[12:13], v[12:13], v[37:38]
	s_waitcnt lgkmcnt(12)
	v_add_f64 v[0:1], v[0:1], v[25:26]
	;; [unrolled: 2-line block ×8, first 2 shown]
	v_xor_b32_e32 v14, 2, v41
	s_delay_alu instid0(VALU_DEP_1) | instskip(SKIP_1) | instid1(VALU_DEP_1)
	v_cmp_gt_i32_e32 vcc_lo, 32, v14
	v_cndmask_b32_e32 v14, v41, v14, vcc_lo
	v_lshlrev_b32_e32 v40, 2, v14
	ds_bpermute_b32 v37, v40, v12
	ds_bpermute_b32 v38, v40, v13
	;; [unrolled: 1-line block ×16, first 2 shown]
	s_waitcnt lgkmcnt(12)
	v_add_f64 v[0:1], v[0:1], v[14:15]
	s_waitcnt lgkmcnt(10)
	v_add_f64 v[27:28], v[2:3], v[27:28]
	;; [unrolled: 2-line block ×4, first 2 shown]
	v_add_f64 v[6:7], v[12:13], v[37:38]
	s_waitcnt lgkmcnt(4)
	v_add_f64 v[4:5], v[8:9], v[33:34]
	v_xor_b32_e32 v12, 1, v41
	s_waitcnt lgkmcnt(2)
	v_add_f64 v[10:11], v[10:11], v[35:36]
	s_waitcnt lgkmcnt(0)
	v_add_f64 v[8:9], v[25:26], v[39:40]
	v_cmp_gt_i32_e32 vcc_lo, 32, v12
	v_cndmask_b32_e32 v12, v41, v12, vcc_lo
	v_cmp_eq_u32_e32 vcc_lo, 63, v47
	s_delay_alu instid0(VALU_DEP_2)
	v_lshlrev_b32_e32 v34, 2, v12
	ds_bpermute_b32 v12, v34, v0
	ds_bpermute_b32 v13, v34, v1
	;; [unrolled: 1-line block ×16, first 2 shown]
	s_and_b32 exec_lo, exec_lo, vcc_lo
	s_cbranch_execz .LBB174_12
; %bb.40:
	s_waitcnt lgkmcnt(12)
	v_add_f64 v[27:28], v[27:28], v[39:40]
	s_waitcnt lgkmcnt(8)
	v_add_f64 v[14:15], v[14:15], v[37:38]
	s_waitcnt lgkmcnt(4)
	v_add_f64 v[10:11], v[10:11], v[35:36]
	s_waitcnt lgkmcnt(0)
	v_add_f64 v[8:9], v[8:9], v[33:34]
	v_add_f64 v[0:1], v[0:1], v[12:13]
	v_add_f64 v[2:3], v[2:3], v[25:26]
	;; [unrolled: 1-line block ×4, first 2 shown]
	v_cmp_eq_f64_e32 vcc_lo, 0, v[16:17]
	v_cmp_eq_f64_e64 s0, 0, v[18:19]
	s_load_b64 s[2:3], s[2:3], 0x60
	v_mul_f64 v[4:5], v[27:28], -v[22:23]
	v_mul_f64 v[6:7], v[20:21], v[27:28]
	v_mul_f64 v[27:28], v[14:15], -v[22:23]
	v_mul_f64 v[31:32], v[20:21], v[14:15]
	v_mul_f64 v[33:34], v[10:11], -v[22:23]
	v_mul_f64 v[35:36], v[20:21], v[10:11]
	v_mul_f64 v[37:38], v[8:9], -v[22:23]
	v_mul_f64 v[39:40], v[20:21], v[8:9]
	s_and_b32 s0, vcc_lo, s0
	v_fma_f64 v[12:13], v[20:21], v[0:1], v[4:5]
	v_fma_f64 v[14:15], v[22:23], v[0:1], v[6:7]
	;; [unrolled: 1-line block ×8, first 2 shown]
	v_lshlrev_b32_e32 v20, 2, v24
	s_and_saveexec_b32 s1, s0
	s_delay_alu instid0(SALU_CYCLE_1)
	s_xor_b32 s0, exec_lo, s1
	s_cbranch_execz .LBB174_42
; %bb.41:
	s_delay_alu instid0(VALU_DEP_1) | instskip(NEXT) | instid1(VALU_DEP_1)
	v_ashrrev_i32_e32 v21, 31, v20
                                        ; implicit-def: $vgpr18_vgpr19
	v_lshlrev_b64 v[16:17], 4, v[20:21]
                                        ; implicit-def: $vgpr20
	s_waitcnt lgkmcnt(0)
	s_delay_alu instid0(VALU_DEP_1) | instskip(NEXT) | instid1(VALU_DEP_2)
	v_add_co_u32 v16, vcc_lo, s2, v16
	v_add_co_ci_u32_e32 v17, vcc_lo, s3, v17, vcc_lo
	s_clause 0x3
	global_store_b128 v[16:17], v[12:15], off
	global_store_b128 v[16:17], v[8:11], off offset:16
	global_store_b128 v[16:17], v[4:7], off offset:32
	;; [unrolled: 1-line block ×3, first 2 shown]
                                        ; implicit-def: $vgpr16_vgpr17
                                        ; implicit-def: $vgpr12_vgpr13
                                        ; implicit-def: $vgpr8_vgpr9
                                        ; implicit-def: $vgpr4_vgpr5
                                        ; implicit-def: $vgpr0_vgpr1
.LBB174_42:
	s_and_not1_saveexec_b32 s0, s0
	s_cbranch_execz .LBB174_12
; %bb.43:
	v_ashrrev_i32_e32 v21, 31, v20
	s_delay_alu instid0(VALU_DEP_1) | instskip(SKIP_1) | instid1(VALU_DEP_1)
	v_lshlrev_b64 v[20:21], 4, v[20:21]
	s_waitcnt lgkmcnt(0)
	v_add_co_u32 v36, vcc_lo, s2, v20
	s_delay_alu instid0(VALU_DEP_2)
	v_add_co_ci_u32_e32 v37, vcc_lo, s3, v21, vcc_lo
	s_clause 0x3
	global_load_b128 v[20:23], v[36:37], off
	global_load_b128 v[24:27], v[36:37], off offset:16
	global_load_b128 v[28:31], v[36:37], off offset:32
	;; [unrolled: 1-line block ×3, first 2 shown]
	s_waitcnt vmcnt(3)
	v_fma_f64 v[12:13], v[16:17], v[20:21], v[12:13]
	v_fma_f64 v[14:15], v[18:19], v[20:21], v[14:15]
	s_waitcnt vmcnt(2)
	v_fma_f64 v[8:9], v[16:17], v[24:25], v[8:9]
	v_fma_f64 v[10:11], v[18:19], v[24:25], v[10:11]
	s_waitcnt vmcnt(1)
	v_fma_f64 v[20:21], v[16:17], v[28:29], v[4:5]
	v_fma_f64 v[24:25], v[18:19], v[28:29], v[6:7]
	s_waitcnt vmcnt(0)
	v_fma_f64 v[28:29], v[16:17], v[32:33], v[0:1]
	v_fma_f64 v[32:33], v[18:19], v[32:33], v[2:3]
	v_fma_f64 v[0:1], -v[18:19], v[22:23], v[12:13]
	v_fma_f64 v[2:3], v[16:17], v[22:23], v[14:15]
	v_fma_f64 v[4:5], -v[18:19], v[26:27], v[8:9]
	v_fma_f64 v[6:7], v[16:17], v[26:27], v[10:11]
	;; [unrolled: 2-line block ×4, first 2 shown]
	s_clause 0x3
	global_store_b128 v[36:37], v[0:3], off
	global_store_b128 v[36:37], v[4:7], off offset:16
	global_store_b128 v[36:37], v[8:11], off offset:32
	;; [unrolled: 1-line block ×3, first 2 shown]
	s_nop 0
	s_sendmsg sendmsg(MSG_DEALLOC_VGPRS)
	s_endpgm
	.section	.rodata,"a",@progbits
	.p2align	6, 0x0
	.amdhsa_kernel _ZN9rocsparseL18bsrxmvn_4x4_kernelILj128ELj64E21rocsparse_complex_numIdEliS1_IfES2_S2_EEvT3_20rocsparse_direction_NS_24const_host_device_scalarIT1_EES4_PKS4_PKT2_SD_SA_PKT4_PKT5_S8_PT6_21rocsparse_index_base_b
		.amdhsa_group_segment_fixed_size 2048
		.amdhsa_private_segment_fixed_size 0
		.amdhsa_kernarg_size 112
		.amdhsa_user_sgpr_count 15
		.amdhsa_user_sgpr_dispatch_ptr 1
		.amdhsa_user_sgpr_queue_ptr 0
		.amdhsa_user_sgpr_kernarg_segment_ptr 1
		.amdhsa_user_sgpr_dispatch_id 0
		.amdhsa_user_sgpr_private_segment_size 0
		.amdhsa_wavefront_size32 1
		.amdhsa_uses_dynamic_stack 0
		.amdhsa_enable_private_segment 0
		.amdhsa_system_sgpr_workgroup_id_x 1
		.amdhsa_system_sgpr_workgroup_id_y 0
		.amdhsa_system_sgpr_workgroup_id_z 0
		.amdhsa_system_sgpr_workgroup_info 0
		.amdhsa_system_vgpr_workitem_id 2
		.amdhsa_next_free_vgpr 137
		.amdhsa_next_free_sgpr 18
		.amdhsa_reserve_vcc 1
		.amdhsa_float_round_mode_32 0
		.amdhsa_float_round_mode_16_64 0
		.amdhsa_float_denorm_mode_32 3
		.amdhsa_float_denorm_mode_16_64 3
		.amdhsa_dx10_clamp 1
		.amdhsa_ieee_mode 1
		.amdhsa_fp16_overflow 0
		.amdhsa_workgroup_processor_mode 1
		.amdhsa_memory_ordered 1
		.amdhsa_forward_progress 0
		.amdhsa_shared_vgpr_count 0
		.amdhsa_exception_fp_ieee_invalid_op 0
		.amdhsa_exception_fp_denorm_src 0
		.amdhsa_exception_fp_ieee_div_zero 0
		.amdhsa_exception_fp_ieee_overflow 0
		.amdhsa_exception_fp_ieee_underflow 0
		.amdhsa_exception_fp_ieee_inexact 0
		.amdhsa_exception_int_div_zero 0
	.end_amdhsa_kernel
	.section	.text._ZN9rocsparseL18bsrxmvn_4x4_kernelILj128ELj64E21rocsparse_complex_numIdEliS1_IfES2_S2_EEvT3_20rocsparse_direction_NS_24const_host_device_scalarIT1_EES4_PKS4_PKT2_SD_SA_PKT4_PKT5_S8_PT6_21rocsparse_index_base_b,"axG",@progbits,_ZN9rocsparseL18bsrxmvn_4x4_kernelILj128ELj64E21rocsparse_complex_numIdEliS1_IfES2_S2_EEvT3_20rocsparse_direction_NS_24const_host_device_scalarIT1_EES4_PKS4_PKT2_SD_SA_PKT4_PKT5_S8_PT6_21rocsparse_index_base_b,comdat
.Lfunc_end174:
	.size	_ZN9rocsparseL18bsrxmvn_4x4_kernelILj128ELj64E21rocsparse_complex_numIdEliS1_IfES2_S2_EEvT3_20rocsparse_direction_NS_24const_host_device_scalarIT1_EES4_PKS4_PKT2_SD_SA_PKT4_PKT5_S8_PT6_21rocsparse_index_base_b, .Lfunc_end174-_ZN9rocsparseL18bsrxmvn_4x4_kernelILj128ELj64E21rocsparse_complex_numIdEliS1_IfES2_S2_EEvT3_20rocsparse_direction_NS_24const_host_device_scalarIT1_EES4_PKS4_PKT2_SD_SA_PKT4_PKT5_S8_PT6_21rocsparse_index_base_b
                                        ; -- End function
	.section	.AMDGPU.csdata,"",@progbits
; Kernel info:
; codeLenInByte = 12536
; NumSgprs: 20
; NumVgprs: 137
; ScratchSize: 0
; MemoryBound: 0
; FloatMode: 240
; IeeeMode: 1
; LDSByteSize: 2048 bytes/workgroup (compile time only)
; SGPRBlocks: 2
; VGPRBlocks: 17
; NumSGPRsForWavesPerEU: 20
; NumVGPRsForWavesPerEU: 137
; Occupancy: 10
; WaveLimiterHint : 1
; COMPUTE_PGM_RSRC2:SCRATCH_EN: 0
; COMPUTE_PGM_RSRC2:USER_SGPR: 15
; COMPUTE_PGM_RSRC2:TRAP_HANDLER: 0
; COMPUTE_PGM_RSRC2:TGID_X_EN: 1
; COMPUTE_PGM_RSRC2:TGID_Y_EN: 0
; COMPUTE_PGM_RSRC2:TGID_Z_EN: 0
; COMPUTE_PGM_RSRC2:TIDIG_COMP_CNT: 2
	.section	.text._ZN9rocsparseL18bsrxmvn_4x4_kernelILj128ELj4E21rocsparse_complex_numIdEllS1_IfES2_S2_EEvT3_20rocsparse_direction_NS_24const_host_device_scalarIT1_EES4_PKS4_PKT2_SD_SA_PKT4_PKT5_S8_PT6_21rocsparse_index_base_b,"axG",@progbits,_ZN9rocsparseL18bsrxmvn_4x4_kernelILj128ELj4E21rocsparse_complex_numIdEllS1_IfES2_S2_EEvT3_20rocsparse_direction_NS_24const_host_device_scalarIT1_EES4_PKS4_PKT2_SD_SA_PKT4_PKT5_S8_PT6_21rocsparse_index_base_b,comdat
	.globl	_ZN9rocsparseL18bsrxmvn_4x4_kernelILj128ELj4E21rocsparse_complex_numIdEllS1_IfES2_S2_EEvT3_20rocsparse_direction_NS_24const_host_device_scalarIT1_EES4_PKS4_PKT2_SD_SA_PKT4_PKT5_S8_PT6_21rocsparse_index_base_b ; -- Begin function _ZN9rocsparseL18bsrxmvn_4x4_kernelILj128ELj4E21rocsparse_complex_numIdEllS1_IfES2_S2_EEvT3_20rocsparse_direction_NS_24const_host_device_scalarIT1_EES4_PKS4_PKT2_SD_SA_PKT4_PKT5_S8_PT6_21rocsparse_index_base_b
	.p2align	8
	.type	_ZN9rocsparseL18bsrxmvn_4x4_kernelILj128ELj4E21rocsparse_complex_numIdEllS1_IfES2_S2_EEvT3_20rocsparse_direction_NS_24const_host_device_scalarIT1_EES4_PKS4_PKT2_SD_SA_PKT4_PKT5_S8_PT6_21rocsparse_index_base_b,@function
_ZN9rocsparseL18bsrxmvn_4x4_kernelILj128ELj4E21rocsparse_complex_numIdEllS1_IfES2_S2_EEvT3_20rocsparse_direction_NS_24const_host_device_scalarIT1_EES4_PKS4_PKT2_SD_SA_PKT4_PKT5_S8_PT6_21rocsparse_index_base_b: ; @_ZN9rocsparseL18bsrxmvn_4x4_kernelILj128ELj4E21rocsparse_complex_numIdEllS1_IfES2_S2_EEvT3_20rocsparse_direction_NS_24const_host_device_scalarIT1_EES4_PKS4_PKT2_SD_SA_PKT4_PKT5_S8_PT6_21rocsparse_index_base_b
; %bb.0:
	s_load_b64 s[12:13], s[2:3], 0x70
	s_load_b64 s[16:17], s[0:1], 0x4
	s_load_b128 s[8:11], s[2:3], 0x10
	v_bfe_u32 v1, v0, 10, 10
	s_mov_b64 s[0:1], src_shared_base
	s_load_b128 s[4:7], s[2:3], 0x58
	v_and_b32_e32 v2, 0x3ff, v0
	v_bfe_u32 v0, v0, 20, 10
	s_waitcnt lgkmcnt(0)
	s_bitcmp1_b32 s13, 0
	v_mul_u32_u24_e32 v1, s17, v1
	v_mov_b32_e32 v3, s8
	s_cselect_b32 s0, -1, 0
	v_mov_b32_e32 v23, s11
	s_and_b32 vcc_lo, s0, exec_lo
	s_cselect_b32 s13, s1, s9
	s_lshr_b32 s14, s16, 16
	v_dual_mov_b32 v6, s5 :: v_dual_mov_b32 v5, s4
	s_mul_i32 s14, s14, s17
	v_mov_b32_e32 v8, s13
	v_mad_u32_u24 v1, s14, v2, v1
	v_mov_b32_e32 v22, s10
	s_xor_b32 s10, s0, -1
	v_mov_b32_e32 v4, s9
	s_delay_alu instid0(VALU_DEP_3) | instskip(NEXT) | instid1(VALU_DEP_1)
	v_add_lshl_u32 v0, v1, v0, 3
	v_add_nc_u32_e32 v1, 0x400, v0
	ds_store_2addr_stride64_b64 v0, v[5:6], v[3:4] offset1:2
	v_cndmask_b32_e64 v7, s8, v1, s0
	flat_load_b64 v[20:21], v[7:8]
	s_cbranch_vccnz .LBB175_2
; %bb.1:
	v_dual_mov_b32 v3, s8 :: v_dual_mov_b32 v4, s9
	flat_load_b64 v[22:23], v[3:4] offset:8
.LBB175_2:
	s_and_b32 s8, s0, exec_lo
	s_cselect_b32 s1, s1, s5
	v_cndmask_b32_e64 v0, s4, v0, s0
	v_mov_b32_e32 v1, s1
	v_dual_mov_b32 v19, s7 :: v_dual_mov_b32 v18, s6
	s_and_not1_b32 vcc_lo, exec_lo, s10
	flat_load_b64 v[16:17], v[0:1]
	s_cbranch_vccnz .LBB175_4
; %bb.3:
	v_dual_mov_b32 v0, s4 :: v_dual_mov_b32 v1, s5
	flat_load_b64 v[18:19], v[0:1] offset:8
.LBB175_4:
	s_waitcnt vmcnt(1) lgkmcnt(1)
	v_cmp_eq_f64_e32 vcc_lo, 0, v[20:21]
	v_cmp_eq_f64_e64 s0, 0, v[22:23]
	s_delay_alu instid0(VALU_DEP_1)
	s_and_b32 s4, vcc_lo, s0
	s_mov_b32 s0, -1
	s_and_saveexec_b32 s1, s4
	s_cbranch_execz .LBB175_6
; %bb.5:
	s_waitcnt vmcnt(0) lgkmcnt(0)
	v_cmp_neq_f64_e32 vcc_lo, 1.0, v[16:17]
	v_cmp_neq_f64_e64 s0, 0, v[18:19]
	s_delay_alu instid0(VALU_DEP_1) | instskip(NEXT) | instid1(SALU_CYCLE_1)
	s_or_b32 s0, vcc_lo, s0
	s_or_not1_b32 s0, s0, exec_lo
.LBB175_6:
	s_or_b32 exec_lo, exec_lo, s1
	s_and_saveexec_b32 s1, s0
	s_cbranch_execz .LBB175_12
; %bb.7:
	s_load_b64 s[0:1], s[2:3], 0x28
	v_lshrrev_b32_e32 v0, 2, v2
	v_mov_b32_e32 v1, 0
	s_mov_b32 s4, 0
	s_delay_alu instid0(VALU_DEP_2)
	v_lshl_or_b32 v0, s15, 5, v0
	s_waitcnt lgkmcnt(0)
	s_cmp_lg_u64 s[0:1], 0
	s_cbranch_scc0 .LBB175_13
; %bb.8:
	s_load_b64 s[4:5], s[2:3], 0x20
                                        ; implicit-def: $vgpr24_vgpr25
	s_waitcnt lgkmcnt(0)
	v_cmp_gt_i64_e32 vcc_lo, s[4:5], v[0:1]
	s_mov_b32 s5, 0
	s_mov_b32 s4, 0
	s_and_saveexec_b32 s6, vcc_lo
	s_delay_alu instid0(SALU_CYCLE_1)
	s_xor_b32 s6, exec_lo, s6
                                        ; implicit-def: $sgpr14_sgpr15
	s_cbranch_execz .LBB175_10
; %bb.9:
	v_lshlrev_b64 v[3:4], 3, v[0:1]
	s_mov_b32 s4, exec_lo
	s_mov_b32 s15, 0
	s_delay_alu instid0(VALU_DEP_1) | instskip(NEXT) | instid1(VALU_DEP_2)
	v_add_co_u32 v3, vcc_lo, s0, v3
	v_add_co_ci_u32_e32 v4, vcc_lo, s1, v4, vcc_lo
	global_load_b64 v[3:4], v[3:4], off
	s_waitcnt vmcnt(0)
	v_sub_co_u32 v24, vcc_lo, v3, s12
	v_subrev_co_ci_u32_e32 v25, vcc_lo, 0, v4, vcc_lo
.LBB175_10:
	s_or_b32 exec_lo, exec_lo, s6
	s_delay_alu instid0(SALU_CYCLE_1)
	s_and_b32 vcc_lo, exec_lo, s5
	s_cbranch_vccnz .LBB175_14
.LBB175_11:
	s_and_b32 exec_lo, exec_lo, s4
	s_cbranch_execnz .LBB175_17
.LBB175_12:
	s_nop 0
	s_sendmsg sendmsg(MSG_DEALLOC_VGPRS)
	s_endpgm
.LBB175_13:
                                        ; implicit-def: $vgpr24_vgpr25
                                        ; implicit-def: $sgpr14_sgpr15
	s_cbranch_execz .LBB175_11
.LBB175_14:
	s_load_b64 s[0:1], s[2:3], 0x0
                                        ; implicit-def: $vgpr24_vgpr25
	s_waitcnt lgkmcnt(0)
	v_cmp_gt_i64_e32 vcc_lo, s[0:1], v[0:1]
	s_and_saveexec_b32 s0, vcc_lo
                                        ; implicit-def: $sgpr14_sgpr15
; %bb.15:
	v_dual_mov_b32 v25, v1 :: v_dual_mov_b32 v24, v0
	s_mov_b32 s15, 0
	s_or_b32 s4, s4, exec_lo
; %bb.16:
	s_or_b32 exec_lo, exec_lo, s0
	s_delay_alu instid0(SALU_CYCLE_1)
	s_and_b32 exec_lo, exec_lo, s4
	s_cbranch_execz .LBB175_12
.LBB175_17:
	s_load_b256 s[4:11], s[2:3], 0x30
	v_lshlrev_b64 v[0:1], 3, v[24:25]
	v_and_b32_e32 v50, 3, v2
	s_load_b32 s1, s[2:3], 0x8
	s_waitcnt lgkmcnt(0)
	s_delay_alu instid0(VALU_DEP_2) | instskip(NEXT) | instid1(VALU_DEP_3)
	v_add_co_u32 v3, vcc_lo, s4, v0
	v_add_co_ci_u32_e32 v4, vcc_lo, s5, v1, vcc_lo
	v_add_co_u32 v0, vcc_lo, s6, v0
	v_add_co_ci_u32_e32 v1, vcc_lo, s7, v1, vcc_lo
	s_delay_alu instid0(VALU_DEP_4) | instskip(NEXT) | instid1(VALU_DEP_4)
	v_add_co_u32 v5, vcc_lo, v3, 8
	v_add_co_ci_u32_e32 v6, vcc_lo, 0, v4, vcc_lo
	global_load_b64 v[40:41], v[3:4], off
	s_cmp_eq_u64 s[6:7], 0
	s_load_b64 s[4:5], s[2:3], 0x50
	s_cselect_b32 vcc_lo, -1, 0
	s_cmp_eq_u32 s1, 1
	v_dual_cndmask_b32 v1, v1, v6 :: v_dual_cndmask_b32 v0, v0, v5
	global_load_b64 v[0:1], v[0:1], off
	s_waitcnt vmcnt(1)
	v_sub_co_u32 v2, vcc_lo, v40, s12
	v_subrev_co_ci_u32_e32 v3, vcc_lo, s15, v41, vcc_lo
	s_delay_alu instid0(VALU_DEP_2) | instskip(NEXT) | instid1(VALU_DEP_2)
	v_add_co_u32 v8, vcc_lo, v2, v50
	v_add_co_ci_u32_e32 v9, vcc_lo, 0, v3, vcc_lo
	s_waitcnt vmcnt(0)
	v_sub_co_u32 v10, vcc_lo, v0, s12
	v_subrev_co_ci_u32_e32 v11, vcc_lo, s15, v1, vcc_lo
	s_delay_alu instid0(VALU_DEP_3) | instskip(NEXT) | instid1(VALU_DEP_2)
	v_lshlrev_b64 v[0:1], 7, v[8:9]
	v_cmp_lt_i64_e64 s0, v[8:9], v[10:11]
	s_delay_alu instid0(VALU_DEP_2) | instskip(NEXT) | instid1(VALU_DEP_3)
	v_add_co_u32 v12, vcc_lo, s10, v0
	v_add_co_ci_u32_e32 v13, vcc_lo, s11, v1, vcc_lo
	s_cbranch_scc1 .LBB175_29
; %bb.18:
	v_mov_b32_e32 v14, 0
	v_mov_b32_e32 v15, 0
	s_delay_alu instid0(VALU_DEP_1)
	v_dual_mov_b32 v31, v15 :: v_dual_mov_b32 v30, v14
	v_dual_mov_b32 v29, v15 :: v_dual_mov_b32 v28, v14
	;; [unrolled: 1-line block ×7, first 2 shown]
	s_and_saveexec_b32 s6, s0
	s_cbranch_execz .LBB175_28
; %bb.19:
	v_or_b32_e32 v0, 4, v50
	v_not_b32_e32 v3, v40
	v_not_b32_e32 v2, v41
	v_dual_mov_b32 v26, 0 :: v_dual_mov_b32 v43, v13
	s_delay_alu instid0(VALU_DEP_4) | instskip(NEXT) | instid1(VALU_DEP_1)
	v_sub_co_u32 v0, s1, v0, s12
	v_sub_co_ci_u32_e64 v1, null, 0, s15, s1
	v_sub_co_u32 v4, s1, s12, v50
	s_delay_alu instid0(VALU_DEP_3) | instskip(NEXT) | instid1(VALU_DEP_3)
	v_add_co_u32 v0, vcc_lo, v0, v40
	v_add_co_ci_u32_e32 v1, vcc_lo, v1, v41, vcc_lo
	v_sub_co_ci_u32_e64 v5, null, s15, 0, s1
	s_mov_b32 s10, 0
	s_delay_alu instid0(VALU_DEP_2)
	v_cmp_gt_i64_e32 vcc_lo, v[0:1], v[10:11]
	s_mov_b32 s7, exec_lo
	v_dual_mov_b32 v45, v9 :: v_dual_mov_b32 v44, v8
	v_dual_cndmask_b32 v1, v11, v1 :: v_dual_cndmask_b32 v0, v10, v0
	v_add_co_u32 v3, vcc_lo, v4, v3
	v_add_co_ci_u32_e32 v2, vcc_lo, v5, v2, vcc_lo
	s_delay_alu instid0(VALU_DEP_2) | instskip(NEXT) | instid1(VALU_DEP_2)
	v_add_co_u32 v0, vcc_lo, v3, v0
	v_add_co_ci_u32_e32 v1, vcc_lo, v2, v1, vcc_lo
	s_delay_alu instid0(VALU_DEP_2) | instskip(NEXT) | instid1(VALU_DEP_1)
	v_lshrrev_b32_e32 v2, 2, v0
	v_dual_mov_b32 v27, 0 :: v_dual_add_nc_u32 v2, 1, v2
	s_delay_alu instid0(VALU_DEP_1)
	v_dual_mov_b32 v42, v12 :: v_dual_mov_b32 v33, v27
	v_dual_mov_b32 v32, v26 :: v_dual_mov_b32 v39, v27
	;; [unrolled: 1-line block ×5, first 2 shown]
	v_dual_mov_b32 v29, v27 :: v_dual_and_b32 v2, 3, v2
	v_mov_b32_e32 v30, v26
	v_mov_b32_e32 v14, v26
	v_dual_mov_b32 v28, v26 :: v_dual_mov_b32 v15, v27
	s_delay_alu instid0(VALU_DEP_4)
	v_cmpx_ne_u32_e32 0, v2
	s_cbranch_execz .LBB175_23
; %bb.20:
	v_lshlrev_b64 v[4:5], 3, v[8:9]
	v_dual_mov_b32 v3, 0 :: v_dual_mov_b32 v14, 0
	v_dual_mov_b32 v15, 0 :: v_dual_lshlrev_b32 v2, 3, v2
	v_dual_mov_b32 v45, v9 :: v_dual_mov_b32 v44, v8
	s_delay_alu instid0(VALU_DEP_4)
	v_add_co_u32 v4, vcc_lo, s8, v4
	v_add_co_ci_u32_e32 v5, vcc_lo, s9, v5, vcc_lo
	v_dual_mov_b32 v43, v13 :: v_dual_mov_b32 v42, v12
	v_dual_mov_b32 v31, v15 :: v_dual_mov_b32 v30, v14
	;; [unrolled: 1-line block ×8, first 2 shown]
.LBB175_21:                             ; =>This Inner Loop Header: Depth=1
	global_load_b64 v[6:7], v[4:5], off
	s_clause 0x7
	global_load_b128 v[46:49], v[42:43], off
	global_load_b128 v[51:54], v[42:43], off offset:32
	global_load_b128 v[55:58], v[42:43], off offset:64
	;; [unrolled: 1-line block ×7, first 2 shown]
	v_add_co_u32 v4, s1, v4, 32
	s_delay_alu instid0(VALU_DEP_1)
	v_add_co_ci_u32_e64 v5, s1, 0, v5, s1
	s_waitcnt vmcnt(8)
	v_sub_co_u32 v6, vcc_lo, v6, s12
	v_subrev_co_ci_u32_e32 v7, vcc_lo, s15, v7, vcc_lo
	s_waitcnt vmcnt(6)
	v_cvt_f64_f32_e32 v[95:96], v51
	v_cvt_f64_f32_e32 v[51:52], v52
	s_waitcnt vmcnt(5)
	v_cvt_f64_f32_e32 v[97:98], v55
	v_lshlrev_b64 v[6:7], 6, v[6:7]
	v_cvt_f64_f32_e32 v[55:56], v56
	s_waitcnt vmcnt(4)
	v_cvt_f64_f32_e32 v[99:100], v59
	v_cvt_f64_f32_e32 v[59:60], v60
	v_cvt_f64_f32_e32 v[101:102], v53
	v_cvt_f64_f32_e32 v[53:54], v54
	s_waitcnt lgkmcnt(0)
	v_add_co_u32 v6, vcc_lo, s4, v6
	v_add_co_ci_u32_e32 v7, vcc_lo, s5, v7, vcc_lo
	v_cvt_f64_f32_e32 v[103:104], v57
	v_cvt_f64_f32_e32 v[57:58], v58
	;; [unrolled: 1-line block ×3, first 2 shown]
	s_clause 0x3
	global_load_b128 v[79:82], v[6:7], off
	global_load_b128 v[83:86], v[6:7], off offset:16
	global_load_b128 v[87:90], v[6:7], off offset:32
	;; [unrolled: 1-line block ×3, first 2 shown]
	v_cvt_f64_f32_e32 v[6:7], v46
	v_cvt_f64_f32_e32 v[46:47], v47
	;; [unrolled: 1-line block ×3, first 2 shown]
	v_add_co_u32 v42, vcc_lo, 0x200, v42
	v_add_co_ci_u32_e32 v43, vcc_lo, 0, v43, vcc_lo
	v_add_co_u32 v2, vcc_lo, v2, -8
	v_add_co_ci_u32_e32 v3, vcc_lo, -1, v3, vcc_lo
	v_add_co_u32 v44, vcc_lo, v44, 4
	v_add_co_ci_u32_e32 v45, vcc_lo, 0, v45, vcc_lo
	s_delay_alu instid0(VALU_DEP_3)
	v_cmp_eq_u64_e32 vcc_lo, 0, v[2:3]
	s_or_b32 s10, vcc_lo, s10
	s_waitcnt vmcnt(3)
	v_fma_f64 v[30:31], v[6:7], v[79:80], v[30:31]
	v_fma_f64 v[14:15], v[46:47], v[79:80], v[14:15]
	;; [unrolled: 1-line block ×8, first 2 shown]
	v_cvt_f64_f32_e32 v[79:80], v48
	v_cvt_f64_f32_e32 v[48:49], v49
	v_fma_f64 v[30:31], -v[46:47], v[81:82], v[30:31]
	v_fma_f64 v[6:7], v[6:7], v[81:82], v[14:15]
	v_fma_f64 v[14:15], -v[51:52], v[81:82], v[36:37]
	v_fma_f64 v[28:29], v[95:96], v[81:82], v[28:29]
	;; [unrolled: 2-line block ×4, first 2 shown]
	v_cvt_f64_f32_e32 v[38:39], v67
	v_cvt_f64_f32_e32 v[46:47], v68
	;; [unrolled: 1-line block ×10, first 2 shown]
	s_waitcnt vmcnt(2)
	v_fma_f64 v[30:31], v[79:80], v[83:84], v[30:31]
	v_fma_f64 v[6:7], v[48:49], v[83:84], v[6:7]
	;; [unrolled: 1-line block ×8, first 2 shown]
	v_fma_f64 v[30:31], -v[48:49], v[85:86], v[30:31]
	v_fma_f64 v[6:7], v[79:80], v[85:86], v[6:7]
	v_fma_f64 v[14:15], -v[53:54], v[85:86], v[14:15]
	v_fma_f64 v[28:29], v[101:102], v[85:86], v[28:29]
	;; [unrolled: 2-line block ×4, first 2 shown]
	v_cvt_f64_f32_e32 v[48:49], v69
	v_cvt_f64_f32_e32 v[53:54], v70
	;; [unrolled: 1-line block ×6, first 2 shown]
	s_waitcnt vmcnt(1)
	v_fma_f64 v[30:31], v[38:39], v[87:88], v[30:31]
	v_fma_f64 v[6:7], v[46:47], v[87:88], v[6:7]
	;; [unrolled: 1-line block ×8, first 2 shown]
	v_fma_f64 v[30:31], -v[46:47], v[89:90], v[30:31]
	v_fma_f64 v[6:7], v[38:39], v[89:90], v[6:7]
	v_fma_f64 v[14:15], -v[55:56], v[89:90], v[14:15]
	v_fma_f64 v[28:29], v[51:52], v[89:90], v[28:29]
	;; [unrolled: 2-line block ×4, first 2 shown]
	s_waitcnt vmcnt(0)
	v_fma_f64 v[30:31], v[48:49], v[91:92], v[30:31]
	v_fma_f64 v[6:7], v[53:54], v[91:92], v[6:7]
	;; [unrolled: 1-line block ×8, first 2 shown]
	v_fma_f64 v[30:31], -v[53:54], v[93:94], v[30:31]
	v_fma_f64 v[14:15], v[48:49], v[93:94], v[6:7]
	v_fma_f64 v[36:37], -v[61:62], v[93:94], v[38:39]
	v_fma_f64 v[28:29], v[57:58], v[93:94], v[28:29]
	v_fma_f64 v[38:39], -v[69:70], v[93:94], v[46:47]
	v_fma_f64 v[34:35], v[65:66], v[93:94], v[34:35]
	v_fma_f64 v[26:27], -v[73:74], v[93:94], v[26:27]
	v_fma_f64 v[32:33], v[75:76], v[93:94], v[32:33]
	s_and_not1_b32 exec_lo, exec_lo, s10
	s_cbranch_execnz .LBB175_21
; %bb.22:
	s_or_b32 exec_lo, exec_lo, s10
.LBB175_23:
	s_delay_alu instid0(SALU_CYCLE_1) | instskip(NEXT) | instid1(SALU_CYCLE_1)
	s_or_b32 exec_lo, exec_lo, s7
	s_mov_b32 s7, exec_lo
	v_cmpx_lt_u64_e32 11, v[0:1]
	s_cbranch_execz .LBB175_27
; %bb.24:
	v_lshlrev_b64 v[0:1], 3, v[44:45]
	s_mov_b32 s10, 0
	s_delay_alu instid0(VALU_DEP_1) | instskip(NEXT) | instid1(VALU_DEP_2)
	v_add_co_u32 v0, vcc_lo, v0, s8
	v_add_co_ci_u32_e32 v1, vcc_lo, s9, v1, vcc_lo
	s_delay_alu instid0(VALU_DEP_2) | instskip(NEXT) | instid1(VALU_DEP_2)
	v_add_co_u32 v46, vcc_lo, v0, 64
	v_add_co_ci_u32_e32 v47, vcc_lo, 0, v1, vcc_lo
.LBB175_25:                             ; =>This Inner Loop Header: Depth=1
	global_load_b64 v[48:49], v[46:47], off offset:-64
	s_clause 0x3
	global_load_b128 v[4:7], v[42:43], off
	global_load_b128 v[0:3], v[42:43], off offset:32
	global_load_b128 v[51:54], v[42:43], off offset:64
	;; [unrolled: 1-line block ×3, first 2 shown]
	s_clause 0x2
	global_load_b64 v[107:108], v[46:47], off offset:-32
	global_load_b64 v[111:112], v[46:47], off
	global_load_b64 v[113:114], v[46:47], off offset:32
	v_add_co_u32 v46, s1, 0x80, v46
	s_delay_alu instid0(VALU_DEP_1)
	v_add_co_ci_u32_e64 v47, s1, 0, v47, s1
	s_waitcnt vmcnt(7)
	v_sub_co_u32 v48, vcc_lo, v48, s12
	v_subrev_co_ci_u32_e32 v49, vcc_lo, s15, v49, vcc_lo
	s_waitcnt vmcnt(5)
	v_cvt_f64_f32_e32 v[115:116], v0
	v_cvt_f64_f32_e32 v[0:1], v1
	s_waitcnt vmcnt(4)
	v_cvt_f64_f32_e32 v[117:118], v51
	v_lshlrev_b64 v[48:49], 6, v[48:49]
	v_cvt_f64_f32_e32 v[51:52], v52
	s_waitcnt vmcnt(3)
	v_cvt_f64_f32_e32 v[119:120], v55
	v_cvt_f64_f32_e32 v[55:56], v56
	;; [unrolled: 1-line block ×4, first 2 shown]
	s_waitcnt lgkmcnt(0)
	v_add_co_u32 v48, vcc_lo, s4, v48
	v_add_co_ci_u32_e32 v49, vcc_lo, s5, v49, vcc_lo
	s_waitcnt vmcnt(2)
	v_sub_co_u32 v107, vcc_lo, v107, s12
	v_subrev_co_ci_u32_e32 v108, vcc_lo, s15, v108, vcc_lo
	s_clause 0x1
	global_load_b128 v[59:62], v[48:49], off
	global_load_b128 v[63:66], v[48:49], off offset:16
	s_clause 0x3
	global_load_b128 v[67:70], v[42:43], off offset:16
	global_load_b128 v[71:74], v[42:43], off offset:48
	;; [unrolled: 1-line block ×4, first 2 shown]
	s_clause 0x1
	global_load_b128 v[83:86], v[48:49], off offset:32
	global_load_b128 v[87:90], v[48:49], off offset:48
	s_clause 0x3
	global_load_b128 v[91:94], v[42:43], off offset:512
	global_load_b128 v[95:98], v[42:43], off offset:544
	;; [unrolled: 1-line block ×4, first 2 shown]
	v_cvt_f64_f32_e32 v[48:49], v4
	v_cvt_f64_f32_e32 v[4:5], v5
	v_lshlrev_b64 v[107:108], 6, v[107:108]
	v_cvt_f64_f32_e32 v[127:128], v3
	v_cvt_f64_f32_e32 v[129:130], v53
	;; [unrolled: 1-line block ×5, first 2 shown]
	v_add_co_u32 v121, vcc_lo, s4, v107
	v_add_co_ci_u32_e32 v122, vcc_lo, s5, v108, vcc_lo
	s_waitcnt vmcnt(13)
	v_sub_co_u32 v111, vcc_lo, v111, s12
	v_subrev_co_ci_u32_e32 v112, vcc_lo, s15, v112, vcc_lo
	global_load_b128 v[107:110], v[121:122], off
	s_waitcnt vmcnt(12)
	v_fma_f64 v[30:31], v[48:49], v[59:60], v[30:31]
	v_fma_f64 v[14:15], v[4:5], v[59:60], v[14:15]
	;; [unrolled: 1-line block ×8, first 2 shown]
	v_cvt_f64_f32_e32 v[59:60], v6
	s_waitcnt vmcnt(8)
	v_cvt_f64_f32_e32 v[133:134], v75
	v_cvt_f64_f32_e32 v[75:76], v76
	s_waitcnt vmcnt(7)
	v_cvt_f64_f32_e32 v[135:136], v79
	v_cvt_f64_f32_e32 v[79:80], v80
	v_fma_f64 v[4:5], -v[4:5], v[61:62], v[30:31]
	v_fma_f64 v[6:7], v[48:49], v[61:62], v[14:15]
	v_fma_f64 v[14:15], -v[0:1], v[61:62], v[36:37]
	global_load_b128 v[0:3], v[121:122], off offset:16
	v_fma_f64 v[28:29], v[115:116], v[61:62], v[28:29]
	v_fma_f64 v[30:31], -v[51:52], v[61:62], v[38:39]
	v_fma_f64 v[34:35], v[117:118], v[61:62], v[34:35]
	v_fma_f64 v[26:27], -v[55:56], v[61:62], v[26:27]
	v_fma_f64 v[32:33], v[119:120], v[61:62], v[32:33]
	v_cvt_f64_f32_e32 v[117:118], v67
	v_cvt_f64_f32_e32 v[67:68], v68
	;; [unrolled: 1-line block ×4, first 2 shown]
	v_fma_f64 v[38:39], v[59:60], v[63:64], v[4:5]
	v_fma_f64 v[48:49], v[123:124], v[63:64], v[6:7]
	;; [unrolled: 1-line block ×8, first 2 shown]
	s_clause 0x3
	global_load_b128 v[4:7], v[42:43], off offset:528
	global_load_b128 v[26:29], v[42:43], off offset:560
	;; [unrolled: 1-line block ×4, first 2 shown]
	v_fma_f64 v[38:39], -v[123:124], v[65:66], v[38:39]
	v_fma_f64 v[48:49], v[59:60], v[65:66], v[48:49]
	v_fma_f64 v[14:15], -v[127:128], v[65:66], v[14:15]
	v_cvt_f64_f32_e32 v[123:124], v73
	v_fma_f64 v[59:60], v[125:126], v[65:66], v[51:52]
	v_fma_f64 v[55:56], -v[53:54], v[65:66], v[55:56]
	v_fma_f64 v[61:62], v[129:130], v[65:66], v[61:62]
	v_fma_f64 v[57:58], -v[57:58], v[65:66], v[115:116]
	v_fma_f64 v[63:64], v[131:132], v[65:66], v[63:64]
	global_load_b128 v[51:54], v[121:122], off offset:32
	v_cvt_f64_f32_e32 v[115:116], v70
	v_cvt_f64_f32_e32 v[125:126], v74
	;; [unrolled: 1-line block ×6, first 2 shown]
	s_waitcnt vmcnt(8)
	v_cvt_f64_f32_e32 v[131:132], v99
	v_cvt_f64_f32_e32 v[99:100], v100
	v_fma_f64 v[38:39], v[117:118], v[83:84], v[38:39]
	v_fma_f64 v[48:49], v[67:68], v[83:84], v[48:49]
	;; [unrolled: 1-line block ×8, first 2 shown]
	v_cvt_f64_f32_e32 v[83:84], v69
	v_fma_f64 v[38:39], -v[67:68], v[85:86], v[38:39]
	v_fma_f64 v[48:49], v[117:118], v[85:86], v[48:49]
	v_fma_f64 v[14:15], -v[71:72], v[85:86], v[14:15]
	v_fma_f64 v[59:60], v[119:120], v[85:86], v[59:60]
	;; [unrolled: 2-line block ×3, first 2 shown]
	v_fma_f64 v[67:68], -v[79:80], v[85:86], v[57:58]
	global_load_b128 v[55:58], v[121:122], off offset:48
	v_fma_f64 v[63:64], v[135:136], v[85:86], v[63:64]
	v_cvt_f64_f32_e32 v[119:120], v91
	v_cvt_f64_f32_e32 v[91:92], v92
	;; [unrolled: 1-line block ×4, first 2 shown]
	s_waitcnt vmcnt(8)
	v_cvt_f64_f32_e32 v[133:134], v103
	v_cvt_f64_f32_e32 v[103:104], v104
	v_fma_f64 v[38:39], v[83:84], v[87:88], v[38:39]
	v_fma_f64 v[48:49], v[115:116], v[87:88], v[48:49]
	;; [unrolled: 1-line block ×8, first 2 shown]
	s_clause 0x3
	global_load_b128 v[59:62], v[42:43], off offset:1024
	global_load_b128 v[63:66], v[42:43], off offset:1056
	global_load_b128 v[67:70], v[42:43], off offset:1088
	global_load_b128 v[71:74], v[42:43], off offset:1120
	v_fma_f64 v[38:39], -v[115:116], v[89:90], v[38:39]
	v_fma_f64 v[48:49], v[83:84], v[89:90], v[48:49]
	v_fma_f64 v[14:15], -v[125:126], v[89:90], v[14:15]
	v_cvt_f64_f32_e32 v[115:116], v94
	v_fma_f64 v[83:84], v[123:124], v[89:90], v[75:76]
	v_fma_f64 v[79:80], -v[77:78], v[89:90], v[79:80]
	v_fma_f64 v[85:86], v[127:128], v[89:90], v[85:86]
	v_fma_f64 v[81:82], -v[81:82], v[89:90], v[117:118]
	v_lshlrev_b64 v[75:76], 6, v[111:112]
	v_fma_f64 v[87:88], v[129:130], v[89:90], v[87:88]
	v_cvt_f64_f32_e32 v[117:118], v97
	v_cvt_f64_f32_e32 v[123:124], v98
	;; [unrolled: 1-line block ×4, first 2 shown]
	v_add_co_u32 v111, vcc_lo, s4, v75
	v_add_co_ci_u32_e32 v112, vcc_lo, s5, v76, vcc_lo
	v_cvt_f64_f32_e32 v[127:128], v105
	v_cvt_f64_f32_e32 v[105:106], v106
	global_load_b128 v[75:78], v[111:112], off
	s_waitcnt vmcnt(12)
	v_fma_f64 v[38:39], v[119:120], v[107:108], v[38:39]
	v_fma_f64 v[48:49], v[91:92], v[107:108], v[48:49]
	;; [unrolled: 1-line block ×8, first 2 shown]
	v_cvt_f64_f32_e32 v[107:108], v93
	v_fma_f64 v[38:39], -v[91:92], v[109:110], v[38:39]
	v_fma_f64 v[48:49], v[119:120], v[109:110], v[48:49]
	v_fma_f64 v[14:15], -v[95:96], v[109:110], v[14:15]
	v_fma_f64 v[83:84], v[121:122], v[109:110], v[83:84]
	;; [unrolled: 2-line block ×3, first 2 shown]
	v_fma_f64 v[91:92], -v[103:104], v[109:110], v[81:82]
	global_load_b128 v[79:82], v[111:112], off offset:16
	v_fma_f64 v[87:88], v[133:134], v[109:110], v[87:88]
	s_waitcnt vmcnt(12)
	v_fma_f64 v[38:39], v[107:108], v[0:1], v[38:39]
	v_fma_f64 v[48:49], v[115:116], v[0:1], v[48:49]
	;; [unrolled: 1-line block ×8, first 2 shown]
	s_clause 0x3
	global_load_b128 v[83:86], v[42:43], off offset:1040
	global_load_b128 v[87:90], v[42:43], off offset:1072
	;; [unrolled: 1-line block ×4, first 2 shown]
	s_waitcnt vmcnt(15)
	v_cvt_f64_f32_e32 v[121:122], v4
	v_cvt_f64_f32_e32 v[4:5], v5
	s_waitcnt vmcnt(14)
	v_cvt_f64_f32_e32 v[129:130], v26
	v_cvt_f64_f32_e32 v[26:27], v27
	;; [unrolled: 3-line block ×4, first 2 shown]
	v_fma_f64 v[38:39], -v[115:116], v[2:3], v[38:39]
	v_fma_f64 v[48:49], v[107:108], v[2:3], v[48:49]
	v_fma_f64 v[14:15], -v[123:124], v[2:3], v[14:15]
	v_cvt_f64_f32_e32 v[115:116], v28
	v_fma_f64 v[99:100], v[117:118], v[2:3], v[99:100]
	v_fma_f64 v[101:102], -v[101:102], v[2:3], v[103:104]
	v_fma_f64 v[103:104], v[125:126], v[2:3], v[109:110]
	v_fma_f64 v[105:106], -v[105:106], v[2:3], v[119:120]
	v_cvt_f64_f32_e32 v[109:110], v7
	v_fma_f64 v[107:108], v[127:128], v[2:3], v[0:1]
	global_load_b128 v[0:3], v[111:112], off offset:32
	v_cvt_f64_f32_e32 v[117:118], v29
	v_cvt_f64_f32_e32 v[119:120], v32
	;; [unrolled: 1-line block ×5, first 2 shown]
	s_waitcnt vmcnt(12)
	v_fma_f64 v[38:39], v[121:122], v[51:52], v[38:39]
	v_fma_f64 v[48:49], v[4:5], v[51:52], v[48:49]
	;; [unrolled: 1-line block ×8, first 2 shown]
	v_cvt_f64_f32_e32 v[107:108], v6
	v_fma_f64 v[28:29], -v[4:5], v[53:54], v[38:39]
	global_load_b128 v[4:7], v[111:112], off offset:48
	v_fma_f64 v[32:33], v[121:122], v[53:54], v[48:49]
	v_fma_f64 v[14:15], -v[26:27], v[53:54], v[14:15]
	v_fma_f64 v[26:27], v[129:130], v[53:54], v[99:100]
	v_fma_f64 v[30:31], -v[30:31], v[53:54], v[101:102]
	;; [unrolled: 2-line block ×3, first 2 shown]
	v_fma_f64 v[38:39], v[133:134], v[53:54], v[51:52]
	s_waitcnt vmcnt(12)
	v_fma_f64 v[48:49], v[107:108], v[55:56], v[28:29]
	v_fma_f64 v[99:100], v[109:110], v[55:56], v[32:33]
	;; [unrolled: 1-line block ×7, first 2 shown]
	s_clause 0x3
	global_load_b128 v[26:29], v[42:43], off offset:1536
	global_load_b128 v[30:33], v[42:43], off offset:1568
	;; [unrolled: 1-line block ×4, first 2 shown]
	v_fma_f64 v[38:39], v[127:128], v[55:56], v[38:39]
	v_sub_co_u32 v55, vcc_lo, v113, s12
	v_subrev_co_ci_u32_e32 v56, vcc_lo, s15, v114, vcc_lo
	s_delay_alu instid0(VALU_DEP_1)
	v_lshlrev_b64 v[55:56], 6, v[55:56]
	s_waitcnt vmcnt(15)
	v_cvt_f64_f32_e32 v[121:122], v59
	v_cvt_f64_f32_e32 v[59:60], v60
	s_waitcnt vmcnt(14)
	v_cvt_f64_f32_e32 v[129:130], v63
	v_cvt_f64_f32_e32 v[63:64], v64
	;; [unrolled: 3-line block ×4, first 2 shown]
	v_cvt_f64_f32_e32 v[113:114], v62
	v_fma_f64 v[48:49], -v[109:110], v[57:58], v[48:49]
	v_add_co_u32 v109, vcc_lo, s4, v55
	v_fma_f64 v[99:100], v[107:108], v[57:58], v[99:100]
	v_fma_f64 v[14:15], -v[117:118], v[57:58], v[14:15]
	v_fma_f64 v[101:102], v[115:116], v[57:58], v[101:102]
	v_fma_f64 v[103:104], -v[123:124], v[57:58], v[103:104]
	v_fma_f64 v[105:106], v[119:120], v[57:58], v[105:106]
	v_fma_f64 v[107:108], -v[127:128], v[57:58], v[111:112]
	v_fma_f64 v[38:39], v[125:126], v[57:58], v[38:39]
	v_add_co_ci_u32_e32 v110, vcc_lo, s5, v56, vcc_lo
	v_cvt_f64_f32_e32 v[111:112], v61
	v_cvt_f64_f32_e32 v[115:116], v65
	;; [unrolled: 1-line block ×3, first 2 shown]
	global_load_b128 v[55:58], v[109:110], off
	v_cvt_f64_f32_e32 v[119:120], v69
	v_cvt_f64_f32_e32 v[123:124], v70
	;; [unrolled: 1-line block ×4, first 2 shown]
	v_add_co_u32 v44, vcc_lo, v44, 16
	v_add_co_ci_u32_e32 v45, vcc_lo, 0, v45, vcc_lo
	s_waitcnt vmcnt(12)
	v_fma_f64 v[48:49], v[121:122], v[75:76], v[48:49]
	v_fma_f64 v[99:100], v[59:60], v[75:76], v[99:100]
	;; [unrolled: 1-line block ×8, first 2 shown]
	v_fma_f64 v[48:49], -v[59:60], v[77:78], v[48:49]
	global_load_b128 v[59:62], v[109:110], off offset:16
	v_fma_f64 v[65:66], v[121:122], v[77:78], v[99:100]
	v_fma_f64 v[14:15], -v[63:64], v[77:78], v[14:15]
	v_fma_f64 v[63:64], v[129:130], v[77:78], v[101:102]
	v_fma_f64 v[67:68], -v[67:68], v[77:78], v[103:104]
	;; [unrolled: 2-line block ×3, first 2 shown]
	v_fma_f64 v[38:39], v[133:134], v[77:78], v[38:39]
	s_waitcnt vmcnt(12)
	v_fma_f64 v[48:49], v[111:112], v[79:80], v[48:49]
	v_fma_f64 v[99:100], v[113:114], v[79:80], v[65:66]
	;; [unrolled: 1-line block ×8, first 2 shown]
	s_clause 0x3
	global_load_b128 v[63:66], v[42:43], off offset:1552
	global_load_b128 v[67:70], v[42:43], off offset:1584
	;; [unrolled: 1-line block ×4, first 2 shown]
	v_add_co_u32 v42, vcc_lo, 0x800, v42
	v_add_co_ci_u32_e32 v43, vcc_lo, 0, v43, vcc_lo
	v_cmp_ge_i64_e32 vcc_lo, v[44:45], v[10:11]
	s_or_b32 s10, vcc_lo, s10
	s_waitcnt vmcnt(15)
	v_cvt_f64_f32_e32 v[121:122], v83
	v_cvt_f64_f32_e32 v[83:84], v84
	s_waitcnt vmcnt(14)
	v_cvt_f64_f32_e32 v[129:130], v87
	v_cvt_f64_f32_e32 v[87:88], v88
	s_waitcnt vmcnt(13)
	v_cvt_f64_f32_e32 v[131:132], v91
	v_cvt_f64_f32_e32 v[91:92], v92
	s_waitcnt vmcnt(12)
	v_cvt_f64_f32_e32 v[133:134], v95
	v_cvt_f64_f32_e32 v[95:96], v96
	v_fma_f64 v[48:49], -v[113:114], v[81:82], v[48:49]
	v_cvt_f64_f32_e32 v[113:114], v93
	v_cvt_f64_f32_e32 v[93:94], v94
	v_fma_f64 v[99:100], v[111:112], v[81:82], v[99:100]
	v_fma_f64 v[14:15], -v[117:118], v[81:82], v[14:15]
	v_fma_f64 v[101:102], v[115:116], v[81:82], v[101:102]
	v_fma_f64 v[103:104], -v[123:124], v[81:82], v[103:104]
	;; [unrolled: 2-line block ×3, first 2 shown]
	v_fma_f64 v[38:39], v[125:126], v[81:82], v[38:39]
	global_load_b128 v[79:82], v[109:110], off offset:32
	v_cvt_f64_f32_e32 v[111:112], v89
	v_cvt_f64_f32_e32 v[89:90], v90
	;; [unrolled: 1-line block ×4, first 2 shown]
	s_waitcnt vmcnt(12)
	v_fma_f64 v[48:49], v[121:122], v[0:1], v[48:49]
	v_fma_f64 v[99:100], v[83:84], v[0:1], v[99:100]
	;; [unrolled: 1-line block ×8, first 2 shown]
	v_cvt_f64_f32_e32 v[38:39], v85
	v_cvt_f64_f32_e32 v[85:86], v86
	v_fma_f64 v[48:49], -v[83:84], v[2:3], v[48:49]
	v_fma_f64 v[83:84], v[121:122], v[2:3], v[99:100]
	v_fma_f64 v[14:15], -v[87:88], v[2:3], v[14:15]
	v_fma_f64 v[87:88], v[129:130], v[2:3], v[101:102]
	;; [unrolled: 2-line block ×4, first 2 shown]
	global_load_b128 v[0:3], v[109:110], off offset:48
	s_waitcnt vmcnt(12)
	v_fma_f64 v[48:49], v[38:39], v[4:5], v[48:49]
	v_fma_f64 v[83:84], v[85:86], v[4:5], v[83:84]
	;; [unrolled: 1-line block ×8, first 2 shown]
	s_waitcnt vmcnt(11)
	v_cvt_f64_f32_e32 v[101:102], v26
	v_cvt_f64_f32_e32 v[26:27], v27
	s_waitcnt vmcnt(10)
	v_cvt_f64_f32_e32 v[103:104], v30
	v_cvt_f64_f32_e32 v[30:31], v31
	;; [unrolled: 3-line block ×4, first 2 shown]
	v_fma_f64 v[48:49], -v[85:86], v[6:7], v[48:49]
	v_fma_f64 v[38:39], v[38:39], v[6:7], v[83:84]
	v_fma_f64 v[14:15], -v[89:90], v[6:7], v[14:15]
	v_fma_f64 v[83:84], v[111:112], v[6:7], v[87:88]
	;; [unrolled: 2-line block ×4, first 2 shown]
	v_cvt_f64_f32_e32 v[91:92], v36
	v_cvt_f64_f32_e32 v[36:37], v37
	;; [unrolled: 1-line block ×4, first 2 shown]
	s_waitcnt vmcnt(7)
	v_fma_f64 v[6:7], v[101:102], v[55:56], v[48:49]
	v_fma_f64 v[38:39], v[26:27], v[55:56], v[38:39]
	;; [unrolled: 1-line block ×8, first 2 shown]
	v_cvt_f64_f32_e32 v[55:56], v28
	v_cvt_f64_f32_e32 v[28:29], v29
	;; [unrolled: 1-line block ×4, first 2 shown]
	v_fma_f64 v[6:7], -v[26:27], v[57:58], v[6:7]
	v_fma_f64 v[26:27], v[101:102], v[57:58], v[38:39]
	v_fma_f64 v[14:15], -v[30:31], v[57:58], v[14:15]
	v_fma_f64 v[30:31], v[103:104], v[57:58], v[48:49]
	v_fma_f64 v[34:35], -v[34:35], v[57:58], v[83:84]
	v_fma_f64 v[38:39], v[105:106], v[57:58], v[85:86]
	v_fma_f64 v[48:49], -v[51:52], v[57:58], v[87:88]
	v_fma_f64 v[4:5], v[107:108], v[57:58], v[4:5]
	s_waitcnt vmcnt(6)
	v_fma_f64 v[6:7], v[55:56], v[59:60], v[6:7]
	v_fma_f64 v[26:27], v[28:29], v[59:60], v[26:27]
	;; [unrolled: 1-line block ×8, first 2 shown]
	s_waitcnt vmcnt(5)
	v_cvt_f64_f32_e32 v[51:52], v63
	v_cvt_f64_f32_e32 v[57:58], v64
	s_waitcnt vmcnt(4)
	v_cvt_f64_f32_e32 v[59:60], v67
	v_cvt_f64_f32_e32 v[63:64], v68
	;; [unrolled: 3-line block ×4, first 2 shown]
	v_fma_f64 v[6:7], -v[28:29], v[61:62], v[6:7]
	v_fma_f64 v[26:27], v[55:56], v[61:62], v[26:27]
	v_fma_f64 v[14:15], -v[32:33], v[61:62], v[14:15]
	v_fma_f64 v[28:29], v[89:90], v[61:62], v[30:31]
	;; [unrolled: 2-line block ×4, first 2 shown]
	v_cvt_f64_f32_e32 v[36:37], v65
	v_cvt_f64_f32_e32 v[38:39], v66
	v_cvt_f64_f32_e32 v[48:49], v69
	v_cvt_f64_f32_e32 v[53:54], v70
	v_cvt_f64_f32_e32 v[55:56], v73
	v_cvt_f64_f32_e32 v[61:62], v74
	v_cvt_f64_f32_e32 v[65:66], v77
	v_cvt_f64_f32_e32 v[69:70], v78
	s_waitcnt vmcnt(1)
	v_fma_f64 v[6:7], v[51:52], v[79:80], v[6:7]
	v_fma_f64 v[26:27], v[57:58], v[79:80], v[26:27]
	;; [unrolled: 1-line block ×8, first 2 shown]
	v_fma_f64 v[6:7], -v[57:58], v[81:82], v[6:7]
	v_fma_f64 v[26:27], v[51:52], v[81:82], v[26:27]
	v_fma_f64 v[14:15], -v[63:64], v[81:82], v[14:15]
	v_fma_f64 v[28:29], v[59:60], v[81:82], v[28:29]
	;; [unrolled: 2-line block ×4, first 2 shown]
	s_waitcnt vmcnt(0)
	v_fma_f64 v[6:7], v[36:37], v[0:1], v[6:7]
	v_fma_f64 v[26:27], v[38:39], v[0:1], v[26:27]
	;; [unrolled: 1-line block ×8, first 2 shown]
	v_fma_f64 v[30:31], -v[38:39], v[2:3], v[6:7]
	v_fma_f64 v[14:15], v[36:37], v[2:3], v[26:27]
	v_fma_f64 v[36:37], -v[53:54], v[2:3], v[51:52]
	v_fma_f64 v[28:29], v[48:49], v[2:3], v[28:29]
	;; [unrolled: 2-line block ×4, first 2 shown]
	s_and_not1_b32 exec_lo, exec_lo, s10
	s_cbranch_execnz .LBB175_25
; %bb.26:
	s_or_b32 exec_lo, exec_lo, s10
.LBB175_27:
	s_delay_alu instid0(SALU_CYCLE_1)
	s_or_b32 exec_lo, exec_lo, s7
.LBB175_28:
	s_delay_alu instid0(SALU_CYCLE_1)
	s_or_b32 exec_lo, exec_lo, s6
	s_cbranch_execz .LBB175_30
	s_branch .LBB175_41
.LBB175_29:
                                        ; implicit-def: $vgpr14_vgpr15
                                        ; implicit-def: $vgpr30_vgpr31
                                        ; implicit-def: $vgpr28_vgpr29
                                        ; implicit-def: $vgpr36_vgpr37
                                        ; implicit-def: $vgpr34_vgpr35
                                        ; implicit-def: $vgpr38_vgpr39
                                        ; implicit-def: $vgpr32_vgpr33
                                        ; implicit-def: $vgpr26_vgpr27
.LBB175_30:
	v_mov_b32_e32 v14, 0
	v_mov_b32_e32 v15, 0
	s_delay_alu instid0(VALU_DEP_1)
	v_dual_mov_b32 v31, v15 :: v_dual_mov_b32 v30, v14
	v_dual_mov_b32 v29, v15 :: v_dual_mov_b32 v28, v14
	;; [unrolled: 1-line block ×7, first 2 shown]
	s_and_saveexec_b32 s1, s0
	s_cbranch_execz .LBB175_40
; %bb.31:
	v_or_b32_e32 v0, 4, v50
	v_not_b32_e32 v3, v40
	v_not_b32_e32 v2, v41
	v_mov_b32_e32 v26, 0
	s_mov_b32 s7, 0
	v_sub_co_u32 v0, s0, v0, s12
	s_delay_alu instid0(VALU_DEP_1) | instskip(SKIP_1) | instid1(VALU_DEP_3)
	v_sub_co_ci_u32_e64 v1, null, 0, s15, s0
	v_sub_co_u32 v4, s0, s12, v50
	v_add_co_u32 v0, vcc_lo, v0, v40
	s_delay_alu instid0(VALU_DEP_3) | instskip(SKIP_2) | instid1(VALU_DEP_2)
	v_add_co_ci_u32_e32 v1, vcc_lo, v1, v41, vcc_lo
	v_sub_co_ci_u32_e64 v5, null, s15, 0, s0
	s_mov_b32 s6, exec_lo
	v_cmp_gt_i64_e32 vcc_lo, v[0:1], v[10:11]
	v_dual_cndmask_b32 v1, v11, v1 :: v_dual_cndmask_b32 v0, v10, v0
	v_add_co_u32 v3, vcc_lo, v4, v3
	v_add_co_ci_u32_e32 v2, vcc_lo, v5, v2, vcc_lo
	s_delay_alu instid0(VALU_DEP_2) | instskip(NEXT) | instid1(VALU_DEP_2)
	v_add_co_u32 v0, vcc_lo, v3, v0
	v_add_co_ci_u32_e32 v1, vcc_lo, v2, v1, vcc_lo
	s_delay_alu instid0(VALU_DEP_2) | instskip(NEXT) | instid1(VALU_DEP_1)
	v_lshrrev_b32_e32 v2, 2, v0
	v_dual_mov_b32 v27, 0 :: v_dual_add_nc_u32 v2, 1, v2
	s_delay_alu instid0(VALU_DEP_1) | instskip(SKIP_1) | instid1(VALU_DEP_3)
	v_dual_mov_b32 v14, v26 :: v_dual_mov_b32 v35, v27
	v_dual_mov_b32 v34, v26 :: v_dual_mov_b32 v37, v27
	v_and_b32_e32 v2, 3, v2
	v_dual_mov_b32 v36, v26 :: v_dual_mov_b32 v29, v27
	v_dual_mov_b32 v28, v26 :: v_dual_mov_b32 v31, v27
	;; [unrolled: 1-line block ×5, first 2 shown]
	v_cmpx_ne_u32_e32 0, v2
	s_cbranch_execz .LBB175_35
; %bb.32:
	v_lshlrev_b64 v[4:5], 3, v[8:9]
	v_dual_mov_b32 v3, 0 :: v_dual_mov_b32 v14, 0
	v_dual_mov_b32 v15, 0 :: v_dual_lshlrev_b32 v2, 3, v2
	s_delay_alu instid0(VALU_DEP_3) | instskip(NEXT) | instid1(VALU_DEP_4)
	v_add_co_u32 v4, vcc_lo, s8, v4
	v_add_co_ci_u32_e32 v5, vcc_lo, s9, v5, vcc_lo
	s_delay_alu instid0(VALU_DEP_3)
	v_dual_mov_b32 v31, v15 :: v_dual_mov_b32 v30, v14
	v_dual_mov_b32 v29, v15 :: v_dual_mov_b32 v28, v14
	;; [unrolled: 1-line block ×7, first 2 shown]
.LBB175_33:                             ; =>This Inner Loop Header: Depth=1
	global_load_b64 v[6:7], v[4:5], off
	s_clause 0x1
	global_load_b128 v[40:43], v[12:13], off
	global_load_b128 v[44:47], v[12:13], off offset:16
	v_add_co_u32 v4, s0, v4, 32
	s_delay_alu instid0(VALU_DEP_1)
	v_add_co_ci_u32_e64 v5, s0, 0, v5, s0
	s_waitcnt vmcnt(2)
	v_sub_co_u32 v6, vcc_lo, v6, s12
	v_subrev_co_ci_u32_e32 v7, vcc_lo, s15, v7, vcc_lo
	s_waitcnt vmcnt(1)
	v_cvt_f64_f32_e32 v[48:49], v42
	v_cvt_f64_f32_e32 v[42:43], v43
	s_waitcnt vmcnt(0)
	v_cvt_f64_f32_e32 v[91:92], v44
	v_lshlrev_b64 v[6:7], 6, v[6:7]
	v_cvt_f64_f32_e32 v[44:45], v45
	v_cvt_f64_f32_e32 v[93:94], v46
	v_cvt_f64_f32_e32 v[46:47], v47
	s_waitcnt lgkmcnt(0)
	s_delay_alu instid0(VALU_DEP_4)
	v_add_co_u32 v6, vcc_lo, s4, v6
	v_add_co_ci_u32_e32 v7, vcc_lo, s5, v7, vcc_lo
	s_clause 0x1
	global_load_b128 v[51:54], v[6:7], off
	global_load_b128 v[55:58], v[6:7], off offset:16
	s_clause 0x3
	global_load_b128 v[59:62], v[12:13], off offset:32
	global_load_b128 v[63:66], v[12:13], off offset:48
	;; [unrolled: 1-line block ×4, first 2 shown]
	s_clause 0x1
	global_load_b128 v[75:78], v[6:7], off offset:32
	global_load_b128 v[79:82], v[6:7], off offset:48
	s_clause 0x1
	global_load_b128 v[83:86], v[12:13], off offset:96
	global_load_b128 v[87:90], v[12:13], off offset:112
	v_cvt_f64_f32_e32 v[6:7], v40
	v_cvt_f64_f32_e32 v[40:41], v41
	v_add_co_u32 v12, vcc_lo, 0x200, v12
	v_add_co_ci_u32_e32 v13, vcc_lo, 0, v13, vcc_lo
	v_add_co_u32 v2, vcc_lo, v2, -8
	v_add_co_ci_u32_e32 v3, vcc_lo, -1, v3, vcc_lo
	v_add_co_u32 v8, vcc_lo, v8, 4
	v_add_co_ci_u32_e32 v9, vcc_lo, 0, v9, vcc_lo
	s_delay_alu instid0(VALU_DEP_3)
	v_cmp_eq_u64_e32 vcc_lo, 0, v[2:3]
	s_or_b32 s7, vcc_lo, s7
	s_waitcnt vmcnt(9)
	v_fma_f64 v[30:31], v[6:7], v[51:52], v[30:31]
	v_fma_f64 v[14:15], v[40:41], v[51:52], v[14:15]
	;; [unrolled: 1-line block ×8, first 2 shown]
	s_waitcnt vmcnt(7)
	v_cvt_f64_f32_e32 v[51:52], v59
	v_cvt_f64_f32_e32 v[59:60], v60
	v_cvt_f64_f32_e32 v[95:96], v61
	v_cvt_f64_f32_e32 v[61:62], v62
	s_waitcnt vmcnt(6)
	v_cvt_f64_f32_e32 v[97:98], v63
	v_cvt_f64_f32_e32 v[63:64], v64
	;; [unrolled: 1-line block ×4, first 2 shown]
	v_fma_f64 v[30:31], -v[40:41], v[53:54], v[30:31]
	v_fma_f64 v[6:7], v[6:7], v[53:54], v[14:15]
	v_fma_f64 v[14:15], -v[42:43], v[53:54], v[36:37]
	v_fma_f64 v[28:29], v[48:49], v[53:54], v[28:29]
	;; [unrolled: 2-line block ×4, first 2 shown]
	s_waitcnt vmcnt(5)
	v_cvt_f64_f32_e32 v[38:39], v67
	v_cvt_f64_f32_e32 v[40:41], v68
	v_cvt_f64_f32_e32 v[42:43], v69
	v_cvt_f64_f32_e32 v[44:45], v70
	s_waitcnt vmcnt(4)
	v_cvt_f64_f32_e32 v[46:47], v71
	v_cvt_f64_f32_e32 v[48:49], v72
	v_cvt_f64_f32_e32 v[53:54], v73
	s_waitcnt vmcnt(0)
	v_cvt_f64_f32_e32 v[67:68], v89
	v_cvt_f64_f32_e32 v[69:70], v90
	v_fma_f64 v[30:31], v[51:52], v[55:56], v[30:31]
	v_fma_f64 v[6:7], v[59:60], v[55:56], v[6:7]
	;; [unrolled: 1-line block ×8, first 2 shown]
	v_cvt_f64_f32_e32 v[55:56], v74
	v_fma_f64 v[30:31], -v[59:60], v[57:58], v[30:31]
	v_fma_f64 v[6:7], v[51:52], v[57:58], v[6:7]
	v_fma_f64 v[14:15], -v[61:62], v[57:58], v[14:15]
	v_fma_f64 v[28:29], v[95:96], v[57:58], v[28:29]
	;; [unrolled: 2-line block ×4, first 2 shown]
	v_cvt_f64_f32_e32 v[51:52], v83
	v_cvt_f64_f32_e32 v[57:58], v84
	;; [unrolled: 1-line block ×6, first 2 shown]
	v_fma_f64 v[30:31], v[38:39], v[75:76], v[30:31]
	v_fma_f64 v[6:7], v[40:41], v[75:76], v[6:7]
	;; [unrolled: 1-line block ×8, first 2 shown]
	v_fma_f64 v[30:31], -v[40:41], v[77:78], v[30:31]
	v_fma_f64 v[6:7], v[38:39], v[77:78], v[6:7]
	v_fma_f64 v[14:15], -v[44:45], v[77:78], v[14:15]
	v_fma_f64 v[28:29], v[42:43], v[77:78], v[28:29]
	;; [unrolled: 2-line block ×4, first 2 shown]
	v_fma_f64 v[30:31], v[51:52], v[79:80], v[30:31]
	v_fma_f64 v[6:7], v[57:58], v[79:80], v[6:7]
	;; [unrolled: 1-line block ×8, first 2 shown]
	v_fma_f64 v[30:31], -v[57:58], v[81:82], v[30:31]
	v_fma_f64 v[14:15], v[51:52], v[81:82], v[6:7]
	v_fma_f64 v[36:37], -v[61:62], v[81:82], v[38:39]
	v_fma_f64 v[28:29], v[59:60], v[81:82], v[28:29]
	;; [unrolled: 2-line block ×4, first 2 shown]
	s_and_not1_b32 exec_lo, exec_lo, s7
	s_cbranch_execnz .LBB175_33
; %bb.34:
	s_or_b32 exec_lo, exec_lo, s7
.LBB175_35:
	s_delay_alu instid0(SALU_CYCLE_1) | instskip(NEXT) | instid1(SALU_CYCLE_1)
	s_or_b32 exec_lo, exec_lo, s6
	s_mov_b32 s6, exec_lo
	v_cmpx_lt_u64_e32 11, v[0:1]
	s_cbranch_execz .LBB175_39
; %bb.36:
	v_lshlrev_b64 v[0:1], 3, v[8:9]
	s_mov_b32 s7, 0
	s_delay_alu instid0(VALU_DEP_1) | instskip(NEXT) | instid1(VALU_DEP_2)
	v_add_co_u32 v0, vcc_lo, v0, s8
	v_add_co_ci_u32_e32 v1, vcc_lo, s9, v1, vcc_lo
	s_delay_alu instid0(VALU_DEP_2) | instskip(NEXT) | instid1(VALU_DEP_2)
	v_add_co_u32 v0, vcc_lo, v0, 64
	v_add_co_ci_u32_e32 v1, vcc_lo, 0, v1, vcc_lo
.LBB175_37:                             ; =>This Inner Loop Header: Depth=1
	global_load_b64 v[6:7], v[0:1], off offset:-64
	s_clause 0x1
	global_load_b128 v[2:5], v[12:13], off
	global_load_b128 v[40:43], v[12:13], off offset:16
	s_clause 0x2
	global_load_b64 v[48:49], v[0:1], off offset:-32
	global_load_b64 v[95:96], v[0:1], off
	global_load_b64 v[97:98], v[0:1], off offset:32
	v_add_co_u32 v0, s0, 0x80, v0
	s_delay_alu instid0(VALU_DEP_1)
	v_add_co_ci_u32_e64 v1, s0, 0, v1, s0
	s_waitcnt vmcnt(5)
	v_sub_co_u32 v6, vcc_lo, v6, s12
	v_subrev_co_ci_u32_e32 v7, vcc_lo, s15, v7, vcc_lo
	s_waitcnt vmcnt(4)
	v_cvt_f64_f32_e32 v[99:100], v3
	v_cvt_f64_f32_e32 v[101:102], v4
	;; [unrolled: 1-line block ×3, first 2 shown]
	v_lshlrev_b64 v[6:7], 6, v[6:7]
	s_waitcnt vmcnt(3)
	v_cvt_f64_f32_e32 v[105:106], v40
	v_cvt_f64_f32_e32 v[107:108], v42
	;; [unrolled: 1-line block ×3, first 2 shown]
	s_waitcnt lgkmcnt(0)
	v_add_co_u32 v6, vcc_lo, s4, v6
	v_add_co_ci_u32_e32 v7, vcc_lo, s5, v7, vcc_lo
	s_clause 0x1
	global_load_b128 v[44:47], v[6:7], off
	global_load_b128 v[51:54], v[6:7], off offset:16
	s_clause 0x3
	global_load_b128 v[55:58], v[12:13], off offset:32
	global_load_b128 v[59:62], v[12:13], off offset:48
	;; [unrolled: 1-line block ×4, first 2 shown]
	s_clause 0x1
	global_load_b128 v[71:74], v[6:7], off offset:32
	global_load_b128 v[75:78], v[6:7], off offset:48
	s_clause 0x3
	global_load_b128 v[79:82], v[12:13], off offset:96
	global_load_b128 v[83:86], v[12:13], off offset:112
	;; [unrolled: 1-line block ×4, first 2 shown]
	v_cvt_f64_f32_e32 v[6:7], v2
	s_waitcnt vmcnt(14)
	v_sub_co_u32 v2, vcc_lo, v48, s12
	v_subrev_co_ci_u32_e32 v3, vcc_lo, s15, v49, vcc_lo
	v_cvt_f64_f32_e32 v[48:49], v41
	s_delay_alu instid0(VALU_DEP_2) | instskip(NEXT) | instid1(VALU_DEP_1)
	v_lshlrev_b64 v[2:3], 6, v[2:3]
	v_add_co_u32 v111, vcc_lo, s4, v2
	s_delay_alu instid0(VALU_DEP_2)
	v_add_co_ci_u32_e32 v112, vcc_lo, s5, v3, vcc_lo
	s_waitcnt vmcnt(13)
	v_sub_co_u32 v95, vcc_lo, v95, s12
	s_clause 0x1
	global_load_b128 v[2:5], v[111:112], off
	global_load_b128 v[40:43], v[111:112], off offset:16
	v_subrev_co_ci_u32_e32 v96, vcc_lo, s15, v96, vcc_lo
	s_waitcnt vmcnt(13)
	v_fma_f64 v[113:114], v[6:7], v[44:45], v[30:31]
	v_fma_f64 v[14:15], v[99:100], v[44:45], v[14:15]
	;; [unrolled: 1-line block ×8, first 2 shown]
	s_clause 0x1
	global_load_b128 v[26:29], v[12:13], off offset:544
	global_load_b128 v[30:33], v[12:13], off offset:560
	s_waitcnt vmcnt(13)
	v_cvt_f64_f32_e32 v[119:120], v55
	v_cvt_f64_f32_e32 v[55:56], v56
	;; [unrolled: 1-line block ×4, first 2 shown]
	s_waitcnt vmcnt(12)
	v_cvt_f64_f32_e32 v[123:124], v59
	v_cvt_f64_f32_e32 v[59:60], v60
	;; [unrolled: 1-line block ×4, first 2 shown]
	v_fma_f64 v[99:100], -v[99:100], v[46:47], v[113:114]
	v_fma_f64 v[6:7], v[6:7], v[46:47], v[14:15]
	v_fma_f64 v[14:15], -v[103:104], v[46:47], v[36:37]
	v_fma_f64 v[36:37], v[101:102], v[46:47], v[115:116]
	;; [unrolled: 2-line block ×4, first 2 shown]
	s_waitcnt vmcnt(11)
	v_cvt_f64_f32_e32 v[105:106], v63
	v_cvt_f64_f32_e32 v[63:64], v64
	v_cvt_f64_f32_e32 v[107:108], v65
	v_cvt_f64_f32_e32 v[65:66], v66
	s_waitcnt vmcnt(10)
	v_cvt_f64_f32_e32 v[109:110], v67
	v_cvt_f64_f32_e32 v[67:68], v68
	v_cvt_f64_f32_e32 v[113:114], v69
	v_cvt_f64_f32_e32 v[69:70], v70
	;; [unrolled: 5-line block ×3, first 2 shown]
	v_fma_f64 v[99:100], v[119:120], v[51:52], v[99:100]
	v_fma_f64 v[6:7], v[55:56], v[51:52], v[6:7]
	;; [unrolled: 1-line block ×8, first 2 shown]
	s_clause 0x1
	global_load_b128 v[34:37], v[12:13], off offset:576
	global_load_b128 v[44:47], v[12:13], off offset:592
	v_fma_f64 v[55:56], -v[55:56], v[53:54], v[99:100]
	v_fma_f64 v[6:7], v[119:120], v[53:54], v[6:7]
	v_fma_f64 v[14:15], -v[57:58], v[53:54], v[14:15]
	v_fma_f64 v[57:58], v[121:122], v[53:54], v[101:102]
	;; [unrolled: 2-line block ×4, first 2 shown]
	global_load_b128 v[51:54], v[111:112], off offset:32
	s_waitcnt vmcnt(9)
	v_cvt_f64_f32_e32 v[119:120], v83
	v_cvt_f64_f32_e32 v[83:84], v84
	;; [unrolled: 1-line block ×4, first 2 shown]
	v_fma_f64 v[99:100], v[105:106], v[71:72], v[55:56]
	v_fma_f64 v[6:7], v[63:64], v[71:72], v[6:7]
	;; [unrolled: 1-line block ×8, first 2 shown]
	s_clause 0x1
	global_load_b128 v[55:58], v[12:13], off offset:608
	global_load_b128 v[59:62], v[12:13], off offset:624
	v_fma_f64 v[99:100], -v[63:64], v[73:74], v[99:100]
	v_fma_f64 v[6:7], v[105:106], v[73:74], v[6:7]
	v_fma_f64 v[14:15], -v[65:66], v[73:74], v[14:15]
	v_fma_f64 v[101:102], v[107:108], v[73:74], v[101:102]
	;; [unrolled: 2-line block ×4, first 2 shown]
	global_load_b128 v[63:66], v[111:112], off offset:48
	s_waitcnt vmcnt(11)
	v_cvt_f64_f32_e32 v[105:106], v87
	v_cvt_f64_f32_e32 v[87:88], v88
	;; [unrolled: 1-line block ×4, first 2 shown]
	s_waitcnt vmcnt(10)
	v_cvt_f64_f32_e32 v[109:110], v91
	v_cvt_f64_f32_e32 v[91:92], v92
	;; [unrolled: 1-line block ×4, first 2 shown]
	v_fma_f64 v[99:100], v[115:116], v[75:76], v[99:100]
	v_fma_f64 v[6:7], v[79:80], v[75:76], v[6:7]
	;; [unrolled: 1-line block ×8, first 2 shown]
	s_clause 0x1
	global_load_b128 v[67:70], v[12:13], off offset:1024
	global_load_b128 v[71:74], v[12:13], off offset:1040
	v_fma_f64 v[79:80], -v[79:80], v[77:78], v[99:100]
	v_fma_f64 v[6:7], v[115:116], v[77:78], v[6:7]
	v_fma_f64 v[14:15], -v[81:82], v[77:78], v[14:15]
	v_fma_f64 v[81:82], v[117:118], v[77:78], v[101:102]
	;; [unrolled: 2-line block ×4, first 2 shown]
	v_lshlrev_b64 v[75:76], 6, v[95:96]
	s_delay_alu instid0(VALU_DEP_1) | instskip(NEXT) | instid1(VALU_DEP_2)
	v_add_co_u32 v95, vcc_lo, s4, v75
	v_add_co_ci_u32_e32 v96, vcc_lo, s5, v76, vcc_lo
	global_load_b128 v[75:78], v[95:96], off
	s_waitcnt vmcnt(12)
	v_fma_f64 v[99:100], v[105:106], v[2:3], v[79:80]
	v_fma_f64 v[6:7], v[87:88], v[2:3], v[6:7]
	;; [unrolled: 1-line block ×8, first 2 shown]
	s_clause 0x1
	global_load_b128 v[79:82], v[12:13], off offset:1056
	global_load_b128 v[83:86], v[12:13], off offset:1072
	s_waitcnt vmcnt(12)
	v_cvt_f64_f32_e32 v[113:114], v26
	v_cvt_f64_f32_e32 v[115:116], v27
	;; [unrolled: 1-line block ×4, first 2 shown]
	s_waitcnt vmcnt(11)
	v_cvt_f64_f32_e32 v[121:122], v30
	v_cvt_f64_f32_e32 v[123:124], v31
	;; [unrolled: 1-line block ×4, first 2 shown]
	v_fma_f64 v[26:27], -v[87:88], v[4:5], v[99:100]
	v_fma_f64 v[6:7], v[105:106], v[4:5], v[6:7]
	v_fma_f64 v[14:15], -v[89:90], v[4:5], v[14:15]
	v_fma_f64 v[28:29], v[107:108], v[4:5], v[101:102]
	;; [unrolled: 2-line block ×4, first 2 shown]
	global_load_b128 v[2:5], v[95:96], off offset:16
	v_fma_f64 v[87:88], v[113:114], v[40:41], v[26:27]
	v_fma_f64 v[6:7], v[115:116], v[40:41], v[6:7]
	;; [unrolled: 1-line block ×8, first 2 shown]
	s_clause 0x1
	global_load_b128 v[26:29], v[12:13], off offset:1088
	global_load_b128 v[30:33], v[12:13], off offset:1104
	s_waitcnt vmcnt(13)
	v_cvt_f64_f32_e32 v[48:49], v34
	v_cvt_f64_f32_e32 v[99:100], v35
	;; [unrolled: 1-line block ×4, first 2 shown]
	s_waitcnt vmcnt(12)
	v_cvt_f64_f32_e32 v[105:106], v44
	v_cvt_f64_f32_e32 v[107:108], v45
	;; [unrolled: 1-line block ×4, first 2 shown]
	global_load_b128 v[34:37], v[95:96], off offset:32
	v_fma_f64 v[44:45], -v[115:116], v[42:43], v[87:88]
	v_fma_f64 v[6:7], v[113:114], v[42:43], v[6:7]
	v_fma_f64 v[14:15], -v[119:120], v[42:43], v[14:15]
	v_fma_f64 v[87:88], v[117:118], v[42:43], v[89:90]
	;; [unrolled: 2-line block ×4, first 2 shown]
	s_waitcnt vmcnt(12)
	v_fma_f64 v[93:94], v[48:49], v[51:52], v[44:45]
	v_fma_f64 v[6:7], v[99:100], v[51:52], v[6:7]
	v_fma_f64 v[14:15], v[101:102], v[51:52], v[14:15]
	v_fma_f64 v[87:88], v[103:104], v[51:52], v[87:88]
	v_fma_f64 v[89:90], v[105:106], v[51:52], v[89:90]
	v_fma_f64 v[91:92], v[107:108], v[51:52], v[91:92]
	v_fma_f64 v[111:112], v[109:110], v[51:52], v[38:39]
	v_fma_f64 v[51:52], v[46:47], v[51:52], v[40:41]
	s_clause 0x1
	global_load_b128 v[38:41], v[12:13], off offset:1120
	global_load_b128 v[42:45], v[12:13], off offset:1136
	s_waitcnt vmcnt(13)
	v_cvt_f64_f32_e32 v[113:114], v55
	v_cvt_f64_f32_e32 v[115:116], v56
	;; [unrolled: 1-line block ×4, first 2 shown]
	s_waitcnt vmcnt(12)
	v_cvt_f64_f32_e32 v[121:122], v59
	v_cvt_f64_f32_e32 v[59:60], v60
	;; [unrolled: 1-line block ×4, first 2 shown]
	v_fma_f64 v[55:56], -v[99:100], v[53:54], v[93:94]
	v_fma_f64 v[6:7], v[48:49], v[53:54], v[6:7]
	v_fma_f64 v[14:15], -v[103:104], v[53:54], v[14:15]
	v_fma_f64 v[57:58], v[101:102], v[53:54], v[87:88]
	;; [unrolled: 2-line block ×4, first 2 shown]
	global_load_b128 v[46:49], v[95:96], off offset:48
	s_waitcnt vmcnt(12)
	v_fma_f64 v[93:94], v[113:114], v[63:64], v[55:56]
	v_fma_f64 v[6:7], v[115:116], v[63:64], v[6:7]
	;; [unrolled: 1-line block ×8, first 2 shown]
	s_clause 0x1
	global_load_b128 v[51:54], v[12:13], off offset:1536
	global_load_b128 v[55:58], v[12:13], off offset:1552
	s_waitcnt vmcnt(13)
	v_cvt_f64_f32_e32 v[99:100], v67
	v_cvt_f64_f32_e32 v[101:102], v68
	;; [unrolled: 1-line block ×4, first 2 shown]
	s_waitcnt vmcnt(12)
	v_cvt_f64_f32_e32 v[107:108], v71
	v_cvt_f64_f32_e32 v[71:72], v72
	;; [unrolled: 1-line block ×4, first 2 shown]
	v_sub_co_u32 v67, vcc_lo, v97, s12
	v_subrev_co_ci_u32_e32 v68, vcc_lo, s15, v98, vcc_lo
	v_fma_f64 v[69:70], -v[115:116], v[65:66], v[93:94]
	v_fma_f64 v[6:7], v[113:114], v[65:66], v[6:7]
	v_fma_f64 v[14:15], -v[119:120], v[65:66], v[14:15]
	v_fma_f64 v[93:94], v[117:118], v[65:66], v[95:96]
	;; [unrolled: 2-line block ×4, first 2 shown]
	v_lshlrev_b64 v[59:60], 6, v[67:68]
	s_delay_alu instid0(VALU_DEP_1) | instskip(NEXT) | instid1(VALU_DEP_2)
	v_add_co_u32 v95, vcc_lo, s4, v59
	v_add_co_ci_u32_e32 v96, vcc_lo, s5, v60, vcc_lo
	v_add_co_u32 v8, vcc_lo, v8, 16
	v_add_co_ci_u32_e32 v9, vcc_lo, 0, v9, vcc_lo
	global_load_b128 v[59:62], v[95:96], off
	s_waitcnt vmcnt(12)
	v_fma_f64 v[97:98], v[99:100], v[75:76], v[69:70]
	v_fma_f64 v[6:7], v[101:102], v[75:76], v[6:7]
	;; [unrolled: 1-line block ×8, first 2 shown]
	s_clause 0x1
	global_load_b128 v[63:66], v[12:13], off offset:1568
	global_load_b128 v[67:70], v[12:13], off offset:1584
	s_waitcnt vmcnt(13)
	v_cvt_f64_f32_e32 v[111:112], v79
	v_cvt_f64_f32_e32 v[113:114], v80
	v_cvt_f64_f32_e32 v[115:116], v81
	v_cvt_f64_f32_e32 v[117:118], v82
	s_waitcnt vmcnt(12)
	v_cvt_f64_f32_e32 v[119:120], v83
	v_cvt_f64_f32_e32 v[83:84], v84
	;; [unrolled: 1-line block ×4, first 2 shown]
	v_fma_f64 v[79:80], -v[101:102], v[77:78], v[97:98]
	v_fma_f64 v[6:7], v[99:100], v[77:78], v[6:7]
	v_fma_f64 v[14:15], -v[105:106], v[77:78], v[14:15]
	v_fma_f64 v[81:82], v[103:104], v[77:78], v[93:94]
	;; [unrolled: 2-line block ×4, first 2 shown]
	global_load_b128 v[71:74], v[95:96], off offset:16
	s_waitcnt vmcnt(12)
	v_fma_f64 v[93:94], v[111:112], v[2:3], v[79:80]
	v_fma_f64 v[6:7], v[113:114], v[2:3], v[6:7]
	;; [unrolled: 1-line block ×8, first 2 shown]
	s_clause 0x1
	global_load_b128 v[75:78], v[12:13], off offset:1600
	global_load_b128 v[79:82], v[12:13], off offset:1616
	s_waitcnt vmcnt(13)
	v_cvt_f64_f32_e32 v[99:100], v26
	v_cvt_f64_f32_e32 v[101:102], v27
	;; [unrolled: 1-line block ×4, first 2 shown]
	s_waitcnt vmcnt(12)
	v_cvt_f64_f32_e32 v[107:108], v30
	v_cvt_f64_f32_e32 v[109:110], v31
	;; [unrolled: 1-line block ×4, first 2 shown]
	v_fma_f64 v[26:27], -v[113:114], v[4:5], v[93:94]
	v_fma_f64 v[6:7], v[111:112], v[4:5], v[6:7]
	v_fma_f64 v[14:15], -v[117:118], v[4:5], v[14:15]
	v_fma_f64 v[28:29], v[115:116], v[4:5], v[97:98]
	;; [unrolled: 2-line block ×4, first 2 shown]
	global_load_b128 v[2:5], v[95:96], off offset:32
	s_waitcnt vmcnt(12)
	v_fma_f64 v[87:88], v[99:100], v[34:35], v[26:27]
	v_fma_f64 v[6:7], v[101:102], v[34:35], v[6:7]
	;; [unrolled: 1-line block ×8, first 2 shown]
	s_clause 0x1
	global_load_b128 v[26:29], v[12:13], off offset:1632
	global_load_b128 v[30:33], v[12:13], off offset:1648
	v_add_co_u32 v12, vcc_lo, 0x800, v12
	v_add_co_ci_u32_e32 v13, vcc_lo, 0, v13, vcc_lo
	v_cmp_ge_i64_e32 vcc_lo, v[8:9], v[10:11]
	s_or_b32 s7, vcc_lo, s7
	s_waitcnt vmcnt(13)
	v_cvt_f64_f32_e32 v[85:86], v38
	v_cvt_f64_f32_e32 v[97:98], v39
	;; [unrolled: 1-line block ×4, first 2 shown]
	s_waitcnt vmcnt(12)
	v_cvt_f64_f32_e32 v[115:116], v42
	v_cvt_f64_f32_e32 v[42:43], v43
	;; [unrolled: 1-line block ×4, first 2 shown]
	global_load_b128 v[38:41], v[95:96], off offset:48
	v_fma_f64 v[87:88], -v[101:102], v[36:37], v[87:88]
	v_fma_f64 v[6:7], v[99:100], v[36:37], v[6:7]
	v_fma_f64 v[14:15], -v[105:106], v[36:37], v[14:15]
	v_fma_f64 v[89:90], v[103:104], v[36:37], v[89:90]
	v_fma_f64 v[91:92], -v[109:110], v[36:37], v[91:92]
	v_fma_f64 v[93:94], v[107:108], v[36:37], v[93:94]
	v_fma_f64 v[83:84], -v[125:126], v[36:37], v[83:84]
	v_fma_f64 v[34:35], v[123:124], v[36:37], v[34:35]
	s_waitcnt vmcnt(12)
	v_fma_f64 v[36:37], v[85:86], v[46:47], v[87:88]
	v_fma_f64 v[6:7], v[97:98], v[46:47], v[6:7]
	v_fma_f64 v[14:15], v[111:112], v[46:47], v[14:15]
	v_fma_f64 v[87:88], v[113:114], v[46:47], v[89:90]
	v_fma_f64 v[89:90], v[115:116], v[46:47], v[91:92]
	v_fma_f64 v[91:92], v[42:43], v[46:47], v[93:94]
	v_fma_f64 v[83:84], v[117:118], v[46:47], v[83:84]
	v_fma_f64 v[34:35], v[44:45], v[46:47], v[34:35]
	s_waitcnt vmcnt(11)
	v_cvt_f64_f32_e32 v[46:47], v51
	v_cvt_f64_f32_e32 v[51:52], v52
	v_cvt_f64_f32_e32 v[93:94], v53
	v_cvt_f64_f32_e32 v[53:54], v54
	s_waitcnt vmcnt(10)
	v_cvt_f64_f32_e32 v[95:96], v55
	v_cvt_f64_f32_e32 v[55:56], v56
	v_cvt_f64_f32_e32 v[99:100], v57
	v_cvt_f64_f32_e32 v[57:58], v58
	v_fma_f64 v[36:37], -v[97:98], v[48:49], v[36:37]
	v_fma_f64 v[6:7], v[85:86], v[48:49], v[6:7]
	v_fma_f64 v[14:15], -v[113:114], v[48:49], v[14:15]
	v_fma_f64 v[85:86], v[111:112], v[48:49], v[87:88]
	v_fma_f64 v[42:43], -v[42:43], v[48:49], v[89:90]
	v_fma_f64 v[87:88], v[115:116], v[48:49], v[91:92]
	v_fma_f64 v[44:45], -v[44:45], v[48:49], v[83:84]
	v_fma_f64 v[34:35], v[117:118], v[48:49], v[34:35]
	s_waitcnt vmcnt(9)
	v_fma_f64 v[36:37], v[46:47], v[59:60], v[36:37]
	v_fma_f64 v[6:7], v[51:52], v[59:60], v[6:7]
	v_fma_f64 v[14:15], v[93:94], v[59:60], v[14:15]
	v_fma_f64 v[48:49], v[53:54], v[59:60], v[85:86]
	v_fma_f64 v[42:43], v[95:96], v[59:60], v[42:43]
	v_fma_f64 v[83:84], v[55:56], v[59:60], v[87:88]
	v_fma_f64 v[44:45], v[99:100], v[59:60], v[44:45]
	v_fma_f64 v[34:35], v[57:58], v[59:60], v[34:35]
	s_waitcnt vmcnt(8)
	v_cvt_f64_f32_e32 v[59:60], v63
	v_cvt_f64_f32_e32 v[63:64], v64
	v_cvt_f64_f32_e32 v[85:86], v65
	v_cvt_f64_f32_e32 v[65:66], v66
	s_waitcnt vmcnt(7)
	v_cvt_f64_f32_e32 v[87:88], v67
	v_cvt_f64_f32_e32 v[67:68], v68
	v_cvt_f64_f32_e32 v[89:90], v69
	v_cvt_f64_f32_e32 v[69:70], v70
	;; [unrolled: 27-line block ×4, first 2 shown]
	v_fma_f64 v[30:31], -v[53:54], v[4:5], v[36:37]
	v_fma_f64 v[6:7], v[51:52], v[4:5], v[6:7]
	v_fma_f64 v[14:15], -v[57:58], v[4:5], v[14:15]
	v_fma_f64 v[36:37], v[55:56], v[4:5], v[46:47]
	;; [unrolled: 2-line block ×4, first 2 shown]
	s_waitcnt vmcnt(0)
	v_fma_f64 v[4:5], v[34:35], v[38:39], v[30:31]
	v_fma_f64 v[6:7], v[26:27], v[38:39], v[6:7]
	;; [unrolled: 1-line block ×8, first 2 shown]
	v_fma_f64 v[30:31], -v[26:27], v[40:41], v[4:5]
	v_fma_f64 v[14:15], v[34:35], v[40:41], v[6:7]
	v_fma_f64 v[36:37], -v[28:29], v[40:41], v[48:49]
	v_fma_f64 v[28:29], v[59:60], v[40:41], v[51:52]
	;; [unrolled: 2-line block ×4, first 2 shown]
	s_and_not1_b32 exec_lo, exec_lo, s7
	s_cbranch_execnz .LBB175_37
; %bb.38:
	s_or_b32 exec_lo, exec_lo, s7
.LBB175_39:
	s_delay_alu instid0(SALU_CYCLE_1)
	s_or_b32 exec_lo, exec_lo, s6
.LBB175_40:
	s_delay_alu instid0(SALU_CYCLE_1)
	s_or_b32 exec_lo, exec_lo, s1
.LBB175_41:
	v_mbcnt_lo_u32_b32 v42, -1, 0
	s_delay_alu instid0(VALU_DEP_1) | instskip(NEXT) | instid1(VALU_DEP_1)
	v_xor_b32_e32 v0, 2, v42
	v_cmp_gt_i32_e32 vcc_lo, 32, v0
	v_cndmask_b32_e32 v0, v42, v0, vcc_lo
	s_delay_alu instid0(VALU_DEP_1)
	v_lshlrev_b32_e32 v41, 2, v0
	ds_bpermute_b32 v0, v41, v30
	ds_bpermute_b32 v1, v41, v31
	ds_bpermute_b32 v2, v41, v14
	ds_bpermute_b32 v3, v41, v15
	ds_bpermute_b32 v4, v41, v36
	ds_bpermute_b32 v5, v41, v37
	ds_bpermute_b32 v6, v41, v28
	ds_bpermute_b32 v7, v41, v29
	ds_bpermute_b32 v8, v41, v38
	ds_bpermute_b32 v9, v41, v39
	ds_bpermute_b32 v10, v41, v34
	ds_bpermute_b32 v11, v41, v35
	ds_bpermute_b32 v12, v41, v26
	ds_bpermute_b32 v13, v41, v27
	ds_bpermute_b32 v40, v41, v32
	ds_bpermute_b32 v41, v41, v33
	s_waitcnt lgkmcnt(0)
	v_add_f64 v[0:1], v[30:31], v[0:1]
	v_add_f64 v[30:31], v[14:15], v[2:3]
	;; [unrolled: 1-line block ×7, first 2 shown]
	v_xor_b32_e32 v12, 1, v42
	v_add_f64 v[8:9], v[32:33], v[40:41]
	s_delay_alu instid0(VALU_DEP_2) | instskip(SKIP_2) | instid1(VALU_DEP_2)
	v_cmp_gt_i32_e32 vcc_lo, 32, v12
	v_cndmask_b32_e32 v12, v42, v12, vcc_lo
	v_cmp_eq_u32_e32 vcc_lo, 3, v50
	v_lshlrev_b32_e32 v35, 2, v12
	ds_bpermute_b32 v12, v35, v0
	ds_bpermute_b32 v13, v35, v1
	;; [unrolled: 1-line block ×16, first 2 shown]
	s_and_b32 exec_lo, exec_lo, vcc_lo
	s_cbranch_execz .LBB175_12
; %bb.42:
	s_waitcnt lgkmcnt(12)
	v_add_f64 v[30:31], v[30:31], v[40:41]
	s_waitcnt lgkmcnt(8)
	v_add_f64 v[14:15], v[14:15], v[38:39]
	;; [unrolled: 2-line block ×4, first 2 shown]
	v_add_f64 v[0:1], v[0:1], v[12:13]
	v_add_f64 v[2:3], v[2:3], v[26:27]
	;; [unrolled: 1-line block ×4, first 2 shown]
	v_cmp_eq_f64_e32 vcc_lo, 0, v[16:17]
	v_cmp_eq_f64_e64 s0, 0, v[18:19]
	s_load_b64 s[2:3], s[2:3], 0x68
	v_mul_f64 v[4:5], v[30:31], -v[22:23]
	v_mul_f64 v[6:7], v[20:21], v[30:31]
	v_mul_f64 v[30:31], v[14:15], -v[22:23]
	v_mul_f64 v[32:33], v[20:21], v[14:15]
	;; [unrolled: 2-line block ×4, first 2 shown]
	s_and_b32 s0, vcc_lo, s0
	v_fma_f64 v[12:13], v[20:21], v[0:1], v[4:5]
	v_fma_f64 v[14:15], v[22:23], v[0:1], v[6:7]
	;; [unrolled: 1-line block ×8, first 2 shown]
	v_lshlrev_b64 v[20:21], 6, v[24:25]
	s_and_saveexec_b32 s1, s0
	s_delay_alu instid0(SALU_CYCLE_1)
	s_xor_b32 s0, exec_lo, s1
	s_cbranch_execz .LBB175_44
; %bb.43:
	s_waitcnt lgkmcnt(0)
	s_delay_alu instid0(VALU_DEP_1)
	v_add_co_u32 v16, vcc_lo, s2, v20
	v_add_co_ci_u32_e32 v17, vcc_lo, s3, v21, vcc_lo
                                        ; implicit-def: $vgpr18_vgpr19
                                        ; implicit-def: $vgpr20_vgpr21
	s_clause 0x3
	global_store_b128 v[16:17], v[12:15], off
	global_store_b128 v[16:17], v[8:11], off offset:16
	global_store_b128 v[16:17], v[4:7], off offset:32
	global_store_b128 v[16:17], v[0:3], off offset:48
                                        ; implicit-def: $vgpr16_vgpr17
                                        ; implicit-def: $vgpr12_vgpr13
                                        ; implicit-def: $vgpr8_vgpr9
                                        ; implicit-def: $vgpr4_vgpr5
                                        ; implicit-def: $vgpr0_vgpr1
.LBB175_44:
	s_and_not1_saveexec_b32 s0, s0
	s_cbranch_execz .LBB175_12
; %bb.45:
	s_waitcnt lgkmcnt(0)
	v_add_co_u32 v36, vcc_lo, s2, v20
	v_add_co_ci_u32_e32 v37, vcc_lo, s3, v21, vcc_lo
	s_clause 0x3
	global_load_b128 v[20:23], v[36:37], off
	global_load_b128 v[24:27], v[36:37], off offset:16
	global_load_b128 v[28:31], v[36:37], off offset:32
	global_load_b128 v[32:35], v[36:37], off offset:48
	s_waitcnt vmcnt(3)
	v_fma_f64 v[12:13], v[16:17], v[20:21], v[12:13]
	v_fma_f64 v[14:15], v[18:19], v[20:21], v[14:15]
	s_waitcnt vmcnt(2)
	v_fma_f64 v[8:9], v[16:17], v[24:25], v[8:9]
	v_fma_f64 v[10:11], v[18:19], v[24:25], v[10:11]
	;; [unrolled: 3-line block ×4, first 2 shown]
	v_fma_f64 v[0:1], -v[18:19], v[22:23], v[12:13]
	v_fma_f64 v[2:3], v[16:17], v[22:23], v[14:15]
	v_fma_f64 v[4:5], -v[18:19], v[26:27], v[8:9]
	v_fma_f64 v[6:7], v[16:17], v[26:27], v[10:11]
	;; [unrolled: 2-line block ×4, first 2 shown]
	s_clause 0x3
	global_store_b128 v[36:37], v[0:3], off
	global_store_b128 v[36:37], v[4:7], off offset:16
	global_store_b128 v[36:37], v[8:11], off offset:32
	;; [unrolled: 1-line block ×3, first 2 shown]
	s_nop 0
	s_sendmsg sendmsg(MSG_DEALLOC_VGPRS)
	s_endpgm
	.section	.rodata,"a",@progbits
	.p2align	6, 0x0
	.amdhsa_kernel _ZN9rocsparseL18bsrxmvn_4x4_kernelILj128ELj4E21rocsparse_complex_numIdEllS1_IfES2_S2_EEvT3_20rocsparse_direction_NS_24const_host_device_scalarIT1_EES4_PKS4_PKT2_SD_SA_PKT4_PKT5_S8_PT6_21rocsparse_index_base_b
		.amdhsa_group_segment_fixed_size 2048
		.amdhsa_private_segment_fixed_size 0
		.amdhsa_kernarg_size 120
		.amdhsa_user_sgpr_count 15
		.amdhsa_user_sgpr_dispatch_ptr 1
		.amdhsa_user_sgpr_queue_ptr 0
		.amdhsa_user_sgpr_kernarg_segment_ptr 1
		.amdhsa_user_sgpr_dispatch_id 0
		.amdhsa_user_sgpr_private_segment_size 0
		.amdhsa_wavefront_size32 1
		.amdhsa_uses_dynamic_stack 0
		.amdhsa_enable_private_segment 0
		.amdhsa_system_sgpr_workgroup_id_x 1
		.amdhsa_system_sgpr_workgroup_id_y 0
		.amdhsa_system_sgpr_workgroup_id_z 0
		.amdhsa_system_sgpr_workgroup_info 0
		.amdhsa_system_vgpr_workitem_id 2
		.amdhsa_next_free_vgpr 137
		.amdhsa_next_free_sgpr 18
		.amdhsa_reserve_vcc 1
		.amdhsa_float_round_mode_32 0
		.amdhsa_float_round_mode_16_64 0
		.amdhsa_float_denorm_mode_32 3
		.amdhsa_float_denorm_mode_16_64 3
		.amdhsa_dx10_clamp 1
		.amdhsa_ieee_mode 1
		.amdhsa_fp16_overflow 0
		.amdhsa_workgroup_processor_mode 1
		.amdhsa_memory_ordered 1
		.amdhsa_forward_progress 0
		.amdhsa_shared_vgpr_count 0
		.amdhsa_exception_fp_ieee_invalid_op 0
		.amdhsa_exception_fp_denorm_src 0
		.amdhsa_exception_fp_ieee_div_zero 0
		.amdhsa_exception_fp_ieee_overflow 0
		.amdhsa_exception_fp_ieee_underflow 0
		.amdhsa_exception_fp_ieee_inexact 0
		.amdhsa_exception_int_div_zero 0
	.end_amdhsa_kernel
	.section	.text._ZN9rocsparseL18bsrxmvn_4x4_kernelILj128ELj4E21rocsparse_complex_numIdEllS1_IfES2_S2_EEvT3_20rocsparse_direction_NS_24const_host_device_scalarIT1_EES4_PKS4_PKT2_SD_SA_PKT4_PKT5_S8_PT6_21rocsparse_index_base_b,"axG",@progbits,_ZN9rocsparseL18bsrxmvn_4x4_kernelILj128ELj4E21rocsparse_complex_numIdEllS1_IfES2_S2_EEvT3_20rocsparse_direction_NS_24const_host_device_scalarIT1_EES4_PKS4_PKT2_SD_SA_PKT4_PKT5_S8_PT6_21rocsparse_index_base_b,comdat
.Lfunc_end175:
	.size	_ZN9rocsparseL18bsrxmvn_4x4_kernelILj128ELj4E21rocsparse_complex_numIdEllS1_IfES2_S2_EEvT3_20rocsparse_direction_NS_24const_host_device_scalarIT1_EES4_PKS4_PKT2_SD_SA_PKT4_PKT5_S8_PT6_21rocsparse_index_base_b, .Lfunc_end175-_ZN9rocsparseL18bsrxmvn_4x4_kernelILj128ELj4E21rocsparse_complex_numIdEllS1_IfES2_S2_EEvT3_20rocsparse_direction_NS_24const_host_device_scalarIT1_EES4_PKS4_PKT2_SD_SA_PKT4_PKT5_S8_PT6_21rocsparse_index_base_b
                                        ; -- End function
	.section	.AMDGPU.csdata,"",@progbits
; Kernel info:
; codeLenInByte = 11372
; NumSgprs: 20
; NumVgprs: 137
; ScratchSize: 0
; MemoryBound: 0
; FloatMode: 240
; IeeeMode: 1
; LDSByteSize: 2048 bytes/workgroup (compile time only)
; SGPRBlocks: 2
; VGPRBlocks: 17
; NumSGPRsForWavesPerEU: 20
; NumVGPRsForWavesPerEU: 137
; Occupancy: 10
; WaveLimiterHint : 1
; COMPUTE_PGM_RSRC2:SCRATCH_EN: 0
; COMPUTE_PGM_RSRC2:USER_SGPR: 15
; COMPUTE_PGM_RSRC2:TRAP_HANDLER: 0
; COMPUTE_PGM_RSRC2:TGID_X_EN: 1
; COMPUTE_PGM_RSRC2:TGID_Y_EN: 0
; COMPUTE_PGM_RSRC2:TGID_Z_EN: 0
; COMPUTE_PGM_RSRC2:TIDIG_COMP_CNT: 2
	.section	.text._ZN9rocsparseL18bsrxmvn_4x4_kernelILj128ELj8E21rocsparse_complex_numIdEllS1_IfES2_S2_EEvT3_20rocsparse_direction_NS_24const_host_device_scalarIT1_EES4_PKS4_PKT2_SD_SA_PKT4_PKT5_S8_PT6_21rocsparse_index_base_b,"axG",@progbits,_ZN9rocsparseL18bsrxmvn_4x4_kernelILj128ELj8E21rocsparse_complex_numIdEllS1_IfES2_S2_EEvT3_20rocsparse_direction_NS_24const_host_device_scalarIT1_EES4_PKS4_PKT2_SD_SA_PKT4_PKT5_S8_PT6_21rocsparse_index_base_b,comdat
	.globl	_ZN9rocsparseL18bsrxmvn_4x4_kernelILj128ELj8E21rocsparse_complex_numIdEllS1_IfES2_S2_EEvT3_20rocsparse_direction_NS_24const_host_device_scalarIT1_EES4_PKS4_PKT2_SD_SA_PKT4_PKT5_S8_PT6_21rocsparse_index_base_b ; -- Begin function _ZN9rocsparseL18bsrxmvn_4x4_kernelILj128ELj8E21rocsparse_complex_numIdEllS1_IfES2_S2_EEvT3_20rocsparse_direction_NS_24const_host_device_scalarIT1_EES4_PKS4_PKT2_SD_SA_PKT4_PKT5_S8_PT6_21rocsparse_index_base_b
	.p2align	8
	.type	_ZN9rocsparseL18bsrxmvn_4x4_kernelILj128ELj8E21rocsparse_complex_numIdEllS1_IfES2_S2_EEvT3_20rocsparse_direction_NS_24const_host_device_scalarIT1_EES4_PKS4_PKT2_SD_SA_PKT4_PKT5_S8_PT6_21rocsparse_index_base_b,@function
_ZN9rocsparseL18bsrxmvn_4x4_kernelILj128ELj8E21rocsparse_complex_numIdEllS1_IfES2_S2_EEvT3_20rocsparse_direction_NS_24const_host_device_scalarIT1_EES4_PKS4_PKT2_SD_SA_PKT4_PKT5_S8_PT6_21rocsparse_index_base_b: ; @_ZN9rocsparseL18bsrxmvn_4x4_kernelILj128ELj8E21rocsparse_complex_numIdEllS1_IfES2_S2_EEvT3_20rocsparse_direction_NS_24const_host_device_scalarIT1_EES4_PKS4_PKT2_SD_SA_PKT4_PKT5_S8_PT6_21rocsparse_index_base_b
; %bb.0:
	s_load_b64 s[12:13], s[2:3], 0x70
	s_load_b64 s[16:17], s[0:1], 0x4
	s_load_b128 s[8:11], s[2:3], 0x10
	v_bfe_u32 v1, v0, 10, 10
	s_mov_b64 s[0:1], src_shared_base
	s_load_b128 s[4:7], s[2:3], 0x58
	v_and_b32_e32 v2, 0x3ff, v0
	v_bfe_u32 v0, v0, 20, 10
	s_waitcnt lgkmcnt(0)
	s_bitcmp1_b32 s13, 0
	v_mul_u32_u24_e32 v1, s17, v1
	v_mov_b32_e32 v3, s8
	s_cselect_b32 s0, -1, 0
	v_mov_b32_e32 v23, s11
	s_and_b32 vcc_lo, s0, exec_lo
	s_cselect_b32 s13, s1, s9
	s_lshr_b32 s14, s16, 16
	v_dual_mov_b32 v6, s5 :: v_dual_mov_b32 v5, s4
	s_mul_i32 s14, s14, s17
	v_mov_b32_e32 v8, s13
	v_mad_u32_u24 v1, s14, v2, v1
	v_mov_b32_e32 v22, s10
	s_xor_b32 s10, s0, -1
	v_mov_b32_e32 v4, s9
	s_delay_alu instid0(VALU_DEP_3) | instskip(NEXT) | instid1(VALU_DEP_1)
	v_add_lshl_u32 v0, v1, v0, 3
	v_add_nc_u32_e32 v1, 0x400, v0
	ds_store_2addr_stride64_b64 v0, v[5:6], v[3:4] offset1:2
	v_cndmask_b32_e64 v7, s8, v1, s0
	flat_load_b64 v[20:21], v[7:8]
	s_cbranch_vccnz .LBB176_2
; %bb.1:
	v_dual_mov_b32 v3, s8 :: v_dual_mov_b32 v4, s9
	flat_load_b64 v[22:23], v[3:4] offset:8
.LBB176_2:
	s_and_b32 s8, s0, exec_lo
	s_cselect_b32 s1, s1, s5
	v_cndmask_b32_e64 v0, s4, v0, s0
	v_mov_b32_e32 v1, s1
	v_dual_mov_b32 v19, s7 :: v_dual_mov_b32 v18, s6
	s_and_not1_b32 vcc_lo, exec_lo, s10
	flat_load_b64 v[16:17], v[0:1]
	s_cbranch_vccnz .LBB176_4
; %bb.3:
	v_dual_mov_b32 v0, s4 :: v_dual_mov_b32 v1, s5
	flat_load_b64 v[18:19], v[0:1] offset:8
.LBB176_4:
	s_waitcnt vmcnt(1) lgkmcnt(1)
	v_cmp_eq_f64_e32 vcc_lo, 0, v[20:21]
	v_cmp_eq_f64_e64 s0, 0, v[22:23]
	s_delay_alu instid0(VALU_DEP_1)
	s_and_b32 s4, vcc_lo, s0
	s_mov_b32 s0, -1
	s_and_saveexec_b32 s1, s4
	s_cbranch_execz .LBB176_6
; %bb.5:
	s_waitcnt vmcnt(0) lgkmcnt(0)
	v_cmp_neq_f64_e32 vcc_lo, 1.0, v[16:17]
	v_cmp_neq_f64_e64 s0, 0, v[18:19]
	s_delay_alu instid0(VALU_DEP_1) | instskip(NEXT) | instid1(SALU_CYCLE_1)
	s_or_b32 s0, vcc_lo, s0
	s_or_not1_b32 s0, s0, exec_lo
.LBB176_6:
	s_or_b32 exec_lo, exec_lo, s1
	s_and_saveexec_b32 s1, s0
	s_cbranch_execz .LBB176_12
; %bb.7:
	s_load_b64 s[0:1], s[2:3], 0x28
	v_lshrrev_b32_e32 v0, 3, v2
	v_mov_b32_e32 v1, 0
	s_mov_b32 s4, 0
	s_delay_alu instid0(VALU_DEP_2)
	v_lshl_or_b32 v0, s15, 4, v0
	s_waitcnt lgkmcnt(0)
	s_cmp_lg_u64 s[0:1], 0
	s_cbranch_scc0 .LBB176_13
; %bb.8:
	s_load_b64 s[4:5], s[2:3], 0x20
                                        ; implicit-def: $vgpr24_vgpr25
	s_waitcnt lgkmcnt(0)
	v_cmp_gt_i64_e32 vcc_lo, s[4:5], v[0:1]
	s_mov_b32 s5, 0
	s_mov_b32 s4, 0
	s_and_saveexec_b32 s6, vcc_lo
	s_delay_alu instid0(SALU_CYCLE_1)
	s_xor_b32 s6, exec_lo, s6
                                        ; implicit-def: $sgpr14_sgpr15
	s_cbranch_execz .LBB176_10
; %bb.9:
	v_lshlrev_b64 v[3:4], 3, v[0:1]
	s_mov_b32 s4, exec_lo
	s_mov_b32 s15, 0
	s_delay_alu instid0(VALU_DEP_1) | instskip(NEXT) | instid1(VALU_DEP_2)
	v_add_co_u32 v3, vcc_lo, s0, v3
	v_add_co_ci_u32_e32 v4, vcc_lo, s1, v4, vcc_lo
	global_load_b64 v[3:4], v[3:4], off
	s_waitcnt vmcnt(0)
	v_sub_co_u32 v24, vcc_lo, v3, s12
	v_subrev_co_ci_u32_e32 v25, vcc_lo, 0, v4, vcc_lo
.LBB176_10:
	s_or_b32 exec_lo, exec_lo, s6
	s_delay_alu instid0(SALU_CYCLE_1)
	s_and_b32 vcc_lo, exec_lo, s5
	s_cbranch_vccnz .LBB176_14
.LBB176_11:
	s_and_b32 exec_lo, exec_lo, s4
	s_cbranch_execnz .LBB176_17
.LBB176_12:
	s_nop 0
	s_sendmsg sendmsg(MSG_DEALLOC_VGPRS)
	s_endpgm
.LBB176_13:
                                        ; implicit-def: $vgpr24_vgpr25
                                        ; implicit-def: $sgpr14_sgpr15
	s_cbranch_execz .LBB176_11
.LBB176_14:
	s_load_b64 s[0:1], s[2:3], 0x0
                                        ; implicit-def: $vgpr24_vgpr25
	s_waitcnt lgkmcnt(0)
	v_cmp_gt_i64_e32 vcc_lo, s[0:1], v[0:1]
	s_and_saveexec_b32 s0, vcc_lo
                                        ; implicit-def: $sgpr14_sgpr15
; %bb.15:
	v_dual_mov_b32 v25, v1 :: v_dual_mov_b32 v24, v0
	s_mov_b32 s15, 0
	s_or_b32 s4, s4, exec_lo
; %bb.16:
	s_or_b32 exec_lo, exec_lo, s0
	s_delay_alu instid0(SALU_CYCLE_1)
	s_and_b32 exec_lo, exec_lo, s4
	s_cbranch_execz .LBB176_12
.LBB176_17:
	s_load_b256 s[4:11], s[2:3], 0x30
	v_lshlrev_b64 v[0:1], 3, v[24:25]
	v_and_b32_e32 v50, 7, v2
	s_load_b32 s1, s[2:3], 0x8
	s_waitcnt lgkmcnt(0)
	s_delay_alu instid0(VALU_DEP_2) | instskip(NEXT) | instid1(VALU_DEP_3)
	v_add_co_u32 v3, vcc_lo, s4, v0
	v_add_co_ci_u32_e32 v4, vcc_lo, s5, v1, vcc_lo
	v_add_co_u32 v0, vcc_lo, s6, v0
	v_add_co_ci_u32_e32 v1, vcc_lo, s7, v1, vcc_lo
	s_delay_alu instid0(VALU_DEP_4) | instskip(NEXT) | instid1(VALU_DEP_4)
	v_add_co_u32 v5, vcc_lo, v3, 8
	v_add_co_ci_u32_e32 v6, vcc_lo, 0, v4, vcc_lo
	global_load_b64 v[40:41], v[3:4], off
	s_cmp_eq_u64 s[6:7], 0
	s_load_b64 s[4:5], s[2:3], 0x50
	s_cselect_b32 vcc_lo, -1, 0
	s_cmp_eq_u32 s1, 1
	v_dual_cndmask_b32 v1, v1, v6 :: v_dual_cndmask_b32 v0, v0, v5
	global_load_b64 v[0:1], v[0:1], off
	s_waitcnt vmcnt(1)
	v_sub_co_u32 v2, vcc_lo, v40, s12
	v_subrev_co_ci_u32_e32 v3, vcc_lo, s15, v41, vcc_lo
	s_delay_alu instid0(VALU_DEP_2) | instskip(NEXT) | instid1(VALU_DEP_2)
	v_add_co_u32 v8, vcc_lo, v2, v50
	v_add_co_ci_u32_e32 v9, vcc_lo, 0, v3, vcc_lo
	s_waitcnt vmcnt(0)
	v_sub_co_u32 v10, vcc_lo, v0, s12
	v_subrev_co_ci_u32_e32 v11, vcc_lo, s15, v1, vcc_lo
	s_delay_alu instid0(VALU_DEP_3) | instskip(NEXT) | instid1(VALU_DEP_2)
	v_lshlrev_b64 v[0:1], 7, v[8:9]
	v_cmp_lt_i64_e64 s0, v[8:9], v[10:11]
	s_delay_alu instid0(VALU_DEP_2) | instskip(NEXT) | instid1(VALU_DEP_3)
	v_add_co_u32 v12, vcc_lo, s10, v0
	v_add_co_ci_u32_e32 v13, vcc_lo, s11, v1, vcc_lo
	s_cbranch_scc1 .LBB176_29
; %bb.18:
	v_mov_b32_e32 v14, 0
	v_mov_b32_e32 v15, 0
	s_delay_alu instid0(VALU_DEP_1)
	v_dual_mov_b32 v31, v15 :: v_dual_mov_b32 v30, v14
	v_dual_mov_b32 v29, v15 :: v_dual_mov_b32 v28, v14
	v_dual_mov_b32 v37, v15 :: v_dual_mov_b32 v36, v14
	v_dual_mov_b32 v35, v15 :: v_dual_mov_b32 v34, v14
	v_dual_mov_b32 v39, v15 :: v_dual_mov_b32 v38, v14
	v_dual_mov_b32 v33, v15 :: v_dual_mov_b32 v32, v14
	v_dual_mov_b32 v27, v15 :: v_dual_mov_b32 v26, v14
	s_and_saveexec_b32 s6, s0
	s_cbranch_execz .LBB176_28
; %bb.19:
	v_or_b32_e32 v0, 8, v50
	v_not_b32_e32 v3, v40
	v_not_b32_e32 v2, v41
	v_dual_mov_b32 v26, 0 :: v_dual_mov_b32 v43, v13
	s_delay_alu instid0(VALU_DEP_4) | instskip(NEXT) | instid1(VALU_DEP_1)
	v_sub_co_u32 v0, s1, v0, s12
	v_sub_co_ci_u32_e64 v1, null, 0, s15, s1
	v_sub_co_u32 v4, s1, s12, v50
	s_delay_alu instid0(VALU_DEP_3) | instskip(NEXT) | instid1(VALU_DEP_3)
	v_add_co_u32 v0, vcc_lo, v0, v40
	v_add_co_ci_u32_e32 v1, vcc_lo, v1, v41, vcc_lo
	v_sub_co_ci_u32_e64 v5, null, s15, 0, s1
	s_mov_b32 s10, 0
	s_delay_alu instid0(VALU_DEP_2)
	v_cmp_gt_i64_e32 vcc_lo, v[0:1], v[10:11]
	s_mov_b32 s7, exec_lo
	v_dual_mov_b32 v45, v9 :: v_dual_mov_b32 v44, v8
	v_dual_cndmask_b32 v1, v11, v1 :: v_dual_cndmask_b32 v0, v10, v0
	v_add_co_u32 v3, vcc_lo, v4, v3
	v_add_co_ci_u32_e32 v2, vcc_lo, v5, v2, vcc_lo
	s_delay_alu instid0(VALU_DEP_2) | instskip(NEXT) | instid1(VALU_DEP_2)
	v_add_co_u32 v0, vcc_lo, v3, v0
	v_add_co_ci_u32_e32 v1, vcc_lo, v2, v1, vcc_lo
	s_delay_alu instid0(VALU_DEP_2) | instskip(NEXT) | instid1(VALU_DEP_1)
	v_lshrrev_b32_e32 v2, 3, v0
	v_dual_mov_b32 v27, 0 :: v_dual_add_nc_u32 v2, 1, v2
	s_delay_alu instid0(VALU_DEP_1)
	v_dual_mov_b32 v42, v12 :: v_dual_mov_b32 v33, v27
	v_dual_mov_b32 v32, v26 :: v_dual_mov_b32 v39, v27
	;; [unrolled: 1-line block ×5, first 2 shown]
	v_dual_mov_b32 v29, v27 :: v_dual_and_b32 v2, 3, v2
	v_mov_b32_e32 v30, v26
	v_mov_b32_e32 v14, v26
	v_dual_mov_b32 v28, v26 :: v_dual_mov_b32 v15, v27
	s_delay_alu instid0(VALU_DEP_4)
	v_cmpx_ne_u32_e32 0, v2
	s_cbranch_execz .LBB176_23
; %bb.20:
	v_lshlrev_b64 v[4:5], 3, v[8:9]
	v_dual_mov_b32 v3, 0 :: v_dual_mov_b32 v14, 0
	v_dual_mov_b32 v15, 0 :: v_dual_lshlrev_b32 v2, 3, v2
	v_dual_mov_b32 v45, v9 :: v_dual_mov_b32 v44, v8
	s_delay_alu instid0(VALU_DEP_4)
	v_add_co_u32 v4, vcc_lo, s8, v4
	v_add_co_ci_u32_e32 v5, vcc_lo, s9, v5, vcc_lo
	v_dual_mov_b32 v43, v13 :: v_dual_mov_b32 v42, v12
	v_dual_mov_b32 v31, v15 :: v_dual_mov_b32 v30, v14
	;; [unrolled: 1-line block ×8, first 2 shown]
.LBB176_21:                             ; =>This Inner Loop Header: Depth=1
	global_load_b64 v[6:7], v[4:5], off
	s_clause 0x7
	global_load_b128 v[46:49], v[42:43], off
	global_load_b128 v[51:54], v[42:43], off offset:32
	global_load_b128 v[55:58], v[42:43], off offset:64
	;; [unrolled: 1-line block ×7, first 2 shown]
	v_add_co_u32 v4, s1, v4, 64
	s_delay_alu instid0(VALU_DEP_1)
	v_add_co_ci_u32_e64 v5, s1, 0, v5, s1
	s_waitcnt vmcnt(8)
	v_sub_co_u32 v6, vcc_lo, v6, s12
	v_subrev_co_ci_u32_e32 v7, vcc_lo, s15, v7, vcc_lo
	s_waitcnt vmcnt(6)
	v_cvt_f64_f32_e32 v[95:96], v51
	v_cvt_f64_f32_e32 v[51:52], v52
	s_waitcnt vmcnt(5)
	v_cvt_f64_f32_e32 v[97:98], v55
	v_lshlrev_b64 v[6:7], 6, v[6:7]
	v_cvt_f64_f32_e32 v[55:56], v56
	s_waitcnt vmcnt(4)
	v_cvt_f64_f32_e32 v[99:100], v59
	v_cvt_f64_f32_e32 v[59:60], v60
	;; [unrolled: 1-line block ×4, first 2 shown]
	s_waitcnt lgkmcnt(0)
	v_add_co_u32 v6, vcc_lo, s4, v6
	v_add_co_ci_u32_e32 v7, vcc_lo, s5, v7, vcc_lo
	v_cvt_f64_f32_e32 v[103:104], v57
	v_cvt_f64_f32_e32 v[57:58], v58
	;; [unrolled: 1-line block ×3, first 2 shown]
	s_clause 0x3
	global_load_b128 v[79:82], v[6:7], off
	global_load_b128 v[83:86], v[6:7], off offset:16
	global_load_b128 v[87:90], v[6:7], off offset:32
	;; [unrolled: 1-line block ×3, first 2 shown]
	v_cvt_f64_f32_e32 v[6:7], v46
	v_cvt_f64_f32_e32 v[46:47], v47
	;; [unrolled: 1-line block ×3, first 2 shown]
	v_add_co_u32 v42, vcc_lo, 0x400, v42
	v_add_co_ci_u32_e32 v43, vcc_lo, 0, v43, vcc_lo
	v_add_co_u32 v2, vcc_lo, v2, -8
	v_add_co_ci_u32_e32 v3, vcc_lo, -1, v3, vcc_lo
	v_add_co_u32 v44, vcc_lo, v44, 8
	v_add_co_ci_u32_e32 v45, vcc_lo, 0, v45, vcc_lo
	s_delay_alu instid0(VALU_DEP_3)
	v_cmp_eq_u64_e32 vcc_lo, 0, v[2:3]
	s_or_b32 s10, vcc_lo, s10
	s_waitcnt vmcnt(3)
	v_fma_f64 v[30:31], v[6:7], v[79:80], v[30:31]
	v_fma_f64 v[14:15], v[46:47], v[79:80], v[14:15]
	;; [unrolled: 1-line block ×8, first 2 shown]
	v_cvt_f64_f32_e32 v[79:80], v48
	v_cvt_f64_f32_e32 v[48:49], v49
	v_fma_f64 v[30:31], -v[46:47], v[81:82], v[30:31]
	v_fma_f64 v[6:7], v[6:7], v[81:82], v[14:15]
	v_fma_f64 v[14:15], -v[51:52], v[81:82], v[36:37]
	v_fma_f64 v[28:29], v[95:96], v[81:82], v[28:29]
	;; [unrolled: 2-line block ×4, first 2 shown]
	v_cvt_f64_f32_e32 v[38:39], v67
	v_cvt_f64_f32_e32 v[46:47], v68
	;; [unrolled: 1-line block ×10, first 2 shown]
	s_waitcnt vmcnt(2)
	v_fma_f64 v[30:31], v[79:80], v[83:84], v[30:31]
	v_fma_f64 v[6:7], v[48:49], v[83:84], v[6:7]
	;; [unrolled: 1-line block ×8, first 2 shown]
	v_fma_f64 v[30:31], -v[48:49], v[85:86], v[30:31]
	v_fma_f64 v[6:7], v[79:80], v[85:86], v[6:7]
	v_fma_f64 v[14:15], -v[53:54], v[85:86], v[14:15]
	v_fma_f64 v[28:29], v[101:102], v[85:86], v[28:29]
	;; [unrolled: 2-line block ×4, first 2 shown]
	v_cvt_f64_f32_e32 v[48:49], v69
	v_cvt_f64_f32_e32 v[53:54], v70
	;; [unrolled: 1-line block ×6, first 2 shown]
	s_waitcnt vmcnt(1)
	v_fma_f64 v[30:31], v[38:39], v[87:88], v[30:31]
	v_fma_f64 v[6:7], v[46:47], v[87:88], v[6:7]
	;; [unrolled: 1-line block ×8, first 2 shown]
	v_fma_f64 v[30:31], -v[46:47], v[89:90], v[30:31]
	v_fma_f64 v[6:7], v[38:39], v[89:90], v[6:7]
	v_fma_f64 v[14:15], -v[55:56], v[89:90], v[14:15]
	v_fma_f64 v[28:29], v[51:52], v[89:90], v[28:29]
	;; [unrolled: 2-line block ×4, first 2 shown]
	s_waitcnt vmcnt(0)
	v_fma_f64 v[30:31], v[48:49], v[91:92], v[30:31]
	v_fma_f64 v[6:7], v[53:54], v[91:92], v[6:7]
	;; [unrolled: 1-line block ×8, first 2 shown]
	v_fma_f64 v[30:31], -v[53:54], v[93:94], v[30:31]
	v_fma_f64 v[14:15], v[48:49], v[93:94], v[6:7]
	v_fma_f64 v[36:37], -v[61:62], v[93:94], v[38:39]
	v_fma_f64 v[28:29], v[57:58], v[93:94], v[28:29]
	;; [unrolled: 2-line block ×4, first 2 shown]
	s_and_not1_b32 exec_lo, exec_lo, s10
	s_cbranch_execnz .LBB176_21
; %bb.22:
	s_or_b32 exec_lo, exec_lo, s10
.LBB176_23:
	s_delay_alu instid0(SALU_CYCLE_1) | instskip(NEXT) | instid1(SALU_CYCLE_1)
	s_or_b32 exec_lo, exec_lo, s7
	s_mov_b32 s7, exec_lo
	v_cmpx_lt_u64_e32 23, v[0:1]
	s_cbranch_execz .LBB176_27
; %bb.24:
	v_lshlrev_b64 v[0:1], 3, v[44:45]
	s_mov_b32 s10, 0
	s_delay_alu instid0(VALU_DEP_1) | instskip(NEXT) | instid1(VALU_DEP_2)
	v_add_co_u32 v0, vcc_lo, v0, s8
	v_add_co_ci_u32_e32 v1, vcc_lo, s9, v1, vcc_lo
	s_delay_alu instid0(VALU_DEP_2) | instskip(NEXT) | instid1(VALU_DEP_2)
	v_add_co_u32 v46, vcc_lo, 0x80, v0
	v_add_co_ci_u32_e32 v47, vcc_lo, 0, v1, vcc_lo
.LBB176_25:                             ; =>This Inner Loop Header: Depth=1
	global_load_b64 v[48:49], v[46:47], off offset:-128
	s_clause 0x3
	global_load_b128 v[4:7], v[42:43], off
	global_load_b128 v[0:3], v[42:43], off offset:32
	global_load_b128 v[51:54], v[42:43], off offset:64
	;; [unrolled: 1-line block ×3, first 2 shown]
	s_clause 0x2
	global_load_b64 v[107:108], v[46:47], off offset:-64
	global_load_b64 v[111:112], v[46:47], off
	global_load_b64 v[113:114], v[46:47], off offset:64
	v_add_co_u32 v46, s1, 0x100, v46
	s_delay_alu instid0(VALU_DEP_1)
	v_add_co_ci_u32_e64 v47, s1, 0, v47, s1
	s_waitcnt vmcnt(7)
	v_sub_co_u32 v48, vcc_lo, v48, s12
	v_subrev_co_ci_u32_e32 v49, vcc_lo, s15, v49, vcc_lo
	s_waitcnt vmcnt(5)
	v_cvt_f64_f32_e32 v[115:116], v0
	v_cvt_f64_f32_e32 v[0:1], v1
	s_waitcnt vmcnt(4)
	v_cvt_f64_f32_e32 v[117:118], v51
	v_lshlrev_b64 v[48:49], 6, v[48:49]
	v_cvt_f64_f32_e32 v[51:52], v52
	s_waitcnt vmcnt(3)
	v_cvt_f64_f32_e32 v[119:120], v55
	v_cvt_f64_f32_e32 v[55:56], v56
	;; [unrolled: 1-line block ×4, first 2 shown]
	s_waitcnt lgkmcnt(0)
	v_add_co_u32 v48, vcc_lo, s4, v48
	v_add_co_ci_u32_e32 v49, vcc_lo, s5, v49, vcc_lo
	s_waitcnt vmcnt(2)
	v_sub_co_u32 v107, vcc_lo, v107, s12
	v_subrev_co_ci_u32_e32 v108, vcc_lo, s15, v108, vcc_lo
	s_clause 0x1
	global_load_b128 v[59:62], v[48:49], off
	global_load_b128 v[63:66], v[48:49], off offset:16
	s_clause 0x3
	global_load_b128 v[67:70], v[42:43], off offset:16
	global_load_b128 v[71:74], v[42:43], off offset:48
	;; [unrolled: 1-line block ×4, first 2 shown]
	s_clause 0x1
	global_load_b128 v[83:86], v[48:49], off offset:32
	global_load_b128 v[87:90], v[48:49], off offset:48
	s_clause 0x3
	global_load_b128 v[91:94], v[42:43], off offset:1024
	global_load_b128 v[95:98], v[42:43], off offset:1056
	;; [unrolled: 1-line block ×4, first 2 shown]
	v_cvt_f64_f32_e32 v[48:49], v4
	v_cvt_f64_f32_e32 v[4:5], v5
	v_lshlrev_b64 v[107:108], 6, v[107:108]
	v_cvt_f64_f32_e32 v[127:128], v3
	v_cvt_f64_f32_e32 v[129:130], v53
	;; [unrolled: 1-line block ×5, first 2 shown]
	v_add_co_u32 v121, vcc_lo, s4, v107
	v_add_co_ci_u32_e32 v122, vcc_lo, s5, v108, vcc_lo
	s_waitcnt vmcnt(13)
	v_sub_co_u32 v111, vcc_lo, v111, s12
	v_subrev_co_ci_u32_e32 v112, vcc_lo, s15, v112, vcc_lo
	global_load_b128 v[107:110], v[121:122], off
	s_waitcnt vmcnt(12)
	v_fma_f64 v[30:31], v[48:49], v[59:60], v[30:31]
	v_fma_f64 v[14:15], v[4:5], v[59:60], v[14:15]
	;; [unrolled: 1-line block ×8, first 2 shown]
	v_cvt_f64_f32_e32 v[59:60], v6
	s_waitcnt vmcnt(8)
	v_cvt_f64_f32_e32 v[133:134], v75
	v_cvt_f64_f32_e32 v[75:76], v76
	s_waitcnt vmcnt(7)
	v_cvt_f64_f32_e32 v[135:136], v79
	v_cvt_f64_f32_e32 v[79:80], v80
	v_fma_f64 v[4:5], -v[4:5], v[61:62], v[30:31]
	v_fma_f64 v[6:7], v[48:49], v[61:62], v[14:15]
	v_fma_f64 v[14:15], -v[0:1], v[61:62], v[36:37]
	global_load_b128 v[0:3], v[121:122], off offset:16
	v_fma_f64 v[28:29], v[115:116], v[61:62], v[28:29]
	v_fma_f64 v[30:31], -v[51:52], v[61:62], v[38:39]
	v_fma_f64 v[34:35], v[117:118], v[61:62], v[34:35]
	v_fma_f64 v[26:27], -v[55:56], v[61:62], v[26:27]
	v_fma_f64 v[32:33], v[119:120], v[61:62], v[32:33]
	v_cvt_f64_f32_e32 v[117:118], v67
	v_cvt_f64_f32_e32 v[67:68], v68
	;; [unrolled: 1-line block ×4, first 2 shown]
	v_fma_f64 v[38:39], v[59:60], v[63:64], v[4:5]
	v_fma_f64 v[48:49], v[123:124], v[63:64], v[6:7]
	;; [unrolled: 1-line block ×8, first 2 shown]
	s_clause 0x3
	global_load_b128 v[4:7], v[42:43], off offset:1040
	global_load_b128 v[26:29], v[42:43], off offset:1072
	;; [unrolled: 1-line block ×4, first 2 shown]
	v_fma_f64 v[38:39], -v[123:124], v[65:66], v[38:39]
	v_fma_f64 v[48:49], v[59:60], v[65:66], v[48:49]
	v_fma_f64 v[14:15], -v[127:128], v[65:66], v[14:15]
	v_cvt_f64_f32_e32 v[123:124], v73
	v_fma_f64 v[59:60], v[125:126], v[65:66], v[51:52]
	v_fma_f64 v[55:56], -v[53:54], v[65:66], v[55:56]
	v_fma_f64 v[61:62], v[129:130], v[65:66], v[61:62]
	v_fma_f64 v[57:58], -v[57:58], v[65:66], v[115:116]
	v_fma_f64 v[63:64], v[131:132], v[65:66], v[63:64]
	global_load_b128 v[51:54], v[121:122], off offset:32
	v_cvt_f64_f32_e32 v[115:116], v70
	v_cvt_f64_f32_e32 v[125:126], v74
	;; [unrolled: 1-line block ×6, first 2 shown]
	s_waitcnt vmcnt(8)
	v_cvt_f64_f32_e32 v[131:132], v99
	v_cvt_f64_f32_e32 v[99:100], v100
	v_fma_f64 v[38:39], v[117:118], v[83:84], v[38:39]
	v_fma_f64 v[48:49], v[67:68], v[83:84], v[48:49]
	;; [unrolled: 1-line block ×8, first 2 shown]
	v_cvt_f64_f32_e32 v[83:84], v69
	v_fma_f64 v[38:39], -v[67:68], v[85:86], v[38:39]
	v_fma_f64 v[48:49], v[117:118], v[85:86], v[48:49]
	v_fma_f64 v[14:15], -v[71:72], v[85:86], v[14:15]
	v_fma_f64 v[59:60], v[119:120], v[85:86], v[59:60]
	;; [unrolled: 2-line block ×3, first 2 shown]
	v_fma_f64 v[67:68], -v[79:80], v[85:86], v[57:58]
	global_load_b128 v[55:58], v[121:122], off offset:48
	v_fma_f64 v[63:64], v[135:136], v[85:86], v[63:64]
	v_cvt_f64_f32_e32 v[119:120], v91
	v_cvt_f64_f32_e32 v[91:92], v92
	;; [unrolled: 1-line block ×4, first 2 shown]
	s_waitcnt vmcnt(8)
	v_cvt_f64_f32_e32 v[133:134], v103
	v_cvt_f64_f32_e32 v[103:104], v104
	v_fma_f64 v[38:39], v[83:84], v[87:88], v[38:39]
	v_fma_f64 v[48:49], v[115:116], v[87:88], v[48:49]
	v_fma_f64 v[14:15], v[123:124], v[87:88], v[14:15]
	v_fma_f64 v[75:76], v[125:126], v[87:88], v[59:60]
	v_fma_f64 v[79:80], v[127:128], v[87:88], v[65:66]
	v_fma_f64 v[85:86], v[77:78], v[87:88], v[61:62]
	v_fma_f64 v[117:118], v[129:130], v[87:88], v[67:68]
	v_fma_f64 v[87:88], v[81:82], v[87:88], v[63:64]
	s_clause 0x3
	global_load_b128 v[59:62], v[42:43], off offset:2048
	global_load_b128 v[63:66], v[42:43], off offset:2080
	;; [unrolled: 1-line block ×4, first 2 shown]
	v_fma_f64 v[38:39], -v[115:116], v[89:90], v[38:39]
	v_fma_f64 v[48:49], v[83:84], v[89:90], v[48:49]
	v_fma_f64 v[14:15], -v[125:126], v[89:90], v[14:15]
	v_cvt_f64_f32_e32 v[115:116], v94
	v_fma_f64 v[83:84], v[123:124], v[89:90], v[75:76]
	v_fma_f64 v[79:80], -v[77:78], v[89:90], v[79:80]
	v_fma_f64 v[85:86], v[127:128], v[89:90], v[85:86]
	v_fma_f64 v[81:82], -v[81:82], v[89:90], v[117:118]
	v_lshlrev_b64 v[75:76], 6, v[111:112]
	v_fma_f64 v[87:88], v[129:130], v[89:90], v[87:88]
	v_cvt_f64_f32_e32 v[117:118], v97
	v_cvt_f64_f32_e32 v[123:124], v98
	;; [unrolled: 1-line block ×4, first 2 shown]
	v_add_co_u32 v111, vcc_lo, s4, v75
	v_add_co_ci_u32_e32 v112, vcc_lo, s5, v76, vcc_lo
	v_cvt_f64_f32_e32 v[127:128], v105
	v_cvt_f64_f32_e32 v[105:106], v106
	global_load_b128 v[75:78], v[111:112], off
	s_waitcnt vmcnt(12)
	v_fma_f64 v[38:39], v[119:120], v[107:108], v[38:39]
	v_fma_f64 v[48:49], v[91:92], v[107:108], v[48:49]
	v_fma_f64 v[14:15], v[121:122], v[107:108], v[14:15]
	v_fma_f64 v[83:84], v[95:96], v[107:108], v[83:84]
	v_fma_f64 v[79:80], v[131:132], v[107:108], v[79:80]
	v_fma_f64 v[85:86], v[99:100], v[107:108], v[85:86]
	v_fma_f64 v[81:82], v[133:134], v[107:108], v[81:82]
	v_fma_f64 v[87:88], v[103:104], v[107:108], v[87:88]
	v_cvt_f64_f32_e32 v[107:108], v93
	v_fma_f64 v[38:39], -v[91:92], v[109:110], v[38:39]
	v_fma_f64 v[48:49], v[119:120], v[109:110], v[48:49]
	v_fma_f64 v[14:15], -v[95:96], v[109:110], v[14:15]
	v_fma_f64 v[83:84], v[121:122], v[109:110], v[83:84]
	;; [unrolled: 2-line block ×3, first 2 shown]
	v_fma_f64 v[91:92], -v[103:104], v[109:110], v[81:82]
	global_load_b128 v[79:82], v[111:112], off offset:16
	v_fma_f64 v[87:88], v[133:134], v[109:110], v[87:88]
	s_waitcnt vmcnt(12)
	v_fma_f64 v[38:39], v[107:108], v[0:1], v[38:39]
	v_fma_f64 v[48:49], v[115:116], v[0:1], v[48:49]
	;; [unrolled: 1-line block ×8, first 2 shown]
	s_clause 0x3
	global_load_b128 v[83:86], v[42:43], off offset:2064
	global_load_b128 v[87:90], v[42:43], off offset:2096
	;; [unrolled: 1-line block ×4, first 2 shown]
	s_waitcnt vmcnt(15)
	v_cvt_f64_f32_e32 v[121:122], v4
	v_cvt_f64_f32_e32 v[4:5], v5
	s_waitcnt vmcnt(14)
	v_cvt_f64_f32_e32 v[129:130], v26
	v_cvt_f64_f32_e32 v[26:27], v27
	;; [unrolled: 3-line block ×4, first 2 shown]
	v_fma_f64 v[38:39], -v[115:116], v[2:3], v[38:39]
	v_fma_f64 v[48:49], v[107:108], v[2:3], v[48:49]
	v_fma_f64 v[14:15], -v[123:124], v[2:3], v[14:15]
	v_cvt_f64_f32_e32 v[115:116], v28
	v_fma_f64 v[99:100], v[117:118], v[2:3], v[99:100]
	v_fma_f64 v[101:102], -v[101:102], v[2:3], v[103:104]
	v_fma_f64 v[103:104], v[125:126], v[2:3], v[109:110]
	v_fma_f64 v[105:106], -v[105:106], v[2:3], v[119:120]
	v_cvt_f64_f32_e32 v[109:110], v7
	v_fma_f64 v[107:108], v[127:128], v[2:3], v[0:1]
	global_load_b128 v[0:3], v[111:112], off offset:32
	v_cvt_f64_f32_e32 v[117:118], v29
	v_cvt_f64_f32_e32 v[119:120], v32
	;; [unrolled: 1-line block ×5, first 2 shown]
	s_waitcnt vmcnt(12)
	v_fma_f64 v[38:39], v[121:122], v[51:52], v[38:39]
	v_fma_f64 v[48:49], v[4:5], v[51:52], v[48:49]
	v_fma_f64 v[14:15], v[129:130], v[51:52], v[14:15]
	v_fma_f64 v[99:100], v[26:27], v[51:52], v[99:100]
	v_fma_f64 v[101:102], v[131:132], v[51:52], v[101:102]
	v_fma_f64 v[103:104], v[30:31], v[51:52], v[103:104]
	v_fma_f64 v[105:106], v[133:134], v[51:52], v[105:106]
	v_fma_f64 v[51:52], v[34:35], v[51:52], v[107:108]
	v_cvt_f64_f32_e32 v[107:108], v6
	v_fma_f64 v[28:29], -v[4:5], v[53:54], v[38:39]
	global_load_b128 v[4:7], v[111:112], off offset:48
	v_fma_f64 v[32:33], v[121:122], v[53:54], v[48:49]
	v_fma_f64 v[14:15], -v[26:27], v[53:54], v[14:15]
	v_fma_f64 v[26:27], v[129:130], v[53:54], v[99:100]
	v_fma_f64 v[30:31], -v[30:31], v[53:54], v[101:102]
	;; [unrolled: 2-line block ×3, first 2 shown]
	v_fma_f64 v[38:39], v[133:134], v[53:54], v[51:52]
	s_waitcnt vmcnt(12)
	v_fma_f64 v[48:49], v[107:108], v[55:56], v[28:29]
	v_fma_f64 v[99:100], v[109:110], v[55:56], v[32:33]
	;; [unrolled: 1-line block ×7, first 2 shown]
	s_clause 0x3
	global_load_b128 v[26:29], v[42:43], off offset:3072
	global_load_b128 v[30:33], v[42:43], off offset:3104
	;; [unrolled: 1-line block ×4, first 2 shown]
	v_fma_f64 v[38:39], v[127:128], v[55:56], v[38:39]
	v_sub_co_u32 v55, vcc_lo, v113, s12
	v_subrev_co_ci_u32_e32 v56, vcc_lo, s15, v114, vcc_lo
	s_delay_alu instid0(VALU_DEP_1)
	v_lshlrev_b64 v[55:56], 6, v[55:56]
	s_waitcnt vmcnt(15)
	v_cvt_f64_f32_e32 v[121:122], v59
	v_cvt_f64_f32_e32 v[59:60], v60
	s_waitcnt vmcnt(14)
	v_cvt_f64_f32_e32 v[129:130], v63
	v_cvt_f64_f32_e32 v[63:64], v64
	;; [unrolled: 3-line block ×4, first 2 shown]
	v_cvt_f64_f32_e32 v[113:114], v62
	v_fma_f64 v[48:49], -v[109:110], v[57:58], v[48:49]
	v_add_co_u32 v109, vcc_lo, s4, v55
	v_fma_f64 v[99:100], v[107:108], v[57:58], v[99:100]
	v_fma_f64 v[14:15], -v[117:118], v[57:58], v[14:15]
	v_fma_f64 v[101:102], v[115:116], v[57:58], v[101:102]
	v_fma_f64 v[103:104], -v[123:124], v[57:58], v[103:104]
	;; [unrolled: 2-line block ×3, first 2 shown]
	v_fma_f64 v[38:39], v[125:126], v[57:58], v[38:39]
	v_add_co_ci_u32_e32 v110, vcc_lo, s5, v56, vcc_lo
	v_cvt_f64_f32_e32 v[111:112], v61
	v_cvt_f64_f32_e32 v[115:116], v65
	;; [unrolled: 1-line block ×3, first 2 shown]
	global_load_b128 v[55:58], v[109:110], off
	v_cvt_f64_f32_e32 v[119:120], v69
	v_cvt_f64_f32_e32 v[123:124], v70
	;; [unrolled: 1-line block ×4, first 2 shown]
	v_add_co_u32 v44, vcc_lo, v44, 32
	v_add_co_ci_u32_e32 v45, vcc_lo, 0, v45, vcc_lo
	s_waitcnt vmcnt(12)
	v_fma_f64 v[48:49], v[121:122], v[75:76], v[48:49]
	v_fma_f64 v[99:100], v[59:60], v[75:76], v[99:100]
	;; [unrolled: 1-line block ×8, first 2 shown]
	v_fma_f64 v[48:49], -v[59:60], v[77:78], v[48:49]
	global_load_b128 v[59:62], v[109:110], off offset:16
	v_fma_f64 v[65:66], v[121:122], v[77:78], v[99:100]
	v_fma_f64 v[14:15], -v[63:64], v[77:78], v[14:15]
	v_fma_f64 v[63:64], v[129:130], v[77:78], v[101:102]
	v_fma_f64 v[67:68], -v[67:68], v[77:78], v[103:104]
	;; [unrolled: 2-line block ×3, first 2 shown]
	v_fma_f64 v[38:39], v[133:134], v[77:78], v[38:39]
	s_waitcnt vmcnt(12)
	v_fma_f64 v[48:49], v[111:112], v[79:80], v[48:49]
	v_fma_f64 v[99:100], v[113:114], v[79:80], v[65:66]
	;; [unrolled: 1-line block ×8, first 2 shown]
	s_clause 0x3
	global_load_b128 v[63:66], v[42:43], off offset:3088
	global_load_b128 v[67:70], v[42:43], off offset:3120
	;; [unrolled: 1-line block ×4, first 2 shown]
	v_add_co_u32 v42, vcc_lo, 0x1000, v42
	v_add_co_ci_u32_e32 v43, vcc_lo, 0, v43, vcc_lo
	v_cmp_ge_i64_e32 vcc_lo, v[44:45], v[10:11]
	s_or_b32 s10, vcc_lo, s10
	s_waitcnt vmcnt(15)
	v_cvt_f64_f32_e32 v[121:122], v83
	v_cvt_f64_f32_e32 v[83:84], v84
	s_waitcnt vmcnt(14)
	v_cvt_f64_f32_e32 v[129:130], v87
	v_cvt_f64_f32_e32 v[87:88], v88
	;; [unrolled: 3-line block ×4, first 2 shown]
	v_fma_f64 v[48:49], -v[113:114], v[81:82], v[48:49]
	v_cvt_f64_f32_e32 v[113:114], v93
	v_cvt_f64_f32_e32 v[93:94], v94
	v_fma_f64 v[99:100], v[111:112], v[81:82], v[99:100]
	v_fma_f64 v[14:15], -v[117:118], v[81:82], v[14:15]
	v_fma_f64 v[101:102], v[115:116], v[81:82], v[101:102]
	v_fma_f64 v[103:104], -v[123:124], v[81:82], v[103:104]
	;; [unrolled: 2-line block ×3, first 2 shown]
	v_fma_f64 v[38:39], v[125:126], v[81:82], v[38:39]
	global_load_b128 v[79:82], v[109:110], off offset:32
	v_cvt_f64_f32_e32 v[111:112], v89
	v_cvt_f64_f32_e32 v[89:90], v90
	;; [unrolled: 1-line block ×4, first 2 shown]
	s_waitcnt vmcnt(12)
	v_fma_f64 v[48:49], v[121:122], v[0:1], v[48:49]
	v_fma_f64 v[99:100], v[83:84], v[0:1], v[99:100]
	;; [unrolled: 1-line block ×8, first 2 shown]
	v_cvt_f64_f32_e32 v[38:39], v85
	v_cvt_f64_f32_e32 v[85:86], v86
	v_fma_f64 v[48:49], -v[83:84], v[2:3], v[48:49]
	v_fma_f64 v[83:84], v[121:122], v[2:3], v[99:100]
	v_fma_f64 v[14:15], -v[87:88], v[2:3], v[14:15]
	v_fma_f64 v[87:88], v[129:130], v[2:3], v[101:102]
	;; [unrolled: 2-line block ×4, first 2 shown]
	global_load_b128 v[0:3], v[109:110], off offset:48
	s_waitcnt vmcnt(12)
	v_fma_f64 v[48:49], v[38:39], v[4:5], v[48:49]
	v_fma_f64 v[83:84], v[85:86], v[4:5], v[83:84]
	;; [unrolled: 1-line block ×8, first 2 shown]
	s_waitcnt vmcnt(11)
	v_cvt_f64_f32_e32 v[101:102], v26
	v_cvt_f64_f32_e32 v[26:27], v27
	s_waitcnt vmcnt(10)
	v_cvt_f64_f32_e32 v[103:104], v30
	v_cvt_f64_f32_e32 v[30:31], v31
	;; [unrolled: 3-line block ×4, first 2 shown]
	v_fma_f64 v[48:49], -v[85:86], v[6:7], v[48:49]
	v_fma_f64 v[38:39], v[38:39], v[6:7], v[83:84]
	v_fma_f64 v[14:15], -v[89:90], v[6:7], v[14:15]
	v_fma_f64 v[83:84], v[111:112], v[6:7], v[87:88]
	;; [unrolled: 2-line block ×4, first 2 shown]
	v_cvt_f64_f32_e32 v[91:92], v36
	v_cvt_f64_f32_e32 v[36:37], v37
	;; [unrolled: 1-line block ×4, first 2 shown]
	s_waitcnt vmcnt(7)
	v_fma_f64 v[6:7], v[101:102], v[55:56], v[48:49]
	v_fma_f64 v[38:39], v[26:27], v[55:56], v[38:39]
	;; [unrolled: 1-line block ×8, first 2 shown]
	v_cvt_f64_f32_e32 v[55:56], v28
	v_cvt_f64_f32_e32 v[28:29], v29
	;; [unrolled: 1-line block ×4, first 2 shown]
	v_fma_f64 v[6:7], -v[26:27], v[57:58], v[6:7]
	v_fma_f64 v[26:27], v[101:102], v[57:58], v[38:39]
	v_fma_f64 v[14:15], -v[30:31], v[57:58], v[14:15]
	v_fma_f64 v[30:31], v[103:104], v[57:58], v[48:49]
	;; [unrolled: 2-line block ×4, first 2 shown]
	s_waitcnt vmcnt(6)
	v_fma_f64 v[6:7], v[55:56], v[59:60], v[6:7]
	v_fma_f64 v[26:27], v[28:29], v[59:60], v[26:27]
	;; [unrolled: 1-line block ×8, first 2 shown]
	s_waitcnt vmcnt(5)
	v_cvt_f64_f32_e32 v[51:52], v63
	v_cvt_f64_f32_e32 v[57:58], v64
	s_waitcnt vmcnt(4)
	v_cvt_f64_f32_e32 v[59:60], v67
	v_cvt_f64_f32_e32 v[63:64], v68
	;; [unrolled: 3-line block ×4, first 2 shown]
	v_fma_f64 v[6:7], -v[28:29], v[61:62], v[6:7]
	v_fma_f64 v[26:27], v[55:56], v[61:62], v[26:27]
	v_fma_f64 v[14:15], -v[32:33], v[61:62], v[14:15]
	v_fma_f64 v[28:29], v[89:90], v[61:62], v[30:31]
	;; [unrolled: 2-line block ×4, first 2 shown]
	v_cvt_f64_f32_e32 v[36:37], v65
	v_cvt_f64_f32_e32 v[38:39], v66
	;; [unrolled: 1-line block ×8, first 2 shown]
	s_waitcnt vmcnt(1)
	v_fma_f64 v[6:7], v[51:52], v[79:80], v[6:7]
	v_fma_f64 v[26:27], v[57:58], v[79:80], v[26:27]
	;; [unrolled: 1-line block ×8, first 2 shown]
	v_fma_f64 v[6:7], -v[57:58], v[81:82], v[6:7]
	v_fma_f64 v[26:27], v[51:52], v[81:82], v[26:27]
	v_fma_f64 v[14:15], -v[63:64], v[81:82], v[14:15]
	v_fma_f64 v[28:29], v[59:60], v[81:82], v[28:29]
	v_fma_f64 v[30:31], -v[71:72], v[81:82], v[30:31]
	v_fma_f64 v[32:33], v[67:68], v[81:82], v[32:33]
	v_fma_f64 v[34:35], -v[75:76], v[81:82], v[34:35]
	v_fma_f64 v[4:5], v[83:84], v[81:82], v[4:5]
	s_waitcnt vmcnt(0)
	v_fma_f64 v[6:7], v[36:37], v[0:1], v[6:7]
	v_fma_f64 v[26:27], v[38:39], v[0:1], v[26:27]
	;; [unrolled: 1-line block ×8, first 2 shown]
	v_fma_f64 v[30:31], -v[38:39], v[2:3], v[6:7]
	v_fma_f64 v[14:15], v[36:37], v[2:3], v[26:27]
	v_fma_f64 v[36:37], -v[53:54], v[2:3], v[51:52]
	v_fma_f64 v[28:29], v[48:49], v[2:3], v[28:29]
	;; [unrolled: 2-line block ×4, first 2 shown]
	s_and_not1_b32 exec_lo, exec_lo, s10
	s_cbranch_execnz .LBB176_25
; %bb.26:
	s_or_b32 exec_lo, exec_lo, s10
.LBB176_27:
	s_delay_alu instid0(SALU_CYCLE_1)
	s_or_b32 exec_lo, exec_lo, s7
.LBB176_28:
	s_delay_alu instid0(SALU_CYCLE_1)
	s_or_b32 exec_lo, exec_lo, s6
	s_cbranch_execz .LBB176_30
	s_branch .LBB176_41
.LBB176_29:
                                        ; implicit-def: $vgpr14_vgpr15
                                        ; implicit-def: $vgpr30_vgpr31
                                        ; implicit-def: $vgpr28_vgpr29
                                        ; implicit-def: $vgpr36_vgpr37
                                        ; implicit-def: $vgpr34_vgpr35
                                        ; implicit-def: $vgpr38_vgpr39
                                        ; implicit-def: $vgpr32_vgpr33
                                        ; implicit-def: $vgpr26_vgpr27
.LBB176_30:
	v_mov_b32_e32 v14, 0
	v_mov_b32_e32 v15, 0
	s_delay_alu instid0(VALU_DEP_1)
	v_dual_mov_b32 v31, v15 :: v_dual_mov_b32 v30, v14
	v_dual_mov_b32 v29, v15 :: v_dual_mov_b32 v28, v14
	;; [unrolled: 1-line block ×7, first 2 shown]
	s_and_saveexec_b32 s1, s0
	s_cbranch_execz .LBB176_40
; %bb.31:
	v_or_b32_e32 v0, 8, v50
	v_not_b32_e32 v3, v40
	v_not_b32_e32 v2, v41
	v_mov_b32_e32 v26, 0
	s_mov_b32 s7, 0
	v_sub_co_u32 v0, s0, v0, s12
	s_delay_alu instid0(VALU_DEP_1) | instskip(SKIP_1) | instid1(VALU_DEP_3)
	v_sub_co_ci_u32_e64 v1, null, 0, s15, s0
	v_sub_co_u32 v4, s0, s12, v50
	v_add_co_u32 v0, vcc_lo, v0, v40
	s_delay_alu instid0(VALU_DEP_3) | instskip(SKIP_2) | instid1(VALU_DEP_2)
	v_add_co_ci_u32_e32 v1, vcc_lo, v1, v41, vcc_lo
	v_sub_co_ci_u32_e64 v5, null, s15, 0, s0
	s_mov_b32 s6, exec_lo
	v_cmp_gt_i64_e32 vcc_lo, v[0:1], v[10:11]
	v_dual_cndmask_b32 v1, v11, v1 :: v_dual_cndmask_b32 v0, v10, v0
	v_add_co_u32 v3, vcc_lo, v4, v3
	v_add_co_ci_u32_e32 v2, vcc_lo, v5, v2, vcc_lo
	s_delay_alu instid0(VALU_DEP_2) | instskip(NEXT) | instid1(VALU_DEP_2)
	v_add_co_u32 v0, vcc_lo, v3, v0
	v_add_co_ci_u32_e32 v1, vcc_lo, v2, v1, vcc_lo
	s_delay_alu instid0(VALU_DEP_2) | instskip(NEXT) | instid1(VALU_DEP_1)
	v_lshrrev_b32_e32 v2, 3, v0
	v_dual_mov_b32 v27, 0 :: v_dual_add_nc_u32 v2, 1, v2
	s_delay_alu instid0(VALU_DEP_1) | instskip(SKIP_1) | instid1(VALU_DEP_3)
	v_dual_mov_b32 v14, v26 :: v_dual_mov_b32 v35, v27
	v_dual_mov_b32 v34, v26 :: v_dual_mov_b32 v37, v27
	v_and_b32_e32 v2, 3, v2
	v_dual_mov_b32 v36, v26 :: v_dual_mov_b32 v29, v27
	v_dual_mov_b32 v28, v26 :: v_dual_mov_b32 v31, v27
	;; [unrolled: 1-line block ×5, first 2 shown]
	v_cmpx_ne_u32_e32 0, v2
	s_cbranch_execz .LBB176_35
; %bb.32:
	v_lshlrev_b64 v[4:5], 3, v[8:9]
	v_dual_mov_b32 v3, 0 :: v_dual_mov_b32 v14, 0
	v_dual_mov_b32 v15, 0 :: v_dual_lshlrev_b32 v2, 3, v2
	s_delay_alu instid0(VALU_DEP_3) | instskip(NEXT) | instid1(VALU_DEP_4)
	v_add_co_u32 v4, vcc_lo, s8, v4
	v_add_co_ci_u32_e32 v5, vcc_lo, s9, v5, vcc_lo
	s_delay_alu instid0(VALU_DEP_3)
	v_dual_mov_b32 v31, v15 :: v_dual_mov_b32 v30, v14
	v_dual_mov_b32 v29, v15 :: v_dual_mov_b32 v28, v14
	;; [unrolled: 1-line block ×7, first 2 shown]
.LBB176_33:                             ; =>This Inner Loop Header: Depth=1
	global_load_b64 v[6:7], v[4:5], off
	s_clause 0x1
	global_load_b128 v[40:43], v[12:13], off
	global_load_b128 v[44:47], v[12:13], off offset:16
	v_add_co_u32 v4, s0, v4, 64
	s_delay_alu instid0(VALU_DEP_1)
	v_add_co_ci_u32_e64 v5, s0, 0, v5, s0
	s_waitcnt vmcnt(2)
	v_sub_co_u32 v6, vcc_lo, v6, s12
	v_subrev_co_ci_u32_e32 v7, vcc_lo, s15, v7, vcc_lo
	s_waitcnt vmcnt(1)
	v_cvt_f64_f32_e32 v[48:49], v42
	v_cvt_f64_f32_e32 v[42:43], v43
	s_waitcnt vmcnt(0)
	v_cvt_f64_f32_e32 v[91:92], v44
	v_lshlrev_b64 v[6:7], 6, v[6:7]
	v_cvt_f64_f32_e32 v[44:45], v45
	v_cvt_f64_f32_e32 v[93:94], v46
	;; [unrolled: 1-line block ×3, first 2 shown]
	s_waitcnt lgkmcnt(0)
	s_delay_alu instid0(VALU_DEP_4)
	v_add_co_u32 v6, vcc_lo, s4, v6
	v_add_co_ci_u32_e32 v7, vcc_lo, s5, v7, vcc_lo
	s_clause 0x1
	global_load_b128 v[51:54], v[6:7], off
	global_load_b128 v[55:58], v[6:7], off offset:16
	s_clause 0x3
	global_load_b128 v[59:62], v[12:13], off offset:32
	global_load_b128 v[63:66], v[12:13], off offset:48
	;; [unrolled: 1-line block ×4, first 2 shown]
	s_clause 0x1
	global_load_b128 v[75:78], v[6:7], off offset:32
	global_load_b128 v[79:82], v[6:7], off offset:48
	s_clause 0x1
	global_load_b128 v[83:86], v[12:13], off offset:96
	global_load_b128 v[87:90], v[12:13], off offset:112
	v_cvt_f64_f32_e32 v[6:7], v40
	v_cvt_f64_f32_e32 v[40:41], v41
	v_add_co_u32 v12, vcc_lo, 0x400, v12
	v_add_co_ci_u32_e32 v13, vcc_lo, 0, v13, vcc_lo
	v_add_co_u32 v2, vcc_lo, v2, -8
	v_add_co_ci_u32_e32 v3, vcc_lo, -1, v3, vcc_lo
	v_add_co_u32 v8, vcc_lo, v8, 8
	v_add_co_ci_u32_e32 v9, vcc_lo, 0, v9, vcc_lo
	s_delay_alu instid0(VALU_DEP_3)
	v_cmp_eq_u64_e32 vcc_lo, 0, v[2:3]
	s_or_b32 s7, vcc_lo, s7
	s_waitcnt vmcnt(9)
	v_fma_f64 v[30:31], v[6:7], v[51:52], v[30:31]
	v_fma_f64 v[14:15], v[40:41], v[51:52], v[14:15]
	;; [unrolled: 1-line block ×8, first 2 shown]
	s_waitcnt vmcnt(7)
	v_cvt_f64_f32_e32 v[51:52], v59
	v_cvt_f64_f32_e32 v[59:60], v60
	;; [unrolled: 1-line block ×4, first 2 shown]
	s_waitcnt vmcnt(6)
	v_cvt_f64_f32_e32 v[97:98], v63
	v_cvt_f64_f32_e32 v[63:64], v64
	;; [unrolled: 1-line block ×4, first 2 shown]
	v_fma_f64 v[30:31], -v[40:41], v[53:54], v[30:31]
	v_fma_f64 v[6:7], v[6:7], v[53:54], v[14:15]
	v_fma_f64 v[14:15], -v[42:43], v[53:54], v[36:37]
	v_fma_f64 v[28:29], v[48:49], v[53:54], v[28:29]
	;; [unrolled: 2-line block ×4, first 2 shown]
	s_waitcnt vmcnt(5)
	v_cvt_f64_f32_e32 v[38:39], v67
	v_cvt_f64_f32_e32 v[40:41], v68
	;; [unrolled: 1-line block ×4, first 2 shown]
	s_waitcnt vmcnt(4)
	v_cvt_f64_f32_e32 v[46:47], v71
	v_cvt_f64_f32_e32 v[48:49], v72
	;; [unrolled: 1-line block ×3, first 2 shown]
	s_waitcnt vmcnt(0)
	v_cvt_f64_f32_e32 v[67:68], v89
	v_cvt_f64_f32_e32 v[69:70], v90
	v_fma_f64 v[30:31], v[51:52], v[55:56], v[30:31]
	v_fma_f64 v[6:7], v[59:60], v[55:56], v[6:7]
	;; [unrolled: 1-line block ×8, first 2 shown]
	v_cvt_f64_f32_e32 v[55:56], v74
	v_fma_f64 v[30:31], -v[59:60], v[57:58], v[30:31]
	v_fma_f64 v[6:7], v[51:52], v[57:58], v[6:7]
	v_fma_f64 v[14:15], -v[61:62], v[57:58], v[14:15]
	v_fma_f64 v[28:29], v[95:96], v[57:58], v[28:29]
	;; [unrolled: 2-line block ×4, first 2 shown]
	v_cvt_f64_f32_e32 v[51:52], v83
	v_cvt_f64_f32_e32 v[57:58], v84
	;; [unrolled: 1-line block ×6, first 2 shown]
	v_fma_f64 v[30:31], v[38:39], v[75:76], v[30:31]
	v_fma_f64 v[6:7], v[40:41], v[75:76], v[6:7]
	;; [unrolled: 1-line block ×8, first 2 shown]
	v_fma_f64 v[30:31], -v[40:41], v[77:78], v[30:31]
	v_fma_f64 v[6:7], v[38:39], v[77:78], v[6:7]
	v_fma_f64 v[14:15], -v[44:45], v[77:78], v[14:15]
	v_fma_f64 v[28:29], v[42:43], v[77:78], v[28:29]
	;; [unrolled: 2-line block ×4, first 2 shown]
	v_fma_f64 v[30:31], v[51:52], v[79:80], v[30:31]
	v_fma_f64 v[6:7], v[57:58], v[79:80], v[6:7]
	;; [unrolled: 1-line block ×8, first 2 shown]
	v_fma_f64 v[30:31], -v[57:58], v[81:82], v[30:31]
	v_fma_f64 v[14:15], v[51:52], v[81:82], v[6:7]
	v_fma_f64 v[36:37], -v[61:62], v[81:82], v[38:39]
	v_fma_f64 v[28:29], v[59:60], v[81:82], v[28:29]
	;; [unrolled: 2-line block ×4, first 2 shown]
	s_and_not1_b32 exec_lo, exec_lo, s7
	s_cbranch_execnz .LBB176_33
; %bb.34:
	s_or_b32 exec_lo, exec_lo, s7
.LBB176_35:
	s_delay_alu instid0(SALU_CYCLE_1) | instskip(NEXT) | instid1(SALU_CYCLE_1)
	s_or_b32 exec_lo, exec_lo, s6
	s_mov_b32 s6, exec_lo
	v_cmpx_lt_u64_e32 23, v[0:1]
	s_cbranch_execz .LBB176_39
; %bb.36:
	v_lshlrev_b64 v[0:1], 3, v[8:9]
	s_mov_b32 s7, 0
	s_delay_alu instid0(VALU_DEP_1) | instskip(NEXT) | instid1(VALU_DEP_2)
	v_add_co_u32 v0, vcc_lo, v0, s8
	v_add_co_ci_u32_e32 v1, vcc_lo, s9, v1, vcc_lo
	s_delay_alu instid0(VALU_DEP_2) | instskip(NEXT) | instid1(VALU_DEP_2)
	v_add_co_u32 v0, vcc_lo, 0x80, v0
	v_add_co_ci_u32_e32 v1, vcc_lo, 0, v1, vcc_lo
.LBB176_37:                             ; =>This Inner Loop Header: Depth=1
	global_load_b64 v[6:7], v[0:1], off offset:-128
	s_clause 0x1
	global_load_b128 v[2:5], v[12:13], off
	global_load_b128 v[40:43], v[12:13], off offset:16
	s_clause 0x2
	global_load_b64 v[48:49], v[0:1], off offset:-64
	global_load_b64 v[95:96], v[0:1], off
	global_load_b64 v[97:98], v[0:1], off offset:64
	v_add_co_u32 v0, s0, 0x100, v0
	s_delay_alu instid0(VALU_DEP_1)
	v_add_co_ci_u32_e64 v1, s0, 0, v1, s0
	s_waitcnt vmcnt(5)
	v_sub_co_u32 v6, vcc_lo, v6, s12
	v_subrev_co_ci_u32_e32 v7, vcc_lo, s15, v7, vcc_lo
	s_waitcnt vmcnt(4)
	v_cvt_f64_f32_e32 v[99:100], v3
	v_cvt_f64_f32_e32 v[101:102], v4
	;; [unrolled: 1-line block ×3, first 2 shown]
	v_lshlrev_b64 v[6:7], 6, v[6:7]
	s_waitcnt vmcnt(3)
	v_cvt_f64_f32_e32 v[105:106], v40
	v_cvt_f64_f32_e32 v[107:108], v42
	;; [unrolled: 1-line block ×3, first 2 shown]
	s_waitcnt lgkmcnt(0)
	v_add_co_u32 v6, vcc_lo, s4, v6
	v_add_co_ci_u32_e32 v7, vcc_lo, s5, v7, vcc_lo
	s_clause 0x1
	global_load_b128 v[44:47], v[6:7], off
	global_load_b128 v[51:54], v[6:7], off offset:16
	s_clause 0x3
	global_load_b128 v[55:58], v[12:13], off offset:32
	global_load_b128 v[59:62], v[12:13], off offset:48
	;; [unrolled: 1-line block ×4, first 2 shown]
	s_clause 0x1
	global_load_b128 v[71:74], v[6:7], off offset:32
	global_load_b128 v[75:78], v[6:7], off offset:48
	s_clause 0x3
	global_load_b128 v[79:82], v[12:13], off offset:96
	global_load_b128 v[83:86], v[12:13], off offset:112
	;; [unrolled: 1-line block ×4, first 2 shown]
	v_cvt_f64_f32_e32 v[6:7], v2
	s_waitcnt vmcnt(14)
	v_sub_co_u32 v2, vcc_lo, v48, s12
	v_subrev_co_ci_u32_e32 v3, vcc_lo, s15, v49, vcc_lo
	v_cvt_f64_f32_e32 v[48:49], v41
	s_delay_alu instid0(VALU_DEP_2) | instskip(NEXT) | instid1(VALU_DEP_1)
	v_lshlrev_b64 v[2:3], 6, v[2:3]
	v_add_co_u32 v111, vcc_lo, s4, v2
	s_delay_alu instid0(VALU_DEP_2)
	v_add_co_ci_u32_e32 v112, vcc_lo, s5, v3, vcc_lo
	s_waitcnt vmcnt(13)
	v_sub_co_u32 v95, vcc_lo, v95, s12
	s_clause 0x1
	global_load_b128 v[2:5], v[111:112], off
	global_load_b128 v[40:43], v[111:112], off offset:16
	v_subrev_co_ci_u32_e32 v96, vcc_lo, s15, v96, vcc_lo
	s_waitcnt vmcnt(13)
	v_fma_f64 v[113:114], v[6:7], v[44:45], v[30:31]
	v_fma_f64 v[14:15], v[99:100], v[44:45], v[14:15]
	;; [unrolled: 1-line block ×8, first 2 shown]
	s_clause 0x1
	global_load_b128 v[26:29], v[12:13], off offset:1056
	global_load_b128 v[30:33], v[12:13], off offset:1072
	s_waitcnt vmcnt(13)
	v_cvt_f64_f32_e32 v[119:120], v55
	v_cvt_f64_f32_e32 v[55:56], v56
	;; [unrolled: 1-line block ×4, first 2 shown]
	s_waitcnt vmcnt(12)
	v_cvt_f64_f32_e32 v[123:124], v59
	v_cvt_f64_f32_e32 v[59:60], v60
	;; [unrolled: 1-line block ×4, first 2 shown]
	v_fma_f64 v[99:100], -v[99:100], v[46:47], v[113:114]
	v_fma_f64 v[6:7], v[6:7], v[46:47], v[14:15]
	v_fma_f64 v[14:15], -v[103:104], v[46:47], v[36:37]
	v_fma_f64 v[36:37], v[101:102], v[46:47], v[115:116]
	;; [unrolled: 2-line block ×4, first 2 shown]
	s_waitcnt vmcnt(11)
	v_cvt_f64_f32_e32 v[105:106], v63
	v_cvt_f64_f32_e32 v[63:64], v64
	v_cvt_f64_f32_e32 v[107:108], v65
	v_cvt_f64_f32_e32 v[65:66], v66
	s_waitcnt vmcnt(10)
	v_cvt_f64_f32_e32 v[109:110], v67
	v_cvt_f64_f32_e32 v[67:68], v68
	v_cvt_f64_f32_e32 v[113:114], v69
	v_cvt_f64_f32_e32 v[69:70], v70
	;; [unrolled: 5-line block ×3, first 2 shown]
	v_fma_f64 v[99:100], v[119:120], v[51:52], v[99:100]
	v_fma_f64 v[6:7], v[55:56], v[51:52], v[6:7]
	;; [unrolled: 1-line block ×8, first 2 shown]
	s_clause 0x1
	global_load_b128 v[34:37], v[12:13], off offset:1088
	global_load_b128 v[44:47], v[12:13], off offset:1104
	v_fma_f64 v[55:56], -v[55:56], v[53:54], v[99:100]
	v_fma_f64 v[6:7], v[119:120], v[53:54], v[6:7]
	v_fma_f64 v[14:15], -v[57:58], v[53:54], v[14:15]
	v_fma_f64 v[57:58], v[121:122], v[53:54], v[101:102]
	;; [unrolled: 2-line block ×4, first 2 shown]
	global_load_b128 v[51:54], v[111:112], off offset:32
	s_waitcnt vmcnt(9)
	v_cvt_f64_f32_e32 v[119:120], v83
	v_cvt_f64_f32_e32 v[83:84], v84
	;; [unrolled: 1-line block ×4, first 2 shown]
	v_fma_f64 v[99:100], v[105:106], v[71:72], v[55:56]
	v_fma_f64 v[6:7], v[63:64], v[71:72], v[6:7]
	;; [unrolled: 1-line block ×8, first 2 shown]
	s_clause 0x1
	global_load_b128 v[55:58], v[12:13], off offset:1120
	global_load_b128 v[59:62], v[12:13], off offset:1136
	v_fma_f64 v[99:100], -v[63:64], v[73:74], v[99:100]
	v_fma_f64 v[6:7], v[105:106], v[73:74], v[6:7]
	v_fma_f64 v[14:15], -v[65:66], v[73:74], v[14:15]
	v_fma_f64 v[101:102], v[107:108], v[73:74], v[101:102]
	;; [unrolled: 2-line block ×4, first 2 shown]
	global_load_b128 v[63:66], v[111:112], off offset:48
	s_waitcnt vmcnt(11)
	v_cvt_f64_f32_e32 v[105:106], v87
	v_cvt_f64_f32_e32 v[87:88], v88
	;; [unrolled: 1-line block ×4, first 2 shown]
	s_waitcnt vmcnt(10)
	v_cvt_f64_f32_e32 v[109:110], v91
	v_cvt_f64_f32_e32 v[91:92], v92
	;; [unrolled: 1-line block ×4, first 2 shown]
	v_fma_f64 v[99:100], v[115:116], v[75:76], v[99:100]
	v_fma_f64 v[6:7], v[79:80], v[75:76], v[6:7]
	;; [unrolled: 1-line block ×8, first 2 shown]
	s_clause 0x1
	global_load_b128 v[67:70], v[12:13], off offset:2048
	global_load_b128 v[71:74], v[12:13], off offset:2064
	v_fma_f64 v[79:80], -v[79:80], v[77:78], v[99:100]
	v_fma_f64 v[6:7], v[115:116], v[77:78], v[6:7]
	v_fma_f64 v[14:15], -v[81:82], v[77:78], v[14:15]
	v_fma_f64 v[81:82], v[117:118], v[77:78], v[101:102]
	;; [unrolled: 2-line block ×4, first 2 shown]
	v_lshlrev_b64 v[75:76], 6, v[95:96]
	s_delay_alu instid0(VALU_DEP_1) | instskip(NEXT) | instid1(VALU_DEP_2)
	v_add_co_u32 v95, vcc_lo, s4, v75
	v_add_co_ci_u32_e32 v96, vcc_lo, s5, v76, vcc_lo
	global_load_b128 v[75:78], v[95:96], off
	s_waitcnt vmcnt(12)
	v_fma_f64 v[99:100], v[105:106], v[2:3], v[79:80]
	v_fma_f64 v[6:7], v[87:88], v[2:3], v[6:7]
	;; [unrolled: 1-line block ×8, first 2 shown]
	s_clause 0x1
	global_load_b128 v[79:82], v[12:13], off offset:2080
	global_load_b128 v[83:86], v[12:13], off offset:2096
	s_waitcnt vmcnt(12)
	v_cvt_f64_f32_e32 v[113:114], v26
	v_cvt_f64_f32_e32 v[115:116], v27
	;; [unrolled: 1-line block ×4, first 2 shown]
	s_waitcnt vmcnt(11)
	v_cvt_f64_f32_e32 v[121:122], v30
	v_cvt_f64_f32_e32 v[123:124], v31
	;; [unrolled: 1-line block ×4, first 2 shown]
	v_fma_f64 v[26:27], -v[87:88], v[4:5], v[99:100]
	v_fma_f64 v[6:7], v[105:106], v[4:5], v[6:7]
	v_fma_f64 v[14:15], -v[89:90], v[4:5], v[14:15]
	v_fma_f64 v[28:29], v[107:108], v[4:5], v[101:102]
	;; [unrolled: 2-line block ×4, first 2 shown]
	global_load_b128 v[2:5], v[95:96], off offset:16
	v_fma_f64 v[87:88], v[113:114], v[40:41], v[26:27]
	v_fma_f64 v[6:7], v[115:116], v[40:41], v[6:7]
	;; [unrolled: 1-line block ×8, first 2 shown]
	s_clause 0x1
	global_load_b128 v[26:29], v[12:13], off offset:2112
	global_load_b128 v[30:33], v[12:13], off offset:2128
	s_waitcnt vmcnt(13)
	v_cvt_f64_f32_e32 v[48:49], v34
	v_cvt_f64_f32_e32 v[99:100], v35
	v_cvt_f64_f32_e32 v[101:102], v36
	v_cvt_f64_f32_e32 v[103:104], v37
	s_waitcnt vmcnt(12)
	v_cvt_f64_f32_e32 v[105:106], v44
	v_cvt_f64_f32_e32 v[107:108], v45
	;; [unrolled: 1-line block ×4, first 2 shown]
	global_load_b128 v[34:37], v[95:96], off offset:32
	v_fma_f64 v[44:45], -v[115:116], v[42:43], v[87:88]
	v_fma_f64 v[6:7], v[113:114], v[42:43], v[6:7]
	v_fma_f64 v[14:15], -v[119:120], v[42:43], v[14:15]
	v_fma_f64 v[87:88], v[117:118], v[42:43], v[89:90]
	;; [unrolled: 2-line block ×4, first 2 shown]
	s_waitcnt vmcnt(12)
	v_fma_f64 v[93:94], v[48:49], v[51:52], v[44:45]
	v_fma_f64 v[6:7], v[99:100], v[51:52], v[6:7]
	v_fma_f64 v[14:15], v[101:102], v[51:52], v[14:15]
	v_fma_f64 v[87:88], v[103:104], v[51:52], v[87:88]
	v_fma_f64 v[89:90], v[105:106], v[51:52], v[89:90]
	v_fma_f64 v[91:92], v[107:108], v[51:52], v[91:92]
	v_fma_f64 v[111:112], v[109:110], v[51:52], v[38:39]
	v_fma_f64 v[51:52], v[46:47], v[51:52], v[40:41]
	s_clause 0x1
	global_load_b128 v[38:41], v[12:13], off offset:2144
	global_load_b128 v[42:45], v[12:13], off offset:2160
	s_waitcnt vmcnt(13)
	v_cvt_f64_f32_e32 v[113:114], v55
	v_cvt_f64_f32_e32 v[115:116], v56
	;; [unrolled: 1-line block ×4, first 2 shown]
	s_waitcnt vmcnt(12)
	v_cvt_f64_f32_e32 v[121:122], v59
	v_cvt_f64_f32_e32 v[59:60], v60
	;; [unrolled: 1-line block ×4, first 2 shown]
	v_fma_f64 v[55:56], -v[99:100], v[53:54], v[93:94]
	v_fma_f64 v[6:7], v[48:49], v[53:54], v[6:7]
	v_fma_f64 v[14:15], -v[103:104], v[53:54], v[14:15]
	v_fma_f64 v[57:58], v[101:102], v[53:54], v[87:88]
	;; [unrolled: 2-line block ×4, first 2 shown]
	global_load_b128 v[46:49], v[95:96], off offset:48
	s_waitcnt vmcnt(12)
	v_fma_f64 v[93:94], v[113:114], v[63:64], v[55:56]
	v_fma_f64 v[6:7], v[115:116], v[63:64], v[6:7]
	;; [unrolled: 1-line block ×8, first 2 shown]
	s_clause 0x1
	global_load_b128 v[51:54], v[12:13], off offset:3072
	global_load_b128 v[55:58], v[12:13], off offset:3088
	s_waitcnt vmcnt(13)
	v_cvt_f64_f32_e32 v[99:100], v67
	v_cvt_f64_f32_e32 v[101:102], v68
	;; [unrolled: 1-line block ×4, first 2 shown]
	s_waitcnt vmcnt(12)
	v_cvt_f64_f32_e32 v[107:108], v71
	v_cvt_f64_f32_e32 v[71:72], v72
	;; [unrolled: 1-line block ×4, first 2 shown]
	v_sub_co_u32 v67, vcc_lo, v97, s12
	v_subrev_co_ci_u32_e32 v68, vcc_lo, s15, v98, vcc_lo
	v_fma_f64 v[69:70], -v[115:116], v[65:66], v[93:94]
	v_fma_f64 v[6:7], v[113:114], v[65:66], v[6:7]
	v_fma_f64 v[14:15], -v[119:120], v[65:66], v[14:15]
	v_fma_f64 v[93:94], v[117:118], v[65:66], v[95:96]
	;; [unrolled: 2-line block ×4, first 2 shown]
	v_lshlrev_b64 v[59:60], 6, v[67:68]
	s_delay_alu instid0(VALU_DEP_1) | instskip(NEXT) | instid1(VALU_DEP_2)
	v_add_co_u32 v95, vcc_lo, s4, v59
	v_add_co_ci_u32_e32 v96, vcc_lo, s5, v60, vcc_lo
	v_add_co_u32 v8, vcc_lo, v8, 32
	v_add_co_ci_u32_e32 v9, vcc_lo, 0, v9, vcc_lo
	global_load_b128 v[59:62], v[95:96], off
	s_waitcnt vmcnt(12)
	v_fma_f64 v[97:98], v[99:100], v[75:76], v[69:70]
	v_fma_f64 v[6:7], v[101:102], v[75:76], v[6:7]
	;; [unrolled: 1-line block ×8, first 2 shown]
	s_clause 0x1
	global_load_b128 v[63:66], v[12:13], off offset:3104
	global_load_b128 v[67:70], v[12:13], off offset:3120
	s_waitcnt vmcnt(13)
	v_cvt_f64_f32_e32 v[111:112], v79
	v_cvt_f64_f32_e32 v[113:114], v80
	;; [unrolled: 1-line block ×4, first 2 shown]
	s_waitcnt vmcnt(12)
	v_cvt_f64_f32_e32 v[119:120], v83
	v_cvt_f64_f32_e32 v[83:84], v84
	;; [unrolled: 1-line block ×4, first 2 shown]
	v_fma_f64 v[79:80], -v[101:102], v[77:78], v[97:98]
	v_fma_f64 v[6:7], v[99:100], v[77:78], v[6:7]
	v_fma_f64 v[14:15], -v[105:106], v[77:78], v[14:15]
	v_fma_f64 v[81:82], v[103:104], v[77:78], v[93:94]
	;; [unrolled: 2-line block ×4, first 2 shown]
	global_load_b128 v[71:74], v[95:96], off offset:16
	s_waitcnt vmcnt(12)
	v_fma_f64 v[93:94], v[111:112], v[2:3], v[79:80]
	v_fma_f64 v[6:7], v[113:114], v[2:3], v[6:7]
	;; [unrolled: 1-line block ×8, first 2 shown]
	s_clause 0x1
	global_load_b128 v[75:78], v[12:13], off offset:3136
	global_load_b128 v[79:82], v[12:13], off offset:3152
	s_waitcnt vmcnt(13)
	v_cvt_f64_f32_e32 v[99:100], v26
	v_cvt_f64_f32_e32 v[101:102], v27
	;; [unrolled: 1-line block ×4, first 2 shown]
	s_waitcnt vmcnt(12)
	v_cvt_f64_f32_e32 v[107:108], v30
	v_cvt_f64_f32_e32 v[109:110], v31
	;; [unrolled: 1-line block ×4, first 2 shown]
	v_fma_f64 v[26:27], -v[113:114], v[4:5], v[93:94]
	v_fma_f64 v[6:7], v[111:112], v[4:5], v[6:7]
	v_fma_f64 v[14:15], -v[117:118], v[4:5], v[14:15]
	v_fma_f64 v[28:29], v[115:116], v[4:5], v[97:98]
	;; [unrolled: 2-line block ×4, first 2 shown]
	global_load_b128 v[2:5], v[95:96], off offset:32
	s_waitcnt vmcnt(12)
	v_fma_f64 v[87:88], v[99:100], v[34:35], v[26:27]
	v_fma_f64 v[6:7], v[101:102], v[34:35], v[6:7]
	;; [unrolled: 1-line block ×8, first 2 shown]
	s_clause 0x1
	global_load_b128 v[26:29], v[12:13], off offset:3168
	global_load_b128 v[30:33], v[12:13], off offset:3184
	v_add_co_u32 v12, vcc_lo, 0x1000, v12
	v_add_co_ci_u32_e32 v13, vcc_lo, 0, v13, vcc_lo
	v_cmp_ge_i64_e32 vcc_lo, v[8:9], v[10:11]
	s_or_b32 s7, vcc_lo, s7
	s_waitcnt vmcnt(13)
	v_cvt_f64_f32_e32 v[85:86], v38
	v_cvt_f64_f32_e32 v[97:98], v39
	;; [unrolled: 1-line block ×4, first 2 shown]
	s_waitcnt vmcnt(12)
	v_cvt_f64_f32_e32 v[115:116], v42
	v_cvt_f64_f32_e32 v[42:43], v43
	;; [unrolled: 1-line block ×4, first 2 shown]
	global_load_b128 v[38:41], v[95:96], off offset:48
	v_fma_f64 v[87:88], -v[101:102], v[36:37], v[87:88]
	v_fma_f64 v[6:7], v[99:100], v[36:37], v[6:7]
	v_fma_f64 v[14:15], -v[105:106], v[36:37], v[14:15]
	v_fma_f64 v[89:90], v[103:104], v[36:37], v[89:90]
	v_fma_f64 v[91:92], -v[109:110], v[36:37], v[91:92]
	v_fma_f64 v[93:94], v[107:108], v[36:37], v[93:94]
	v_fma_f64 v[83:84], -v[125:126], v[36:37], v[83:84]
	v_fma_f64 v[34:35], v[123:124], v[36:37], v[34:35]
	s_waitcnt vmcnt(12)
	v_fma_f64 v[36:37], v[85:86], v[46:47], v[87:88]
	v_fma_f64 v[6:7], v[97:98], v[46:47], v[6:7]
	v_fma_f64 v[14:15], v[111:112], v[46:47], v[14:15]
	v_fma_f64 v[87:88], v[113:114], v[46:47], v[89:90]
	v_fma_f64 v[89:90], v[115:116], v[46:47], v[91:92]
	v_fma_f64 v[91:92], v[42:43], v[46:47], v[93:94]
	v_fma_f64 v[83:84], v[117:118], v[46:47], v[83:84]
	v_fma_f64 v[34:35], v[44:45], v[46:47], v[34:35]
	s_waitcnt vmcnt(11)
	v_cvt_f64_f32_e32 v[46:47], v51
	v_cvt_f64_f32_e32 v[51:52], v52
	v_cvt_f64_f32_e32 v[93:94], v53
	v_cvt_f64_f32_e32 v[53:54], v54
	s_waitcnt vmcnt(10)
	v_cvt_f64_f32_e32 v[95:96], v55
	v_cvt_f64_f32_e32 v[55:56], v56
	v_cvt_f64_f32_e32 v[99:100], v57
	v_cvt_f64_f32_e32 v[57:58], v58
	v_fma_f64 v[36:37], -v[97:98], v[48:49], v[36:37]
	v_fma_f64 v[6:7], v[85:86], v[48:49], v[6:7]
	v_fma_f64 v[14:15], -v[113:114], v[48:49], v[14:15]
	v_fma_f64 v[85:86], v[111:112], v[48:49], v[87:88]
	v_fma_f64 v[42:43], -v[42:43], v[48:49], v[89:90]
	v_fma_f64 v[87:88], v[115:116], v[48:49], v[91:92]
	v_fma_f64 v[44:45], -v[44:45], v[48:49], v[83:84]
	v_fma_f64 v[34:35], v[117:118], v[48:49], v[34:35]
	s_waitcnt vmcnt(9)
	v_fma_f64 v[36:37], v[46:47], v[59:60], v[36:37]
	v_fma_f64 v[6:7], v[51:52], v[59:60], v[6:7]
	v_fma_f64 v[14:15], v[93:94], v[59:60], v[14:15]
	v_fma_f64 v[48:49], v[53:54], v[59:60], v[85:86]
	v_fma_f64 v[42:43], v[95:96], v[59:60], v[42:43]
	v_fma_f64 v[83:84], v[55:56], v[59:60], v[87:88]
	v_fma_f64 v[44:45], v[99:100], v[59:60], v[44:45]
	v_fma_f64 v[34:35], v[57:58], v[59:60], v[34:35]
	s_waitcnt vmcnt(8)
	v_cvt_f64_f32_e32 v[59:60], v63
	v_cvt_f64_f32_e32 v[63:64], v64
	v_cvt_f64_f32_e32 v[85:86], v65
	v_cvt_f64_f32_e32 v[65:66], v66
	s_waitcnt vmcnt(7)
	v_cvt_f64_f32_e32 v[87:88], v67
	v_cvt_f64_f32_e32 v[67:68], v68
	v_cvt_f64_f32_e32 v[89:90], v69
	v_cvt_f64_f32_e32 v[69:70], v70
	;; [unrolled: 27-line block ×4, first 2 shown]
	v_fma_f64 v[30:31], -v[53:54], v[4:5], v[36:37]
	v_fma_f64 v[6:7], v[51:52], v[4:5], v[6:7]
	v_fma_f64 v[14:15], -v[57:58], v[4:5], v[14:15]
	v_fma_f64 v[36:37], v[55:56], v[4:5], v[46:47]
	;; [unrolled: 2-line block ×4, first 2 shown]
	s_waitcnt vmcnt(0)
	v_fma_f64 v[4:5], v[34:35], v[38:39], v[30:31]
	v_fma_f64 v[6:7], v[26:27], v[38:39], v[6:7]
	;; [unrolled: 1-line block ×8, first 2 shown]
	v_fma_f64 v[30:31], -v[26:27], v[40:41], v[4:5]
	v_fma_f64 v[14:15], v[34:35], v[40:41], v[6:7]
	v_fma_f64 v[36:37], -v[28:29], v[40:41], v[48:49]
	v_fma_f64 v[28:29], v[59:60], v[40:41], v[51:52]
	;; [unrolled: 2-line block ×4, first 2 shown]
	s_and_not1_b32 exec_lo, exec_lo, s7
	s_cbranch_execnz .LBB176_37
; %bb.38:
	s_or_b32 exec_lo, exec_lo, s7
.LBB176_39:
	s_delay_alu instid0(SALU_CYCLE_1)
	s_or_b32 exec_lo, exec_lo, s6
.LBB176_40:
	s_delay_alu instid0(SALU_CYCLE_1)
	s_or_b32 exec_lo, exec_lo, s1
.LBB176_41:
	v_mbcnt_lo_u32_b32 v42, -1, 0
	s_delay_alu instid0(VALU_DEP_1) | instskip(NEXT) | instid1(VALU_DEP_1)
	v_xor_b32_e32 v0, 4, v42
	v_cmp_gt_i32_e32 vcc_lo, 32, v0
	v_cndmask_b32_e32 v0, v42, v0, vcc_lo
	s_delay_alu instid0(VALU_DEP_1)
	v_lshlrev_b32_e32 v41, 2, v0
	ds_bpermute_b32 v2, v41, v14
	ds_bpermute_b32 v3, v41, v15
	s_waitcnt lgkmcnt(0)
	v_add_f64 v[2:3], v[14:15], v[2:3]
	v_xor_b32_e32 v14, 2, v42
	s_delay_alu instid0(VALU_DEP_1)
	v_cmp_gt_i32_e32 vcc_lo, 32, v14
	v_cndmask_b32_e32 v14, v42, v14, vcc_lo
	ds_bpermute_b32 v0, v41, v30
	ds_bpermute_b32 v1, v41, v31
	;; [unrolled: 1-line block ×14, first 2 shown]
	s_waitcnt lgkmcnt(12)
	v_add_f64 v[0:1], v[30:31], v[0:1]
	s_waitcnt lgkmcnt(10)
	v_add_f64 v[4:5], v[36:37], v[4:5]
	;; [unrolled: 2-line block ×7, first 2 shown]
	v_lshlrev_b32_e32 v41, 2, v14
	ds_bpermute_b32 v28, v41, v2
	ds_bpermute_b32 v29, v41, v3
	;; [unrolled: 1-line block ×16, first 2 shown]
	s_waitcnt lgkmcnt(14)
	v_add_f64 v[28:29], v[2:3], v[28:29]
	s_waitcnt lgkmcnt(12)
	v_add_f64 v[0:1], v[0:1], v[14:15]
	;; [unrolled: 2-line block ×7, first 2 shown]
	v_xor_b32_e32 v12, 1, v42
	s_waitcnt lgkmcnt(0)
	v_add_f64 v[8:9], v[26:27], v[40:41]
	s_delay_alu instid0(VALU_DEP_2) | instskip(SKIP_2) | instid1(VALU_DEP_2)
	v_cmp_gt_i32_e32 vcc_lo, 32, v12
	v_cndmask_b32_e32 v12, v42, v12, vcc_lo
	v_cmp_eq_u32_e32 vcc_lo, 7, v50
	v_lshlrev_b32_e32 v35, 2, v12
	ds_bpermute_b32 v40, v35, v28
	ds_bpermute_b32 v41, v35, v29
	;; [unrolled: 1-line block ×16, first 2 shown]
	s_and_b32 exec_lo, exec_lo, vcc_lo
	s_cbranch_execz .LBB176_12
; %bb.42:
	s_waitcnt lgkmcnt(14)
	v_add_f64 v[28:29], v[28:29], v[40:41]
	s_waitcnt lgkmcnt(8)
	v_add_f64 v[14:15], v[14:15], v[38:39]
	;; [unrolled: 2-line block ×4, first 2 shown]
	v_add_f64 v[0:1], v[0:1], v[12:13]
	v_add_f64 v[2:3], v[2:3], v[26:27]
	;; [unrolled: 1-line block ×4, first 2 shown]
	v_cmp_eq_f64_e32 vcc_lo, 0, v[16:17]
	v_cmp_eq_f64_e64 s0, 0, v[18:19]
	s_load_b64 s[2:3], s[2:3], 0x68
	v_mul_f64 v[4:5], v[28:29], -v[22:23]
	v_mul_f64 v[6:7], v[20:21], v[28:29]
	v_mul_f64 v[28:29], v[14:15], -v[22:23]
	v_mul_f64 v[32:33], v[20:21], v[14:15]
	;; [unrolled: 2-line block ×4, first 2 shown]
	s_and_b32 s0, vcc_lo, s0
	v_fma_f64 v[12:13], v[20:21], v[0:1], v[4:5]
	v_fma_f64 v[14:15], v[22:23], v[0:1], v[6:7]
	;; [unrolled: 1-line block ×8, first 2 shown]
	v_lshlrev_b64 v[20:21], 6, v[24:25]
	s_and_saveexec_b32 s1, s0
	s_delay_alu instid0(SALU_CYCLE_1)
	s_xor_b32 s0, exec_lo, s1
	s_cbranch_execz .LBB176_44
; %bb.43:
	s_waitcnt lgkmcnt(0)
	s_delay_alu instid0(VALU_DEP_1)
	v_add_co_u32 v16, vcc_lo, s2, v20
	v_add_co_ci_u32_e32 v17, vcc_lo, s3, v21, vcc_lo
                                        ; implicit-def: $vgpr18_vgpr19
                                        ; implicit-def: $vgpr20_vgpr21
	s_clause 0x3
	global_store_b128 v[16:17], v[12:15], off
	global_store_b128 v[16:17], v[8:11], off offset:16
	global_store_b128 v[16:17], v[4:7], off offset:32
	;; [unrolled: 1-line block ×3, first 2 shown]
                                        ; implicit-def: $vgpr16_vgpr17
                                        ; implicit-def: $vgpr12_vgpr13
                                        ; implicit-def: $vgpr8_vgpr9
                                        ; implicit-def: $vgpr4_vgpr5
                                        ; implicit-def: $vgpr0_vgpr1
.LBB176_44:
	s_and_not1_saveexec_b32 s0, s0
	s_cbranch_execz .LBB176_12
; %bb.45:
	s_waitcnt lgkmcnt(0)
	v_add_co_u32 v36, vcc_lo, s2, v20
	v_add_co_ci_u32_e32 v37, vcc_lo, s3, v21, vcc_lo
	s_clause 0x3
	global_load_b128 v[20:23], v[36:37], off
	global_load_b128 v[24:27], v[36:37], off offset:16
	global_load_b128 v[28:31], v[36:37], off offset:32
	;; [unrolled: 1-line block ×3, first 2 shown]
	s_waitcnt vmcnt(3)
	v_fma_f64 v[12:13], v[16:17], v[20:21], v[12:13]
	v_fma_f64 v[14:15], v[18:19], v[20:21], v[14:15]
	s_waitcnt vmcnt(2)
	v_fma_f64 v[8:9], v[16:17], v[24:25], v[8:9]
	v_fma_f64 v[10:11], v[18:19], v[24:25], v[10:11]
	;; [unrolled: 3-line block ×4, first 2 shown]
	v_fma_f64 v[0:1], -v[18:19], v[22:23], v[12:13]
	v_fma_f64 v[2:3], v[16:17], v[22:23], v[14:15]
	v_fma_f64 v[4:5], -v[18:19], v[26:27], v[8:9]
	v_fma_f64 v[6:7], v[16:17], v[26:27], v[10:11]
	;; [unrolled: 2-line block ×4, first 2 shown]
	s_clause 0x3
	global_store_b128 v[36:37], v[0:3], off
	global_store_b128 v[36:37], v[4:7], off offset:16
	global_store_b128 v[36:37], v[8:11], off offset:32
	;; [unrolled: 1-line block ×3, first 2 shown]
	s_nop 0
	s_sendmsg sendmsg(MSG_DEALLOC_VGPRS)
	s_endpgm
	.section	.rodata,"a",@progbits
	.p2align	6, 0x0
	.amdhsa_kernel _ZN9rocsparseL18bsrxmvn_4x4_kernelILj128ELj8E21rocsparse_complex_numIdEllS1_IfES2_S2_EEvT3_20rocsparse_direction_NS_24const_host_device_scalarIT1_EES4_PKS4_PKT2_SD_SA_PKT4_PKT5_S8_PT6_21rocsparse_index_base_b
		.amdhsa_group_segment_fixed_size 2048
		.amdhsa_private_segment_fixed_size 0
		.amdhsa_kernarg_size 120
		.amdhsa_user_sgpr_count 15
		.amdhsa_user_sgpr_dispatch_ptr 1
		.amdhsa_user_sgpr_queue_ptr 0
		.amdhsa_user_sgpr_kernarg_segment_ptr 1
		.amdhsa_user_sgpr_dispatch_id 0
		.amdhsa_user_sgpr_private_segment_size 0
		.amdhsa_wavefront_size32 1
		.amdhsa_uses_dynamic_stack 0
		.amdhsa_enable_private_segment 0
		.amdhsa_system_sgpr_workgroup_id_x 1
		.amdhsa_system_sgpr_workgroup_id_y 0
		.amdhsa_system_sgpr_workgroup_id_z 0
		.amdhsa_system_sgpr_workgroup_info 0
		.amdhsa_system_vgpr_workitem_id 2
		.amdhsa_next_free_vgpr 137
		.amdhsa_next_free_sgpr 18
		.amdhsa_reserve_vcc 1
		.amdhsa_float_round_mode_32 0
		.amdhsa_float_round_mode_16_64 0
		.amdhsa_float_denorm_mode_32 3
		.amdhsa_float_denorm_mode_16_64 3
		.amdhsa_dx10_clamp 1
		.amdhsa_ieee_mode 1
		.amdhsa_fp16_overflow 0
		.amdhsa_workgroup_processor_mode 1
		.amdhsa_memory_ordered 1
		.amdhsa_forward_progress 0
		.amdhsa_shared_vgpr_count 0
		.amdhsa_exception_fp_ieee_invalid_op 0
		.amdhsa_exception_fp_denorm_src 0
		.amdhsa_exception_fp_ieee_div_zero 0
		.amdhsa_exception_fp_ieee_overflow 0
		.amdhsa_exception_fp_ieee_underflow 0
		.amdhsa_exception_fp_ieee_inexact 0
		.amdhsa_exception_int_div_zero 0
	.end_amdhsa_kernel
	.section	.text._ZN9rocsparseL18bsrxmvn_4x4_kernelILj128ELj8E21rocsparse_complex_numIdEllS1_IfES2_S2_EEvT3_20rocsparse_direction_NS_24const_host_device_scalarIT1_EES4_PKS4_PKT2_SD_SA_PKT4_PKT5_S8_PT6_21rocsparse_index_base_b,"axG",@progbits,_ZN9rocsparseL18bsrxmvn_4x4_kernelILj128ELj8E21rocsparse_complex_numIdEllS1_IfES2_S2_EEvT3_20rocsparse_direction_NS_24const_host_device_scalarIT1_EES4_PKS4_PKT2_SD_SA_PKT4_PKT5_S8_PT6_21rocsparse_index_base_b,comdat
.Lfunc_end176:
	.size	_ZN9rocsparseL18bsrxmvn_4x4_kernelILj128ELj8E21rocsparse_complex_numIdEllS1_IfES2_S2_EEvT3_20rocsparse_direction_NS_24const_host_device_scalarIT1_EES4_PKS4_PKT2_SD_SA_PKT4_PKT5_S8_PT6_21rocsparse_index_base_b, .Lfunc_end176-_ZN9rocsparseL18bsrxmvn_4x4_kernelILj128ELj8E21rocsparse_complex_numIdEllS1_IfES2_S2_EEvT3_20rocsparse_direction_NS_24const_host_device_scalarIT1_EES4_PKS4_PKT2_SD_SA_PKT4_PKT5_S8_PT6_21rocsparse_index_base_b
                                        ; -- End function
	.section	.AMDGPU.csdata,"",@progbits
; Kernel info:
; codeLenInByte = 11652
; NumSgprs: 20
; NumVgprs: 137
; ScratchSize: 0
; MemoryBound: 0
; FloatMode: 240
; IeeeMode: 1
; LDSByteSize: 2048 bytes/workgroup (compile time only)
; SGPRBlocks: 2
; VGPRBlocks: 17
; NumSGPRsForWavesPerEU: 20
; NumVGPRsForWavesPerEU: 137
; Occupancy: 10
; WaveLimiterHint : 1
; COMPUTE_PGM_RSRC2:SCRATCH_EN: 0
; COMPUTE_PGM_RSRC2:USER_SGPR: 15
; COMPUTE_PGM_RSRC2:TRAP_HANDLER: 0
; COMPUTE_PGM_RSRC2:TGID_X_EN: 1
; COMPUTE_PGM_RSRC2:TGID_Y_EN: 0
; COMPUTE_PGM_RSRC2:TGID_Z_EN: 0
; COMPUTE_PGM_RSRC2:TIDIG_COMP_CNT: 2
	.section	.text._ZN9rocsparseL18bsrxmvn_4x4_kernelILj128ELj16E21rocsparse_complex_numIdEllS1_IfES2_S2_EEvT3_20rocsparse_direction_NS_24const_host_device_scalarIT1_EES4_PKS4_PKT2_SD_SA_PKT4_PKT5_S8_PT6_21rocsparse_index_base_b,"axG",@progbits,_ZN9rocsparseL18bsrxmvn_4x4_kernelILj128ELj16E21rocsparse_complex_numIdEllS1_IfES2_S2_EEvT3_20rocsparse_direction_NS_24const_host_device_scalarIT1_EES4_PKS4_PKT2_SD_SA_PKT4_PKT5_S8_PT6_21rocsparse_index_base_b,comdat
	.globl	_ZN9rocsparseL18bsrxmvn_4x4_kernelILj128ELj16E21rocsparse_complex_numIdEllS1_IfES2_S2_EEvT3_20rocsparse_direction_NS_24const_host_device_scalarIT1_EES4_PKS4_PKT2_SD_SA_PKT4_PKT5_S8_PT6_21rocsparse_index_base_b ; -- Begin function _ZN9rocsparseL18bsrxmvn_4x4_kernelILj128ELj16E21rocsparse_complex_numIdEllS1_IfES2_S2_EEvT3_20rocsparse_direction_NS_24const_host_device_scalarIT1_EES4_PKS4_PKT2_SD_SA_PKT4_PKT5_S8_PT6_21rocsparse_index_base_b
	.p2align	8
	.type	_ZN9rocsparseL18bsrxmvn_4x4_kernelILj128ELj16E21rocsparse_complex_numIdEllS1_IfES2_S2_EEvT3_20rocsparse_direction_NS_24const_host_device_scalarIT1_EES4_PKS4_PKT2_SD_SA_PKT4_PKT5_S8_PT6_21rocsparse_index_base_b,@function
_ZN9rocsparseL18bsrxmvn_4x4_kernelILj128ELj16E21rocsparse_complex_numIdEllS1_IfES2_S2_EEvT3_20rocsparse_direction_NS_24const_host_device_scalarIT1_EES4_PKS4_PKT2_SD_SA_PKT4_PKT5_S8_PT6_21rocsparse_index_base_b: ; @_ZN9rocsparseL18bsrxmvn_4x4_kernelILj128ELj16E21rocsparse_complex_numIdEllS1_IfES2_S2_EEvT3_20rocsparse_direction_NS_24const_host_device_scalarIT1_EES4_PKS4_PKT2_SD_SA_PKT4_PKT5_S8_PT6_21rocsparse_index_base_b
; %bb.0:
	s_load_b64 s[12:13], s[2:3], 0x70
	s_load_b64 s[16:17], s[0:1], 0x4
	s_load_b128 s[8:11], s[2:3], 0x10
	v_bfe_u32 v1, v0, 10, 10
	s_mov_b64 s[0:1], src_shared_base
	s_load_b128 s[4:7], s[2:3], 0x58
	v_and_b32_e32 v2, 0x3ff, v0
	v_bfe_u32 v0, v0, 20, 10
	s_waitcnt lgkmcnt(0)
	s_bitcmp1_b32 s13, 0
	v_mul_u32_u24_e32 v1, s17, v1
	v_mov_b32_e32 v3, s8
	s_cselect_b32 s0, -1, 0
	v_mov_b32_e32 v23, s11
	s_and_b32 vcc_lo, s0, exec_lo
	s_cselect_b32 s13, s1, s9
	s_lshr_b32 s14, s16, 16
	v_dual_mov_b32 v6, s5 :: v_dual_mov_b32 v5, s4
	s_mul_i32 s14, s14, s17
	v_mov_b32_e32 v8, s13
	v_mad_u32_u24 v1, s14, v2, v1
	v_mov_b32_e32 v22, s10
	s_xor_b32 s10, s0, -1
	v_mov_b32_e32 v4, s9
	s_delay_alu instid0(VALU_DEP_3) | instskip(NEXT) | instid1(VALU_DEP_1)
	v_add_lshl_u32 v0, v1, v0, 3
	v_add_nc_u32_e32 v1, 0x400, v0
	ds_store_2addr_stride64_b64 v0, v[5:6], v[3:4] offset1:2
	v_cndmask_b32_e64 v7, s8, v1, s0
	flat_load_b64 v[20:21], v[7:8]
	s_cbranch_vccnz .LBB177_2
; %bb.1:
	v_dual_mov_b32 v3, s8 :: v_dual_mov_b32 v4, s9
	flat_load_b64 v[22:23], v[3:4] offset:8
.LBB177_2:
	s_and_b32 s8, s0, exec_lo
	s_cselect_b32 s1, s1, s5
	v_cndmask_b32_e64 v0, s4, v0, s0
	v_mov_b32_e32 v1, s1
	v_dual_mov_b32 v19, s7 :: v_dual_mov_b32 v18, s6
	s_and_not1_b32 vcc_lo, exec_lo, s10
	flat_load_b64 v[16:17], v[0:1]
	s_cbranch_vccnz .LBB177_4
; %bb.3:
	v_dual_mov_b32 v0, s4 :: v_dual_mov_b32 v1, s5
	flat_load_b64 v[18:19], v[0:1] offset:8
.LBB177_4:
	s_waitcnt vmcnt(1) lgkmcnt(1)
	v_cmp_eq_f64_e32 vcc_lo, 0, v[20:21]
	v_cmp_eq_f64_e64 s0, 0, v[22:23]
	s_delay_alu instid0(VALU_DEP_1)
	s_and_b32 s4, vcc_lo, s0
	s_mov_b32 s0, -1
	s_and_saveexec_b32 s1, s4
	s_cbranch_execz .LBB177_6
; %bb.5:
	s_waitcnt vmcnt(0) lgkmcnt(0)
	v_cmp_neq_f64_e32 vcc_lo, 1.0, v[16:17]
	v_cmp_neq_f64_e64 s0, 0, v[18:19]
	s_delay_alu instid0(VALU_DEP_1) | instskip(NEXT) | instid1(SALU_CYCLE_1)
	s_or_b32 s0, vcc_lo, s0
	s_or_not1_b32 s0, s0, exec_lo
.LBB177_6:
	s_or_b32 exec_lo, exec_lo, s1
	s_and_saveexec_b32 s1, s0
	s_cbranch_execz .LBB177_12
; %bb.7:
	s_load_b64 s[0:1], s[2:3], 0x28
	v_lshrrev_b32_e32 v0, 4, v2
	v_mov_b32_e32 v1, 0
	s_mov_b32 s4, 0
	s_delay_alu instid0(VALU_DEP_2)
	v_lshl_or_b32 v0, s15, 3, v0
	s_waitcnt lgkmcnt(0)
	s_cmp_lg_u64 s[0:1], 0
	s_cbranch_scc0 .LBB177_13
; %bb.8:
	s_load_b64 s[4:5], s[2:3], 0x20
                                        ; implicit-def: $vgpr24_vgpr25
	s_waitcnt lgkmcnt(0)
	v_cmp_gt_i64_e32 vcc_lo, s[4:5], v[0:1]
	s_mov_b32 s5, 0
	s_mov_b32 s4, 0
	s_and_saveexec_b32 s6, vcc_lo
	s_delay_alu instid0(SALU_CYCLE_1)
	s_xor_b32 s6, exec_lo, s6
                                        ; implicit-def: $sgpr14_sgpr15
	s_cbranch_execz .LBB177_10
; %bb.9:
	v_lshlrev_b64 v[3:4], 3, v[0:1]
	s_mov_b32 s4, exec_lo
	s_mov_b32 s15, 0
	s_delay_alu instid0(VALU_DEP_1) | instskip(NEXT) | instid1(VALU_DEP_2)
	v_add_co_u32 v3, vcc_lo, s0, v3
	v_add_co_ci_u32_e32 v4, vcc_lo, s1, v4, vcc_lo
	global_load_b64 v[3:4], v[3:4], off
	s_waitcnt vmcnt(0)
	v_sub_co_u32 v24, vcc_lo, v3, s12
	v_subrev_co_ci_u32_e32 v25, vcc_lo, 0, v4, vcc_lo
.LBB177_10:
	s_or_b32 exec_lo, exec_lo, s6
	s_delay_alu instid0(SALU_CYCLE_1)
	s_and_b32 vcc_lo, exec_lo, s5
	s_cbranch_vccnz .LBB177_14
.LBB177_11:
	s_and_b32 exec_lo, exec_lo, s4
	s_cbranch_execnz .LBB177_17
.LBB177_12:
	s_nop 0
	s_sendmsg sendmsg(MSG_DEALLOC_VGPRS)
	s_endpgm
.LBB177_13:
                                        ; implicit-def: $vgpr24_vgpr25
                                        ; implicit-def: $sgpr14_sgpr15
	s_cbranch_execz .LBB177_11
.LBB177_14:
	s_load_b64 s[0:1], s[2:3], 0x0
                                        ; implicit-def: $vgpr24_vgpr25
	s_waitcnt lgkmcnt(0)
	v_cmp_gt_i64_e32 vcc_lo, s[0:1], v[0:1]
	s_and_saveexec_b32 s0, vcc_lo
                                        ; implicit-def: $sgpr14_sgpr15
; %bb.15:
	v_dual_mov_b32 v25, v1 :: v_dual_mov_b32 v24, v0
	s_mov_b32 s15, 0
	s_or_b32 s4, s4, exec_lo
; %bb.16:
	s_or_b32 exec_lo, exec_lo, s0
	s_delay_alu instid0(SALU_CYCLE_1)
	s_and_b32 exec_lo, exec_lo, s4
	s_cbranch_execz .LBB177_12
.LBB177_17:
	s_load_b256 s[4:11], s[2:3], 0x30
	v_lshlrev_b64 v[0:1], 3, v[24:25]
	v_and_b32_e32 v50, 15, v2
	s_load_b32 s1, s[2:3], 0x8
	s_waitcnt lgkmcnt(0)
	s_delay_alu instid0(VALU_DEP_2) | instskip(NEXT) | instid1(VALU_DEP_3)
	v_add_co_u32 v3, vcc_lo, s4, v0
	v_add_co_ci_u32_e32 v4, vcc_lo, s5, v1, vcc_lo
	v_add_co_u32 v0, vcc_lo, s6, v0
	v_add_co_ci_u32_e32 v1, vcc_lo, s7, v1, vcc_lo
	s_delay_alu instid0(VALU_DEP_4) | instskip(NEXT) | instid1(VALU_DEP_4)
	v_add_co_u32 v5, vcc_lo, v3, 8
	v_add_co_ci_u32_e32 v6, vcc_lo, 0, v4, vcc_lo
	global_load_b64 v[40:41], v[3:4], off
	s_cmp_eq_u64 s[6:7], 0
	s_load_b64 s[4:5], s[2:3], 0x50
	s_cselect_b32 vcc_lo, -1, 0
	s_cmp_eq_u32 s1, 1
	v_dual_cndmask_b32 v1, v1, v6 :: v_dual_cndmask_b32 v0, v0, v5
	global_load_b64 v[0:1], v[0:1], off
	s_waitcnt vmcnt(1)
	v_sub_co_u32 v2, vcc_lo, v40, s12
	v_subrev_co_ci_u32_e32 v3, vcc_lo, s15, v41, vcc_lo
	s_delay_alu instid0(VALU_DEP_2) | instskip(NEXT) | instid1(VALU_DEP_2)
	v_add_co_u32 v8, vcc_lo, v2, v50
	v_add_co_ci_u32_e32 v9, vcc_lo, 0, v3, vcc_lo
	s_waitcnt vmcnt(0)
	v_sub_co_u32 v10, vcc_lo, v0, s12
	v_subrev_co_ci_u32_e32 v11, vcc_lo, s15, v1, vcc_lo
	s_delay_alu instid0(VALU_DEP_3) | instskip(NEXT) | instid1(VALU_DEP_2)
	v_lshlrev_b64 v[0:1], 7, v[8:9]
	v_cmp_lt_i64_e64 s0, v[8:9], v[10:11]
	s_delay_alu instid0(VALU_DEP_2) | instskip(NEXT) | instid1(VALU_DEP_3)
	v_add_co_u32 v12, vcc_lo, s10, v0
	v_add_co_ci_u32_e32 v13, vcc_lo, s11, v1, vcc_lo
	s_cbranch_scc1 .LBB177_29
; %bb.18:
	v_mov_b32_e32 v14, 0
	v_mov_b32_e32 v15, 0
	s_delay_alu instid0(VALU_DEP_1)
	v_dual_mov_b32 v31, v15 :: v_dual_mov_b32 v30, v14
	v_dual_mov_b32 v29, v15 :: v_dual_mov_b32 v28, v14
	;; [unrolled: 1-line block ×7, first 2 shown]
	s_and_saveexec_b32 s6, s0
	s_cbranch_execz .LBB177_28
; %bb.19:
	v_or_b32_e32 v0, 16, v50
	v_not_b32_e32 v3, v40
	v_not_b32_e32 v2, v41
	v_dual_mov_b32 v26, 0 :: v_dual_mov_b32 v43, v13
	s_delay_alu instid0(VALU_DEP_4) | instskip(NEXT) | instid1(VALU_DEP_1)
	v_sub_co_u32 v0, s1, v0, s12
	v_sub_co_ci_u32_e64 v1, null, 0, s15, s1
	v_sub_co_u32 v4, s1, s12, v50
	s_delay_alu instid0(VALU_DEP_3) | instskip(NEXT) | instid1(VALU_DEP_3)
	v_add_co_u32 v0, vcc_lo, v0, v40
	v_add_co_ci_u32_e32 v1, vcc_lo, v1, v41, vcc_lo
	v_sub_co_ci_u32_e64 v5, null, s15, 0, s1
	s_mov_b32 s10, 0
	s_delay_alu instid0(VALU_DEP_2)
	v_cmp_gt_i64_e32 vcc_lo, v[0:1], v[10:11]
	s_mov_b32 s7, exec_lo
	v_dual_mov_b32 v45, v9 :: v_dual_mov_b32 v44, v8
	v_dual_cndmask_b32 v1, v11, v1 :: v_dual_cndmask_b32 v0, v10, v0
	v_add_co_u32 v3, vcc_lo, v4, v3
	v_add_co_ci_u32_e32 v2, vcc_lo, v5, v2, vcc_lo
	s_delay_alu instid0(VALU_DEP_2) | instskip(NEXT) | instid1(VALU_DEP_2)
	v_add_co_u32 v0, vcc_lo, v3, v0
	v_add_co_ci_u32_e32 v1, vcc_lo, v2, v1, vcc_lo
	s_delay_alu instid0(VALU_DEP_2) | instskip(NEXT) | instid1(VALU_DEP_1)
	v_lshrrev_b32_e32 v2, 4, v0
	v_dual_mov_b32 v27, 0 :: v_dual_add_nc_u32 v2, 1, v2
	s_delay_alu instid0(VALU_DEP_1)
	v_dual_mov_b32 v42, v12 :: v_dual_mov_b32 v33, v27
	v_dual_mov_b32 v32, v26 :: v_dual_mov_b32 v39, v27
	;; [unrolled: 1-line block ×5, first 2 shown]
	v_dual_mov_b32 v29, v27 :: v_dual_and_b32 v2, 3, v2
	v_mov_b32_e32 v30, v26
	v_mov_b32_e32 v14, v26
	v_dual_mov_b32 v28, v26 :: v_dual_mov_b32 v15, v27
	s_delay_alu instid0(VALU_DEP_4)
	v_cmpx_ne_u32_e32 0, v2
	s_cbranch_execz .LBB177_23
; %bb.20:
	v_lshlrev_b64 v[4:5], 3, v[8:9]
	v_dual_mov_b32 v3, 0 :: v_dual_mov_b32 v14, 0
	v_dual_mov_b32 v15, 0 :: v_dual_lshlrev_b32 v2, 3, v2
	v_dual_mov_b32 v45, v9 :: v_dual_mov_b32 v44, v8
	s_delay_alu instid0(VALU_DEP_4)
	v_add_co_u32 v4, vcc_lo, s8, v4
	v_add_co_ci_u32_e32 v5, vcc_lo, s9, v5, vcc_lo
	v_dual_mov_b32 v43, v13 :: v_dual_mov_b32 v42, v12
	v_dual_mov_b32 v31, v15 :: v_dual_mov_b32 v30, v14
	;; [unrolled: 1-line block ×8, first 2 shown]
.LBB177_21:                             ; =>This Inner Loop Header: Depth=1
	global_load_b64 v[6:7], v[4:5], off
	s_clause 0x7
	global_load_b128 v[46:49], v[42:43], off
	global_load_b128 v[51:54], v[42:43], off offset:32
	global_load_b128 v[55:58], v[42:43], off offset:64
	global_load_b128 v[59:62], v[42:43], off offset:96
	global_load_b128 v[63:66], v[42:43], off offset:48
	global_load_b128 v[67:70], v[42:43], off offset:16
	global_load_b128 v[71:74], v[42:43], off offset:112
	global_load_b128 v[75:78], v[42:43], off offset:80
	v_add_co_u32 v4, s1, 0x80, v4
	s_delay_alu instid0(VALU_DEP_1)
	v_add_co_ci_u32_e64 v5, s1, 0, v5, s1
	s_waitcnt vmcnt(8)
	v_sub_co_u32 v6, vcc_lo, v6, s12
	v_subrev_co_ci_u32_e32 v7, vcc_lo, s15, v7, vcc_lo
	s_waitcnt vmcnt(6)
	v_cvt_f64_f32_e32 v[95:96], v51
	v_cvt_f64_f32_e32 v[51:52], v52
	s_waitcnt vmcnt(5)
	v_cvt_f64_f32_e32 v[97:98], v55
	v_lshlrev_b64 v[6:7], 6, v[6:7]
	v_cvt_f64_f32_e32 v[55:56], v56
	s_waitcnt vmcnt(4)
	v_cvt_f64_f32_e32 v[99:100], v59
	v_cvt_f64_f32_e32 v[59:60], v60
	;; [unrolled: 1-line block ×4, first 2 shown]
	s_waitcnt lgkmcnt(0)
	v_add_co_u32 v6, vcc_lo, s4, v6
	v_add_co_ci_u32_e32 v7, vcc_lo, s5, v7, vcc_lo
	v_cvt_f64_f32_e32 v[103:104], v57
	v_cvt_f64_f32_e32 v[57:58], v58
	;; [unrolled: 1-line block ×3, first 2 shown]
	s_clause 0x3
	global_load_b128 v[79:82], v[6:7], off
	global_load_b128 v[83:86], v[6:7], off offset:16
	global_load_b128 v[87:90], v[6:7], off offset:32
	;; [unrolled: 1-line block ×3, first 2 shown]
	v_cvt_f64_f32_e32 v[6:7], v46
	v_cvt_f64_f32_e32 v[46:47], v47
	;; [unrolled: 1-line block ×3, first 2 shown]
	v_add_co_u32 v42, vcc_lo, 0x800, v42
	v_add_co_ci_u32_e32 v43, vcc_lo, 0, v43, vcc_lo
	v_add_co_u32 v2, vcc_lo, v2, -8
	v_add_co_ci_u32_e32 v3, vcc_lo, -1, v3, vcc_lo
	v_add_co_u32 v44, vcc_lo, v44, 16
	v_add_co_ci_u32_e32 v45, vcc_lo, 0, v45, vcc_lo
	s_delay_alu instid0(VALU_DEP_3)
	v_cmp_eq_u64_e32 vcc_lo, 0, v[2:3]
	s_or_b32 s10, vcc_lo, s10
	s_waitcnt vmcnt(3)
	v_fma_f64 v[30:31], v[6:7], v[79:80], v[30:31]
	v_fma_f64 v[14:15], v[46:47], v[79:80], v[14:15]
	;; [unrolled: 1-line block ×8, first 2 shown]
	v_cvt_f64_f32_e32 v[79:80], v48
	v_cvt_f64_f32_e32 v[48:49], v49
	v_fma_f64 v[30:31], -v[46:47], v[81:82], v[30:31]
	v_fma_f64 v[6:7], v[6:7], v[81:82], v[14:15]
	v_fma_f64 v[14:15], -v[51:52], v[81:82], v[36:37]
	v_fma_f64 v[28:29], v[95:96], v[81:82], v[28:29]
	;; [unrolled: 2-line block ×4, first 2 shown]
	v_cvt_f64_f32_e32 v[38:39], v67
	v_cvt_f64_f32_e32 v[46:47], v68
	;; [unrolled: 1-line block ×10, first 2 shown]
	s_waitcnt vmcnt(2)
	v_fma_f64 v[30:31], v[79:80], v[83:84], v[30:31]
	v_fma_f64 v[6:7], v[48:49], v[83:84], v[6:7]
	;; [unrolled: 1-line block ×8, first 2 shown]
	v_fma_f64 v[30:31], -v[48:49], v[85:86], v[30:31]
	v_fma_f64 v[6:7], v[79:80], v[85:86], v[6:7]
	v_fma_f64 v[14:15], -v[53:54], v[85:86], v[14:15]
	v_fma_f64 v[28:29], v[101:102], v[85:86], v[28:29]
	;; [unrolled: 2-line block ×4, first 2 shown]
	v_cvt_f64_f32_e32 v[48:49], v69
	v_cvt_f64_f32_e32 v[53:54], v70
	;; [unrolled: 1-line block ×6, first 2 shown]
	s_waitcnt vmcnt(1)
	v_fma_f64 v[30:31], v[38:39], v[87:88], v[30:31]
	v_fma_f64 v[6:7], v[46:47], v[87:88], v[6:7]
	;; [unrolled: 1-line block ×8, first 2 shown]
	v_fma_f64 v[30:31], -v[46:47], v[89:90], v[30:31]
	v_fma_f64 v[6:7], v[38:39], v[89:90], v[6:7]
	v_fma_f64 v[14:15], -v[55:56], v[89:90], v[14:15]
	v_fma_f64 v[28:29], v[51:52], v[89:90], v[28:29]
	v_fma_f64 v[36:37], -v[63:64], v[89:90], v[36:37]
	v_fma_f64 v[34:35], v[59:60], v[89:90], v[34:35]
	v_fma_f64 v[26:27], -v[71:72], v[89:90], v[26:27]
	v_fma_f64 v[32:33], v[67:68], v[89:90], v[32:33]
	s_waitcnt vmcnt(0)
	v_fma_f64 v[30:31], v[48:49], v[91:92], v[30:31]
	v_fma_f64 v[6:7], v[53:54], v[91:92], v[6:7]
	;; [unrolled: 1-line block ×8, first 2 shown]
	v_fma_f64 v[30:31], -v[53:54], v[93:94], v[30:31]
	v_fma_f64 v[14:15], v[48:49], v[93:94], v[6:7]
	v_fma_f64 v[36:37], -v[61:62], v[93:94], v[38:39]
	v_fma_f64 v[28:29], v[57:58], v[93:94], v[28:29]
	;; [unrolled: 2-line block ×4, first 2 shown]
	s_and_not1_b32 exec_lo, exec_lo, s10
	s_cbranch_execnz .LBB177_21
; %bb.22:
	s_or_b32 exec_lo, exec_lo, s10
.LBB177_23:
	s_delay_alu instid0(SALU_CYCLE_1) | instskip(NEXT) | instid1(SALU_CYCLE_1)
	s_or_b32 exec_lo, exec_lo, s7
	s_mov_b32 s7, exec_lo
	v_cmpx_lt_u64_e32 47, v[0:1]
	s_cbranch_execz .LBB177_27
; %bb.24:
	v_lshlrev_b64 v[0:1], 3, v[44:45]
	s_mov_b32 s10, 0
	s_delay_alu instid0(VALU_DEP_1) | instskip(NEXT) | instid1(VALU_DEP_2)
	v_add_co_u32 v0, vcc_lo, v0, s8
	v_add_co_ci_u32_e32 v1, vcc_lo, s9, v1, vcc_lo
	s_delay_alu instid0(VALU_DEP_2) | instskip(NEXT) | instid1(VALU_DEP_2)
	v_add_co_u32 v46, vcc_lo, 0x100, v0
	v_add_co_ci_u32_e32 v47, vcc_lo, 0, v1, vcc_lo
.LBB177_25:                             ; =>This Inner Loop Header: Depth=1
	global_load_b64 v[48:49], v[46:47], off offset:-256
	s_clause 0x3
	global_load_b128 v[4:7], v[42:43], off
	global_load_b128 v[0:3], v[42:43], off offset:32
	global_load_b128 v[51:54], v[42:43], off offset:64
	;; [unrolled: 1-line block ×3, first 2 shown]
	s_clause 0x2
	global_load_b64 v[107:108], v[46:47], off offset:-128
	global_load_b64 v[111:112], v[46:47], off
	global_load_b64 v[113:114], v[46:47], off offset:128
	s_waitcnt vmcnt(7)
	v_sub_co_u32 v48, vcc_lo, v48, s12
	v_subrev_co_ci_u32_e32 v49, vcc_lo, s15, v49, vcc_lo
	s_waitcnt vmcnt(5)
	v_cvt_f64_f32_e32 v[115:116], v0
	v_cvt_f64_f32_e32 v[0:1], v1
	s_waitcnt vmcnt(4)
	v_cvt_f64_f32_e32 v[117:118], v51
	v_lshlrev_b64 v[48:49], 6, v[48:49]
	v_cvt_f64_f32_e32 v[51:52], v52
	s_waitcnt vmcnt(3)
	v_cvt_f64_f32_e32 v[119:120], v55
	v_cvt_f64_f32_e32 v[55:56], v56
	;; [unrolled: 1-line block ×4, first 2 shown]
	s_waitcnt lgkmcnt(0)
	v_add_co_u32 v48, vcc_lo, s4, v48
	v_add_co_ci_u32_e32 v49, vcc_lo, s5, v49, vcc_lo
	s_waitcnt vmcnt(2)
	v_sub_co_u32 v107, vcc_lo, v107, s12
	v_subrev_co_ci_u32_e32 v108, vcc_lo, s15, v108, vcc_lo
	s_clause 0x1
	global_load_b128 v[59:62], v[48:49], off
	global_load_b128 v[63:66], v[48:49], off offset:16
	s_clause 0x3
	global_load_b128 v[67:70], v[42:43], off offset:16
	global_load_b128 v[71:74], v[42:43], off offset:48
	global_load_b128 v[75:78], v[42:43], off offset:80
	global_load_b128 v[79:82], v[42:43], off offset:112
	s_clause 0x1
	global_load_b128 v[83:86], v[48:49], off offset:32
	global_load_b128 v[87:90], v[48:49], off offset:48
	s_clause 0x3
	global_load_b128 v[91:94], v[42:43], off offset:2048
	global_load_b128 v[95:98], v[42:43], off offset:2080
	;; [unrolled: 1-line block ×4, first 2 shown]
	v_cvt_f64_f32_e32 v[48:49], v4
	v_cvt_f64_f32_e32 v[4:5], v5
	v_lshlrev_b64 v[107:108], 6, v[107:108]
	v_cvt_f64_f32_e32 v[127:128], v3
	v_cvt_f64_f32_e32 v[129:130], v53
	;; [unrolled: 1-line block ×5, first 2 shown]
	v_add_co_u32 v121, vcc_lo, s4, v107
	v_add_co_ci_u32_e32 v122, vcc_lo, s5, v108, vcc_lo
	global_load_b128 v[107:110], v[121:122], off
	s_waitcnt vmcnt(12)
	v_fma_f64 v[30:31], v[48:49], v[59:60], v[30:31]
	v_fma_f64 v[14:15], v[4:5], v[59:60], v[14:15]
	;; [unrolled: 1-line block ×8, first 2 shown]
	v_cvt_f64_f32_e32 v[59:60], v6
	s_waitcnt vmcnt(8)
	v_cvt_f64_f32_e32 v[133:134], v75
	v_cvt_f64_f32_e32 v[75:76], v76
	s_waitcnt vmcnt(7)
	v_cvt_f64_f32_e32 v[135:136], v79
	v_cvt_f64_f32_e32 v[79:80], v80
	v_fma_f64 v[4:5], -v[4:5], v[61:62], v[30:31]
	v_fma_f64 v[6:7], v[48:49], v[61:62], v[14:15]
	v_fma_f64 v[14:15], -v[0:1], v[61:62], v[36:37]
	global_load_b128 v[0:3], v[121:122], off offset:16
	v_fma_f64 v[28:29], v[115:116], v[61:62], v[28:29]
	v_fma_f64 v[30:31], -v[51:52], v[61:62], v[38:39]
	v_fma_f64 v[34:35], v[117:118], v[61:62], v[34:35]
	v_fma_f64 v[26:27], -v[55:56], v[61:62], v[26:27]
	v_fma_f64 v[32:33], v[119:120], v[61:62], v[32:33]
	v_cvt_f64_f32_e32 v[117:118], v67
	v_cvt_f64_f32_e32 v[67:68], v68
	;; [unrolled: 1-line block ×4, first 2 shown]
	v_fma_f64 v[38:39], v[59:60], v[63:64], v[4:5]
	v_fma_f64 v[48:49], v[123:124], v[63:64], v[6:7]
	;; [unrolled: 1-line block ×8, first 2 shown]
	s_clause 0x3
	global_load_b128 v[4:7], v[42:43], off offset:2064
	global_load_b128 v[26:29], v[42:43], off offset:2096
	;; [unrolled: 1-line block ×4, first 2 shown]
	v_fma_f64 v[38:39], -v[123:124], v[65:66], v[38:39]
	v_fma_f64 v[48:49], v[59:60], v[65:66], v[48:49]
	v_fma_f64 v[14:15], -v[127:128], v[65:66], v[14:15]
	v_cvt_f64_f32_e32 v[123:124], v73
	v_fma_f64 v[59:60], v[125:126], v[65:66], v[51:52]
	v_fma_f64 v[55:56], -v[53:54], v[65:66], v[55:56]
	v_fma_f64 v[61:62], v[129:130], v[65:66], v[61:62]
	v_fma_f64 v[57:58], -v[57:58], v[65:66], v[115:116]
	v_fma_f64 v[63:64], v[131:132], v[65:66], v[63:64]
	global_load_b128 v[51:54], v[121:122], off offset:32
	v_cvt_f64_f32_e32 v[115:116], v70
	v_cvt_f64_f32_e32 v[125:126], v74
	;; [unrolled: 1-line block ×6, first 2 shown]
	s_waitcnt vmcnt(9)
	v_cvt_f64_f32_e32 v[131:132], v95
	v_cvt_f64_f32_e32 v[95:96], v96
	v_fma_f64 v[38:39], v[117:118], v[83:84], v[38:39]
	v_fma_f64 v[48:49], v[67:68], v[83:84], v[48:49]
	;; [unrolled: 1-line block ×8, first 2 shown]
	v_cvt_f64_f32_e32 v[83:84], v69
	v_fma_f64 v[38:39], -v[67:68], v[85:86], v[38:39]
	v_fma_f64 v[48:49], v[117:118], v[85:86], v[48:49]
	v_fma_f64 v[14:15], -v[71:72], v[85:86], v[14:15]
	v_add_co_u32 v117, vcc_lo, 0x1000, v42
	v_fma_f64 v[59:60], v[119:120], v[85:86], v[59:60]
	v_fma_f64 v[65:66], -v[75:76], v[85:86], v[55:56]
	v_fma_f64 v[61:62], v[133:134], v[85:86], v[61:62]
	v_fma_f64 v[67:68], -v[79:80], v[85:86], v[57:58]
	global_load_b128 v[55:58], v[121:122], off offset:48
	v_fma_f64 v[63:64], v[135:136], v[85:86], v[63:64]
	v_add_co_ci_u32_e32 v118, vcc_lo, 0, v43, vcc_lo
	v_cvt_f64_f32_e32 v[121:122], v91
	v_cvt_f64_f32_e32 v[91:92], v92
	s_waitcnt vmcnt(9)
	v_cvt_f64_f32_e32 v[133:134], v99
	v_cvt_f64_f32_e32 v[99:100], v100
	s_waitcnt vmcnt(8)
	v_cvt_f64_f32_e32 v[135:136], v103
	v_cvt_f64_f32_e32 v[103:104], v104
	v_sub_co_u32 v111, vcc_lo, v111, s12
	v_subrev_co_ci_u32_e32 v112, vcc_lo, s15, v112, vcc_lo
	v_add_co_u32 v42, s1, 0x2000, v42
	s_delay_alu instid0(VALU_DEP_1)
	v_add_co_ci_u32_e64 v43, s1, 0, v43, s1
	v_fma_f64 v[38:39], v[83:84], v[87:88], v[38:39]
	v_fma_f64 v[48:49], v[115:116], v[87:88], v[48:49]
	;; [unrolled: 1-line block ×8, first 2 shown]
	s_clause 0x3
	global_load_b128 v[59:62], v[117:118], off
	global_load_b128 v[63:66], v[117:118], off offset:32
	global_load_b128 v[67:70], v[117:118], off offset:64
	global_load_b128 v[71:74], v[117:118], off offset:96
	v_fma_f64 v[38:39], -v[115:116], v[89:90], v[38:39]
	v_fma_f64 v[48:49], v[83:84], v[89:90], v[48:49]
	v_fma_f64 v[14:15], -v[125:126], v[89:90], v[14:15]
	v_cvt_f64_f32_e32 v[115:116], v94
	v_cvt_f64_f32_e32 v[125:126], v101
	v_fma_f64 v[83:84], v[123:124], v[89:90], v[75:76]
	v_fma_f64 v[79:80], -v[77:78], v[89:90], v[79:80]
	v_fma_f64 v[85:86], v[127:128], v[89:90], v[85:86]
	v_fma_f64 v[81:82], -v[81:82], v[89:90], v[119:120]
	v_lshlrev_b64 v[75:76], 6, v[111:112]
	v_fma_f64 v[87:88], v[129:130], v[89:90], v[87:88]
	v_cvt_f64_f32_e32 v[119:120], v97
	v_cvt_f64_f32_e32 v[123:124], v98
	;; [unrolled: 1-line block ×4, first 2 shown]
	v_add_co_u32 v111, vcc_lo, s4, v75
	v_add_co_ci_u32_e32 v112, vcc_lo, s5, v76, vcc_lo
	v_cvt_f64_f32_e32 v[105:106], v106
	global_load_b128 v[75:78], v[111:112], off
	s_waitcnt vmcnt(12)
	v_fma_f64 v[38:39], v[121:122], v[107:108], v[38:39]
	v_fma_f64 v[48:49], v[91:92], v[107:108], v[48:49]
	;; [unrolled: 1-line block ×8, first 2 shown]
	v_cvt_f64_f32_e32 v[107:108], v93
	v_fma_f64 v[38:39], -v[91:92], v[109:110], v[38:39]
	v_fma_f64 v[48:49], v[121:122], v[109:110], v[48:49]
	v_fma_f64 v[14:15], -v[95:96], v[109:110], v[14:15]
	v_fma_f64 v[83:84], v[131:132], v[109:110], v[83:84]
	;; [unrolled: 2-line block ×3, first 2 shown]
	v_fma_f64 v[91:92], -v[103:104], v[109:110], v[81:82]
	global_load_b128 v[79:82], v[111:112], off offset:16
	v_fma_f64 v[87:88], v[135:136], v[109:110], v[87:88]
	s_waitcnt vmcnt(12)
	v_fma_f64 v[38:39], v[107:108], v[0:1], v[38:39]
	v_fma_f64 v[48:49], v[115:116], v[0:1], v[48:49]
	;; [unrolled: 1-line block ×8, first 2 shown]
	s_clause 0x3
	global_load_b128 v[83:86], v[117:118], off offset:16
	global_load_b128 v[87:90], v[117:118], off offset:48
	;; [unrolled: 1-line block ×4, first 2 shown]
	s_waitcnt vmcnt(15)
	v_cvt_f64_f32_e32 v[129:130], v4
	v_cvt_f64_f32_e32 v[4:5], v5
	s_waitcnt vmcnt(14)
	v_cvt_f64_f32_e32 v[131:132], v26
	v_cvt_f64_f32_e32 v[26:27], v27
	;; [unrolled: 3-line block ×4, first 2 shown]
	v_fma_f64 v[38:39], -v[115:116], v[2:3], v[38:39]
	v_fma_f64 v[48:49], v[107:108], v[2:3], v[48:49]
	v_fma_f64 v[14:15], -v[123:124], v[2:3], v[14:15]
	v_cvt_f64_f32_e32 v[115:116], v28
	v_cvt_f64_f32_e32 v[123:124], v33
	v_fma_f64 v[99:100], v[119:120], v[2:3], v[99:100]
	v_fma_f64 v[101:102], -v[101:102], v[2:3], v[103:104]
	v_fma_f64 v[103:104], v[125:126], v[2:3], v[109:110]
	v_fma_f64 v[105:106], -v[105:106], v[2:3], v[121:122]
	v_cvt_f64_f32_e32 v[109:110], v7
	v_fma_f64 v[107:108], v[127:128], v[2:3], v[0:1]
	global_load_b128 v[0:3], v[111:112], off offset:32
	v_cvt_f64_f32_e32 v[119:120], v29
	v_cvt_f64_f32_e32 v[121:122], v32
	;; [unrolled: 1-line block ×4, first 2 shown]
	s_waitcnt vmcnt(12)
	v_fma_f64 v[38:39], v[129:130], v[51:52], v[38:39]
	v_fma_f64 v[48:49], v[4:5], v[51:52], v[48:49]
	;; [unrolled: 1-line block ×8, first 2 shown]
	v_cvt_f64_f32_e32 v[107:108], v6
	v_fma_f64 v[28:29], -v[4:5], v[53:54], v[38:39]
	global_load_b128 v[4:7], v[111:112], off offset:48
	v_fma_f64 v[32:33], v[129:130], v[53:54], v[48:49]
	v_fma_f64 v[14:15], -v[26:27], v[53:54], v[14:15]
	v_fma_f64 v[26:27], v[131:132], v[53:54], v[99:100]
	v_fma_f64 v[30:31], -v[30:31], v[53:54], v[101:102]
	;; [unrolled: 2-line block ×3, first 2 shown]
	v_fma_f64 v[38:39], v[135:136], v[53:54], v[51:52]
	s_waitcnt vmcnt(12)
	v_fma_f64 v[48:49], v[107:108], v[55:56], v[28:29]
	v_fma_f64 v[99:100], v[109:110], v[55:56], v[32:33]
	;; [unrolled: 1-line block ×7, first 2 shown]
	s_clause 0x3
	global_load_b128 v[26:29], v[117:118], off offset:2048
	global_load_b128 v[30:33], v[117:118], off offset:2080
	;; [unrolled: 1-line block ×4, first 2 shown]
	v_fma_f64 v[38:39], v[127:128], v[55:56], v[38:39]
	v_sub_co_u32 v55, vcc_lo, v113, s12
	v_subrev_co_ci_u32_e32 v56, vcc_lo, s15, v114, vcc_lo
	s_delay_alu instid0(VALU_DEP_1)
	v_lshlrev_b64 v[55:56], 6, v[55:56]
	s_waitcnt vmcnt(15)
	v_cvt_f64_f32_e32 v[129:130], v59
	v_cvt_f64_f32_e32 v[59:60], v60
	s_waitcnt vmcnt(14)
	v_cvt_f64_f32_e32 v[131:132], v63
	v_cvt_f64_f32_e32 v[63:64], v64
	;; [unrolled: 3-line block ×4, first 2 shown]
	v_cvt_f64_f32_e32 v[113:114], v62
	v_fma_f64 v[48:49], -v[109:110], v[57:58], v[48:49]
	v_add_co_u32 v109, vcc_lo, s4, v55
	v_fma_f64 v[99:100], v[107:108], v[57:58], v[99:100]
	v_fma_f64 v[14:15], -v[119:120], v[57:58], v[14:15]
	v_fma_f64 v[101:102], v[115:116], v[57:58], v[101:102]
	v_fma_f64 v[103:104], -v[123:124], v[57:58], v[103:104]
	;; [unrolled: 2-line block ×3, first 2 shown]
	v_add_co_ci_u32_e32 v110, vcc_lo, s5, v56, vcc_lo
	v_fma_f64 v[38:39], v[125:126], v[57:58], v[38:39]
	v_cvt_f64_f32_e32 v[111:112], v61
	v_cvt_f64_f32_e32 v[115:116], v65
	global_load_b128 v[55:58], v[109:110], off
	v_cvt_f64_f32_e32 v[119:120], v66
	v_cvt_f64_f32_e32 v[121:122], v69
	;; [unrolled: 1-line block ×5, first 2 shown]
	v_add_co_u32 v44, vcc_lo, v44, 64
	v_add_co_ci_u32_e32 v45, vcc_lo, 0, v45, vcc_lo
	v_add_co_u32 v46, vcc_lo, 0x200, v46
	v_add_co_ci_u32_e32 v47, vcc_lo, 0, v47, vcc_lo
	s_delay_alu instid0(VALU_DEP_3)
	v_cmp_ge_i64_e32 vcc_lo, v[44:45], v[10:11]
	s_or_b32 s10, vcc_lo, s10
	s_waitcnt vmcnt(12)
	v_fma_f64 v[48:49], v[129:130], v[75:76], v[48:49]
	v_fma_f64 v[99:100], v[59:60], v[75:76], v[99:100]
	;; [unrolled: 1-line block ×8, first 2 shown]
	v_fma_f64 v[48:49], -v[59:60], v[77:78], v[48:49]
	global_load_b128 v[59:62], v[109:110], off offset:16
	v_fma_f64 v[65:66], v[129:130], v[77:78], v[99:100]
	v_fma_f64 v[14:15], -v[63:64], v[77:78], v[14:15]
	v_fma_f64 v[63:64], v[131:132], v[77:78], v[101:102]
	v_fma_f64 v[67:68], -v[67:68], v[77:78], v[103:104]
	;; [unrolled: 2-line block ×3, first 2 shown]
	v_fma_f64 v[38:39], v[135:136], v[77:78], v[38:39]
	s_waitcnt vmcnt(12)
	v_fma_f64 v[48:49], v[111:112], v[79:80], v[48:49]
	v_fma_f64 v[99:100], v[113:114], v[79:80], v[65:66]
	;; [unrolled: 1-line block ×7, first 2 shown]
	s_clause 0x3
	global_load_b128 v[63:66], v[117:118], off offset:2064
	global_load_b128 v[67:70], v[117:118], off offset:2096
	;; [unrolled: 1-line block ×4, first 2 shown]
	v_fma_f64 v[38:39], v[127:128], v[79:80], v[38:39]
	s_waitcnt vmcnt(15)
	v_cvt_f64_f32_e32 v[117:118], v83
	v_cvt_f64_f32_e32 v[83:84], v84
	s_waitcnt vmcnt(14)
	v_cvt_f64_f32_e32 v[129:130], v87
	v_cvt_f64_f32_e32 v[87:88], v88
	;; [unrolled: 3-line block ×4, first 2 shown]
	v_fma_f64 v[48:49], -v[113:114], v[81:82], v[48:49]
	v_cvt_f64_f32_e32 v[113:114], v93
	v_cvt_f64_f32_e32 v[93:94], v94
	v_fma_f64 v[99:100], v[111:112], v[81:82], v[99:100]
	v_fma_f64 v[14:15], -v[119:120], v[81:82], v[14:15]
	v_fma_f64 v[101:102], v[115:116], v[81:82], v[101:102]
	v_fma_f64 v[103:104], -v[123:124], v[81:82], v[103:104]
	;; [unrolled: 2-line block ×3, first 2 shown]
	v_cvt_f64_f32_e32 v[111:112], v89
	v_cvt_f64_f32_e32 v[89:90], v90
	v_fma_f64 v[38:39], v[125:126], v[81:82], v[38:39]
	global_load_b128 v[79:82], v[109:110], off offset:32
	v_cvt_f64_f32_e32 v[115:116], v97
	v_cvt_f64_f32_e32 v[97:98], v98
	s_waitcnt vmcnt(12)
	v_fma_f64 v[48:49], v[117:118], v[0:1], v[48:49]
	v_fma_f64 v[99:100], v[83:84], v[0:1], v[99:100]
	;; [unrolled: 1-line block ×8, first 2 shown]
	v_cvt_f64_f32_e32 v[38:39], v85
	v_cvt_f64_f32_e32 v[85:86], v86
	v_fma_f64 v[48:49], -v[83:84], v[2:3], v[48:49]
	v_fma_f64 v[83:84], v[117:118], v[2:3], v[99:100]
	v_fma_f64 v[14:15], -v[87:88], v[2:3], v[14:15]
	v_fma_f64 v[87:88], v[129:130], v[2:3], v[101:102]
	;; [unrolled: 2-line block ×4, first 2 shown]
	global_load_b128 v[0:3], v[109:110], off offset:48
	s_waitcnt vmcnt(12)
	v_fma_f64 v[48:49], v[38:39], v[4:5], v[48:49]
	v_fma_f64 v[83:84], v[85:86], v[4:5], v[83:84]
	v_fma_f64 v[14:15], v[111:112], v[4:5], v[14:15]
	v_fma_f64 v[87:88], v[89:90], v[4:5], v[87:88]
	v_fma_f64 v[91:92], v[113:114], v[4:5], v[91:92]
	v_fma_f64 v[99:100], v[93:94], v[4:5], v[99:100]
	v_fma_f64 v[95:96], v[115:116], v[4:5], v[95:96]
	v_fma_f64 v[4:5], v[97:98], v[4:5], v[101:102]
	s_waitcnt vmcnt(11)
	v_cvt_f64_f32_e32 v[101:102], v26
	v_cvt_f64_f32_e32 v[26:27], v27
	s_waitcnt vmcnt(10)
	v_cvt_f64_f32_e32 v[103:104], v30
	v_cvt_f64_f32_e32 v[30:31], v31
	s_waitcnt vmcnt(9)
	v_cvt_f64_f32_e32 v[105:106], v34
	v_cvt_f64_f32_e32 v[34:35], v35
	s_waitcnt vmcnt(8)
	v_cvt_f64_f32_e32 v[107:108], v51
	v_cvt_f64_f32_e32 v[51:52], v52
	v_fma_f64 v[48:49], -v[85:86], v[6:7], v[48:49]
	v_fma_f64 v[38:39], v[38:39], v[6:7], v[83:84]
	v_fma_f64 v[14:15], -v[89:90], v[6:7], v[14:15]
	v_fma_f64 v[83:84], v[111:112], v[6:7], v[87:88]
	;; [unrolled: 2-line block ×3, first 2 shown]
	v_fma_f64 v[89:90], -v[97:98], v[6:7], v[95:96]
	v_cvt_f64_f32_e32 v[91:92], v36
	v_cvt_f64_f32_e32 v[36:37], v37
	v_fma_f64 v[4:5], v[115:116], v[6:7], v[4:5]
	v_cvt_f64_f32_e32 v[93:94], v53
	v_cvt_f64_f32_e32 v[53:54], v54
	s_waitcnt vmcnt(7)
	v_fma_f64 v[6:7], v[101:102], v[55:56], v[48:49]
	v_fma_f64 v[38:39], v[26:27], v[55:56], v[38:39]
	;; [unrolled: 1-line block ×7, first 2 shown]
	v_cvt_f64_f32_e32 v[89:90], v32
	v_cvt_f64_f32_e32 v[32:33], v33
	v_fma_f64 v[4:5], v[51:52], v[55:56], v[4:5]
	v_cvt_f64_f32_e32 v[55:56], v28
	v_cvt_f64_f32_e32 v[28:29], v29
	v_fma_f64 v[6:7], -v[26:27], v[57:58], v[6:7]
	v_fma_f64 v[26:27], v[101:102], v[57:58], v[38:39]
	v_fma_f64 v[14:15], -v[30:31], v[57:58], v[14:15]
	v_fma_f64 v[30:31], v[103:104], v[57:58], v[48:49]
	;; [unrolled: 2-line block ×4, first 2 shown]
	s_waitcnt vmcnt(6)
	v_fma_f64 v[6:7], v[55:56], v[59:60], v[6:7]
	v_fma_f64 v[26:27], v[28:29], v[59:60], v[26:27]
	v_fma_f64 v[14:15], v[89:90], v[59:60], v[14:15]
	v_fma_f64 v[30:31], v[32:33], v[59:60], v[30:31]
	v_fma_f64 v[34:35], v[91:92], v[59:60], v[34:35]
	v_fma_f64 v[38:39], v[36:37], v[59:60], v[38:39]
	v_fma_f64 v[48:49], v[93:94], v[59:60], v[48:49]
	v_fma_f64 v[4:5], v[53:54], v[59:60], v[4:5]
	s_waitcnt vmcnt(5)
	v_cvt_f64_f32_e32 v[51:52], v63
	v_cvt_f64_f32_e32 v[57:58], v64
	s_waitcnt vmcnt(4)
	v_cvt_f64_f32_e32 v[59:60], v67
	v_cvt_f64_f32_e32 v[63:64], v68
	;; [unrolled: 3-line block ×4, first 2 shown]
	v_fma_f64 v[6:7], -v[28:29], v[61:62], v[6:7]
	v_fma_f64 v[26:27], v[55:56], v[61:62], v[26:27]
	v_fma_f64 v[14:15], -v[32:33], v[61:62], v[14:15]
	v_fma_f64 v[28:29], v[89:90], v[61:62], v[30:31]
	;; [unrolled: 2-line block ×3, first 2 shown]
	v_fma_f64 v[34:35], -v[53:54], v[61:62], v[48:49]
	v_cvt_f64_f32_e32 v[36:37], v65
	v_cvt_f64_f32_e32 v[38:39], v66
	v_fma_f64 v[4:5], v[93:94], v[61:62], v[4:5]
	v_cvt_f64_f32_e32 v[48:49], v69
	v_cvt_f64_f32_e32 v[53:54], v70
	;; [unrolled: 1-line block ×6, first 2 shown]
	s_waitcnt vmcnt(1)
	v_fma_f64 v[6:7], v[51:52], v[79:80], v[6:7]
	v_fma_f64 v[26:27], v[57:58], v[79:80], v[26:27]
	;; [unrolled: 1-line block ×8, first 2 shown]
	v_fma_f64 v[6:7], -v[57:58], v[81:82], v[6:7]
	v_fma_f64 v[26:27], v[51:52], v[81:82], v[26:27]
	v_fma_f64 v[14:15], -v[63:64], v[81:82], v[14:15]
	v_fma_f64 v[28:29], v[59:60], v[81:82], v[28:29]
	;; [unrolled: 2-line block ×4, first 2 shown]
	s_waitcnt vmcnt(0)
	v_fma_f64 v[6:7], v[36:37], v[0:1], v[6:7]
	v_fma_f64 v[26:27], v[38:39], v[0:1], v[26:27]
	;; [unrolled: 1-line block ×8, first 2 shown]
	v_fma_f64 v[30:31], -v[38:39], v[2:3], v[6:7]
	v_fma_f64 v[14:15], v[36:37], v[2:3], v[26:27]
	v_fma_f64 v[36:37], -v[53:54], v[2:3], v[51:52]
	v_fma_f64 v[28:29], v[48:49], v[2:3], v[28:29]
	;; [unrolled: 2-line block ×4, first 2 shown]
	s_and_not1_b32 exec_lo, exec_lo, s10
	s_cbranch_execnz .LBB177_25
; %bb.26:
	s_or_b32 exec_lo, exec_lo, s10
.LBB177_27:
	s_delay_alu instid0(SALU_CYCLE_1)
	s_or_b32 exec_lo, exec_lo, s7
.LBB177_28:
	s_delay_alu instid0(SALU_CYCLE_1)
	s_or_b32 exec_lo, exec_lo, s6
	s_cbranch_execz .LBB177_30
	s_branch .LBB177_41
.LBB177_29:
                                        ; implicit-def: $vgpr14_vgpr15
                                        ; implicit-def: $vgpr30_vgpr31
                                        ; implicit-def: $vgpr28_vgpr29
                                        ; implicit-def: $vgpr36_vgpr37
                                        ; implicit-def: $vgpr34_vgpr35
                                        ; implicit-def: $vgpr38_vgpr39
                                        ; implicit-def: $vgpr32_vgpr33
                                        ; implicit-def: $vgpr26_vgpr27
.LBB177_30:
	v_mov_b32_e32 v14, 0
	v_mov_b32_e32 v15, 0
	s_delay_alu instid0(VALU_DEP_1)
	v_dual_mov_b32 v31, v15 :: v_dual_mov_b32 v30, v14
	v_dual_mov_b32 v29, v15 :: v_dual_mov_b32 v28, v14
	v_dual_mov_b32 v37, v15 :: v_dual_mov_b32 v36, v14
	v_dual_mov_b32 v35, v15 :: v_dual_mov_b32 v34, v14
	v_dual_mov_b32 v39, v15 :: v_dual_mov_b32 v38, v14
	v_dual_mov_b32 v33, v15 :: v_dual_mov_b32 v32, v14
	v_dual_mov_b32 v27, v15 :: v_dual_mov_b32 v26, v14
	s_and_saveexec_b32 s1, s0
	s_cbranch_execz .LBB177_40
; %bb.31:
	v_or_b32_e32 v0, 16, v50
	v_not_b32_e32 v3, v40
	v_not_b32_e32 v2, v41
	v_mov_b32_e32 v26, 0
	s_mov_b32 s7, 0
	v_sub_co_u32 v0, s0, v0, s12
	s_delay_alu instid0(VALU_DEP_1) | instskip(SKIP_1) | instid1(VALU_DEP_3)
	v_sub_co_ci_u32_e64 v1, null, 0, s15, s0
	v_sub_co_u32 v4, s0, s12, v50
	v_add_co_u32 v0, vcc_lo, v0, v40
	s_delay_alu instid0(VALU_DEP_3) | instskip(SKIP_2) | instid1(VALU_DEP_2)
	v_add_co_ci_u32_e32 v1, vcc_lo, v1, v41, vcc_lo
	v_sub_co_ci_u32_e64 v5, null, s15, 0, s0
	s_mov_b32 s6, exec_lo
	v_cmp_gt_i64_e32 vcc_lo, v[0:1], v[10:11]
	v_dual_cndmask_b32 v1, v11, v1 :: v_dual_cndmask_b32 v0, v10, v0
	v_add_co_u32 v3, vcc_lo, v4, v3
	v_add_co_ci_u32_e32 v2, vcc_lo, v5, v2, vcc_lo
	s_delay_alu instid0(VALU_DEP_2) | instskip(NEXT) | instid1(VALU_DEP_2)
	v_add_co_u32 v0, vcc_lo, v3, v0
	v_add_co_ci_u32_e32 v1, vcc_lo, v2, v1, vcc_lo
	s_delay_alu instid0(VALU_DEP_2) | instskip(NEXT) | instid1(VALU_DEP_1)
	v_lshrrev_b32_e32 v2, 4, v0
	v_dual_mov_b32 v27, 0 :: v_dual_add_nc_u32 v2, 1, v2
	s_delay_alu instid0(VALU_DEP_1) | instskip(SKIP_1) | instid1(VALU_DEP_3)
	v_dual_mov_b32 v14, v26 :: v_dual_mov_b32 v35, v27
	v_dual_mov_b32 v34, v26 :: v_dual_mov_b32 v37, v27
	v_and_b32_e32 v2, 3, v2
	v_dual_mov_b32 v36, v26 :: v_dual_mov_b32 v29, v27
	v_dual_mov_b32 v28, v26 :: v_dual_mov_b32 v31, v27
	;; [unrolled: 1-line block ×5, first 2 shown]
	v_cmpx_ne_u32_e32 0, v2
	s_cbranch_execz .LBB177_35
; %bb.32:
	v_lshlrev_b64 v[4:5], 3, v[8:9]
	v_dual_mov_b32 v3, 0 :: v_dual_mov_b32 v14, 0
	v_dual_mov_b32 v15, 0 :: v_dual_lshlrev_b32 v2, 3, v2
	s_delay_alu instid0(VALU_DEP_3) | instskip(NEXT) | instid1(VALU_DEP_4)
	v_add_co_u32 v4, vcc_lo, s8, v4
	v_add_co_ci_u32_e32 v5, vcc_lo, s9, v5, vcc_lo
	s_delay_alu instid0(VALU_DEP_3)
	v_dual_mov_b32 v31, v15 :: v_dual_mov_b32 v30, v14
	v_dual_mov_b32 v29, v15 :: v_dual_mov_b32 v28, v14
	;; [unrolled: 1-line block ×7, first 2 shown]
.LBB177_33:                             ; =>This Inner Loop Header: Depth=1
	global_load_b64 v[6:7], v[4:5], off
	s_clause 0x1
	global_load_b128 v[40:43], v[12:13], off
	global_load_b128 v[44:47], v[12:13], off offset:16
	v_add_co_u32 v4, s0, 0x80, v4
	s_delay_alu instid0(VALU_DEP_1)
	v_add_co_ci_u32_e64 v5, s0, 0, v5, s0
	s_waitcnt vmcnt(2)
	v_sub_co_u32 v6, vcc_lo, v6, s12
	v_subrev_co_ci_u32_e32 v7, vcc_lo, s15, v7, vcc_lo
	s_waitcnt vmcnt(1)
	v_cvt_f64_f32_e32 v[48:49], v42
	v_cvt_f64_f32_e32 v[42:43], v43
	s_waitcnt vmcnt(0)
	v_cvt_f64_f32_e32 v[91:92], v44
	v_lshlrev_b64 v[6:7], 6, v[6:7]
	v_cvt_f64_f32_e32 v[44:45], v45
	v_cvt_f64_f32_e32 v[93:94], v46
	;; [unrolled: 1-line block ×3, first 2 shown]
	s_waitcnt lgkmcnt(0)
	s_delay_alu instid0(VALU_DEP_4)
	v_add_co_u32 v6, vcc_lo, s4, v6
	v_add_co_ci_u32_e32 v7, vcc_lo, s5, v7, vcc_lo
	s_clause 0x1
	global_load_b128 v[51:54], v[6:7], off
	global_load_b128 v[55:58], v[6:7], off offset:16
	s_clause 0x3
	global_load_b128 v[59:62], v[12:13], off offset:32
	global_load_b128 v[63:66], v[12:13], off offset:48
	;; [unrolled: 1-line block ×4, first 2 shown]
	s_clause 0x1
	global_load_b128 v[75:78], v[6:7], off offset:32
	global_load_b128 v[79:82], v[6:7], off offset:48
	s_clause 0x1
	global_load_b128 v[83:86], v[12:13], off offset:96
	global_load_b128 v[87:90], v[12:13], off offset:112
	v_cvt_f64_f32_e32 v[6:7], v40
	v_cvt_f64_f32_e32 v[40:41], v41
	v_add_co_u32 v12, vcc_lo, 0x800, v12
	v_add_co_ci_u32_e32 v13, vcc_lo, 0, v13, vcc_lo
	v_add_co_u32 v2, vcc_lo, v2, -8
	v_add_co_ci_u32_e32 v3, vcc_lo, -1, v3, vcc_lo
	v_add_co_u32 v8, vcc_lo, v8, 16
	v_add_co_ci_u32_e32 v9, vcc_lo, 0, v9, vcc_lo
	s_delay_alu instid0(VALU_DEP_3)
	v_cmp_eq_u64_e32 vcc_lo, 0, v[2:3]
	s_or_b32 s7, vcc_lo, s7
	s_waitcnt vmcnt(9)
	v_fma_f64 v[30:31], v[6:7], v[51:52], v[30:31]
	v_fma_f64 v[14:15], v[40:41], v[51:52], v[14:15]
	;; [unrolled: 1-line block ×8, first 2 shown]
	s_waitcnt vmcnt(7)
	v_cvt_f64_f32_e32 v[51:52], v59
	v_cvt_f64_f32_e32 v[59:60], v60
	;; [unrolled: 1-line block ×4, first 2 shown]
	s_waitcnt vmcnt(6)
	v_cvt_f64_f32_e32 v[97:98], v63
	v_cvt_f64_f32_e32 v[63:64], v64
	;; [unrolled: 1-line block ×4, first 2 shown]
	v_fma_f64 v[30:31], -v[40:41], v[53:54], v[30:31]
	v_fma_f64 v[6:7], v[6:7], v[53:54], v[14:15]
	v_fma_f64 v[14:15], -v[42:43], v[53:54], v[36:37]
	v_fma_f64 v[28:29], v[48:49], v[53:54], v[28:29]
	;; [unrolled: 2-line block ×4, first 2 shown]
	s_waitcnt vmcnt(5)
	v_cvt_f64_f32_e32 v[38:39], v67
	v_cvt_f64_f32_e32 v[40:41], v68
	;; [unrolled: 1-line block ×4, first 2 shown]
	s_waitcnt vmcnt(4)
	v_cvt_f64_f32_e32 v[46:47], v71
	v_cvt_f64_f32_e32 v[48:49], v72
	;; [unrolled: 1-line block ×3, first 2 shown]
	s_waitcnt vmcnt(0)
	v_cvt_f64_f32_e32 v[67:68], v89
	v_cvt_f64_f32_e32 v[69:70], v90
	v_fma_f64 v[30:31], v[51:52], v[55:56], v[30:31]
	v_fma_f64 v[6:7], v[59:60], v[55:56], v[6:7]
	;; [unrolled: 1-line block ×8, first 2 shown]
	v_cvt_f64_f32_e32 v[55:56], v74
	v_fma_f64 v[30:31], -v[59:60], v[57:58], v[30:31]
	v_fma_f64 v[6:7], v[51:52], v[57:58], v[6:7]
	v_fma_f64 v[14:15], -v[61:62], v[57:58], v[14:15]
	v_fma_f64 v[28:29], v[95:96], v[57:58], v[28:29]
	;; [unrolled: 2-line block ×4, first 2 shown]
	v_cvt_f64_f32_e32 v[51:52], v83
	v_cvt_f64_f32_e32 v[57:58], v84
	;; [unrolled: 1-line block ×6, first 2 shown]
	v_fma_f64 v[30:31], v[38:39], v[75:76], v[30:31]
	v_fma_f64 v[6:7], v[40:41], v[75:76], v[6:7]
	;; [unrolled: 1-line block ×8, first 2 shown]
	v_fma_f64 v[30:31], -v[40:41], v[77:78], v[30:31]
	v_fma_f64 v[6:7], v[38:39], v[77:78], v[6:7]
	v_fma_f64 v[14:15], -v[44:45], v[77:78], v[14:15]
	v_fma_f64 v[28:29], v[42:43], v[77:78], v[28:29]
	;; [unrolled: 2-line block ×4, first 2 shown]
	v_fma_f64 v[30:31], v[51:52], v[79:80], v[30:31]
	v_fma_f64 v[6:7], v[57:58], v[79:80], v[6:7]
	;; [unrolled: 1-line block ×8, first 2 shown]
	v_fma_f64 v[30:31], -v[57:58], v[81:82], v[30:31]
	v_fma_f64 v[14:15], v[51:52], v[81:82], v[6:7]
	v_fma_f64 v[36:37], -v[61:62], v[81:82], v[38:39]
	v_fma_f64 v[28:29], v[59:60], v[81:82], v[28:29]
	;; [unrolled: 2-line block ×4, first 2 shown]
	s_and_not1_b32 exec_lo, exec_lo, s7
	s_cbranch_execnz .LBB177_33
; %bb.34:
	s_or_b32 exec_lo, exec_lo, s7
.LBB177_35:
	s_delay_alu instid0(SALU_CYCLE_1) | instskip(NEXT) | instid1(SALU_CYCLE_1)
	s_or_b32 exec_lo, exec_lo, s6
	s_mov_b32 s6, exec_lo
	v_cmpx_lt_u64_e32 47, v[0:1]
	s_cbranch_execz .LBB177_39
; %bb.36:
	v_lshlrev_b64 v[0:1], 3, v[8:9]
	s_mov_b32 s7, 0
	s_delay_alu instid0(VALU_DEP_1) | instskip(NEXT) | instid1(VALU_DEP_2)
	v_add_co_u32 v0, vcc_lo, v0, s8
	v_add_co_ci_u32_e32 v1, vcc_lo, s9, v1, vcc_lo
	s_delay_alu instid0(VALU_DEP_2) | instskip(NEXT) | instid1(VALU_DEP_2)
	v_add_co_u32 v40, vcc_lo, 0x100, v0
	v_add_co_ci_u32_e32 v41, vcc_lo, 0, v1, vcc_lo
.LBB177_37:                             ; =>This Inner Loop Header: Depth=1
	global_load_b64 v[42:43], v[40:41], off offset:-256
	s_clause 0x1
	global_load_b128 v[4:7], v[12:13], off
	global_load_b128 v[0:3], v[12:13], off offset:16
	s_clause 0x2
	global_load_b64 v[91:92], v[40:41], off offset:-128
	global_load_b64 v[93:94], v[40:41], off
	global_load_b64 v[95:96], v[40:41], off offset:128
	s_waitcnt vmcnt(5)
	v_sub_co_u32 v42, vcc_lo, v42, s12
	v_subrev_co_ci_u32_e32 v43, vcc_lo, s15, v43, vcc_lo
	s_waitcnt vmcnt(4)
	v_cvt_f64_f32_e32 v[97:98], v4
	v_cvt_f64_f32_e32 v[99:100], v5
	;; [unrolled: 1-line block ×3, first 2 shown]
	v_lshlrev_b64 v[42:43], 6, v[42:43]
	v_cvt_f64_f32_e32 v[103:104], v7
	s_waitcnt vmcnt(3)
	v_cvt_f64_f32_e32 v[105:106], v0
	v_cvt_f64_f32_e32 v[107:108], v2
	;; [unrolled: 1-line block ×3, first 2 shown]
	s_waitcnt lgkmcnt(0)
	v_add_co_u32 v79, vcc_lo, s4, v42
	v_add_co_ci_u32_e32 v80, vcc_lo, s5, v43, vcc_lo
	s_waitcnt vmcnt(2)
	v_sub_co_u32 v4, vcc_lo, v91, s12
	v_subrev_co_ci_u32_e32 v5, vcc_lo, s15, v92, vcc_lo
	global_load_b128 v[42:45], v[79:80], off
	s_clause 0x1
	global_load_b128 v[46:49], v[12:13], off offset:32
	global_load_b128 v[51:54], v[12:13], off offset:48
	global_load_b128 v[55:58], v[79:80], off offset:16
	s_clause 0x1
	global_load_b128 v[59:62], v[12:13], off offset:64
	global_load_b128 v[63:66], v[12:13], off offset:80
	global_load_b128 v[67:70], v[79:80], off offset:32
	;; [unrolled: 4-line block ×3, first 2 shown]
	s_clause 0x1
	global_load_b128 v[83:86], v[12:13], off offset:2048
	global_load_b128 v[87:90], v[12:13], off offset:2064
	v_cvt_f64_f32_e32 v[91:92], v1
	v_lshlrev_b64 v[0:1], 6, v[4:5]
	s_delay_alu instid0(VALU_DEP_1) | instskip(NEXT) | instid1(VALU_DEP_2)
	v_add_co_u32 v111, vcc_lo, s4, v0
	v_add_co_ci_u32_e32 v112, vcc_lo, s5, v1, vcc_lo
	global_load_b128 v[0:3], v[111:112], off
	s_waitcnt vmcnt(12)
	v_fma_f64 v[30:31], v[97:98], v[42:43], v[30:31]
	v_fma_f64 v[14:15], v[99:100], v[42:43], v[14:15]
	;; [unrolled: 1-line block ×8, first 2 shown]
	s_clause 0x1
	global_load_b128 v[4:7], v[12:13], off offset:2080
	global_load_b128 v[26:29], v[12:13], off offset:2096
	s_waitcnt vmcnt(13)
	v_cvt_f64_f32_e32 v[117:118], v46
	v_cvt_f64_f32_e32 v[46:47], v47
	;; [unrolled: 1-line block ×4, first 2 shown]
	s_waitcnt vmcnt(12)
	v_cvt_f64_f32_e32 v[121:122], v51
	v_cvt_f64_f32_e32 v[51:52], v52
	v_cvt_f64_f32_e32 v[123:124], v53
	v_cvt_f64_f32_e32 v[53:54], v54
	s_waitcnt vmcnt(9)
	v_cvt_f64_f32_e32 v[125:126], v65
	v_cvt_f64_f32_e32 v[65:66], v66
	v_fma_f64 v[42:43], -v[99:100], v[44:45], v[30:31]
	v_fma_f64 v[14:15], v[97:98], v[44:45], v[14:15]
	v_fma_f64 v[36:37], -v[103:104], v[44:45], v[36:37]
	v_fma_f64 v[97:98], v[101:102], v[44:45], v[113:114]
	;; [unrolled: 2-line block ×4, first 2 shown]
	global_load_b128 v[30:33], v[111:112], off offset:16
	v_cvt_f64_f32_e32 v[105:106], v59
	v_cvt_f64_f32_e32 v[107:108], v60
	;; [unrolled: 1-line block ×6, first 2 shown]
	v_fma_f64 v[99:100], v[117:118], v[55:56], v[42:43]
	v_fma_f64 v[14:15], v[46:47], v[55:56], v[14:15]
	;; [unrolled: 1-line block ×8, first 2 shown]
	s_clause 0x1
	global_load_b128 v[34:37], v[12:13], off offset:2112
	global_load_b128 v[42:45], v[12:13], off offset:2128
	v_fma_f64 v[59:60], -v[46:47], v[57:58], v[99:100]
	v_fma_f64 v[14:15], v[117:118], v[57:58], v[14:15]
	v_fma_f64 v[61:62], -v[48:49], v[57:58], v[101:102]
	v_fma_f64 v[97:98], v[119:120], v[57:58], v[97:98]
	;; [unrolled: 2-line block ×4, first 2 shown]
	s_clause 0x1
	global_load_b128 v[46:49], v[111:112], off offset:32
	global_load_b128 v[51:54], v[111:112], off offset:48
	s_waitcnt vmcnt(12)
	v_cvt_f64_f32_e32 v[111:112], v71
	v_cvt_f64_f32_e32 v[71:72], v72
	;; [unrolled: 1-line block ×4, first 2 shown]
	s_waitcnt vmcnt(11)
	v_cvt_f64_f32_e32 v[119:120], v75
	v_cvt_f64_f32_e32 v[75:76], v76
	;; [unrolled: 1-line block ×4, first 2 shown]
	s_waitcnt vmcnt(8)
	v_cvt_f64_f32_e32 v[123:124], v87
	v_cvt_f64_f32_e32 v[87:88], v88
	v_fma_f64 v[101:102], v[105:106], v[67:68], v[59:60]
	v_fma_f64 v[14:15], v[107:108], v[67:68], v[14:15]
	;; [unrolled: 1-line block ×8, first 2 shown]
	s_clause 0x1
	global_load_b128 v[55:58], v[12:13], off offset:2144
	global_load_b128 v[59:62], v[12:13], off offset:2160
	v_fma_f64 v[101:102], -v[107:108], v[69:70], v[101:102]
	v_fma_f64 v[14:15], v[105:106], v[69:70], v[14:15]
	v_fma_f64 v[103:104], -v[113:114], v[69:70], v[103:104]
	v_fma_f64 v[97:98], v[109:110], v[69:70], v[97:98]
	;; [unrolled: 2-line block ×4, first 2 shown]
	v_add_co_u32 v91, vcc_lo, 0x1000, v12
	v_add_co_ci_u32_e32 v92, vcc_lo, 0, v13, vcc_lo
	v_cvt_f64_f32_e32 v[107:108], v83
	v_cvt_f64_f32_e32 v[109:110], v84
	;; [unrolled: 1-line block ×6, first 2 shown]
	v_sub_co_u32 v83, vcc_lo, v93, s12
	v_subrev_co_ci_u32_e32 v84, vcc_lo, s15, v94, vcc_lo
	v_add_co_u32 v12, s0, 0x2000, v12
	s_delay_alu instid0(VALU_DEP_1)
	v_add_co_ci_u32_e64 v13, s0, 0, v13, s0
	v_fma_f64 v[99:100], v[111:112], v[79:80], v[101:102]
	v_fma_f64 v[14:15], v[71:72], v[79:80], v[14:15]
	;; [unrolled: 1-line block ×8, first 2 shown]
	s_clause 0x1
	global_load_b128 v[63:66], v[91:92], off
	global_load_b128 v[67:70], v[91:92], off offset:16
	v_fma_f64 v[85:86], -v[71:72], v[81:82], v[99:100]
	v_fma_f64 v[14:15], v[111:112], v[81:82], v[14:15]
	v_fma_f64 v[99:100], -v[73:74], v[81:82], v[101:102]
	v_fma_f64 v[97:98], v[117:118], v[81:82], v[97:98]
	;; [unrolled: 2-line block ×4, first 2 shown]
	v_lshlrev_b64 v[71:72], 6, v[83:84]
	s_delay_alu instid0(VALU_DEP_1) | instskip(NEXT) | instid1(VALU_DEP_2)
	v_add_co_u32 v93, vcc_lo, s4, v71
	v_add_co_ci_u32_e32 v94, vcc_lo, s5, v72, vcc_lo
	s_clause 0x1
	global_load_b128 v[71:74], v[93:94], off
	global_load_b128 v[75:78], v[93:94], off offset:16
	v_sub_co_u32 v95, vcc_lo, v95, s12
	v_subrev_co_ci_u32_e32 v96, vcc_lo, s15, v96, vcc_lo
	s_waitcnt vmcnt(13)
	v_fma_f64 v[105:106], v[107:108], v[0:1], v[85:86]
	v_fma_f64 v[14:15], v[109:110], v[0:1], v[14:15]
	;; [unrolled: 1-line block ×8, first 2 shown]
	s_clause 0x1
	global_load_b128 v[79:82], v[91:92], off offset:32
	global_load_b128 v[83:86], v[91:92], off offset:48
	s_waitcnt vmcnt(14)
	v_cvt_f64_f32_e32 v[111:112], v4
	v_cvt_f64_f32_e32 v[117:118], v5
	;; [unrolled: 1-line block ×4, first 2 shown]
	s_waitcnt vmcnt(13)
	v_cvt_f64_f32_e32 v[127:128], v26
	v_cvt_f64_f32_e32 v[26:27], v27
	;; [unrolled: 1-line block ×4, first 2 shown]
	v_fma_f64 v[4:5], -v[109:110], v[2:3], v[105:106]
	v_fma_f64 v[6:7], v[107:108], v[2:3], v[14:15]
	v_fma_f64 v[14:15], -v[115:116], v[2:3], v[99:100]
	v_fma_f64 v[97:98], v[113:114], v[2:3], v[97:98]
	;; [unrolled: 2-line block ×4, first 2 shown]
	s_waitcnt vmcnt(12)
	v_fma_f64 v[99:100], v[111:112], v[30:31], v[4:5]
	v_fma_f64 v[101:102], v[117:118], v[30:31], v[6:7]
	;; [unrolled: 1-line block ×8, first 2 shown]
	s_clause 0x1
	global_load_b128 v[0:3], v[91:92], off offset:64
	global_load_b128 v[4:7], v[91:92], off offset:80
	s_waitcnt vmcnt(13)
	v_cvt_f64_f32_e32 v[103:104], v34
	v_cvt_f64_f32_e32 v[105:106], v35
	;; [unrolled: 1-line block ×4, first 2 shown]
	s_waitcnt vmcnt(12)
	v_cvt_f64_f32_e32 v[113:114], v42
	v_cvt_f64_f32_e32 v[42:43], v43
	v_cvt_f64_f32_e32 v[115:116], v44
	v_cvt_f64_f32_e32 v[44:45], v45
	v_fma_f64 v[34:35], -v[117:118], v[32:33], v[99:100]
	v_fma_f64 v[36:37], v[111:112], v[32:33], v[101:102]
	v_fma_f64 v[14:15], -v[121:122], v[32:33], v[14:15]
	v_fma_f64 v[97:98], v[119:120], v[32:33], v[97:98]
	;; [unrolled: 2-line block ×4, first 2 shown]
	global_load_b128 v[26:29], v[93:94], off offset:32
	s_waitcnt vmcnt(12)
	v_fma_f64 v[99:100], v[103:104], v[46:47], v[34:35]
	v_fma_f64 v[101:102], v[105:106], v[46:47], v[36:37]
	;; [unrolled: 1-line block ×8, first 2 shown]
	s_clause 0x1
	global_load_b128 v[30:33], v[91:92], off offset:96
	global_load_b128 v[34:37], v[91:92], off offset:112
	s_waitcnt vmcnt(12)
	v_cvt_f64_f32_e32 v[111:112], v55
	v_cvt_f64_f32_e32 v[117:118], v56
	;; [unrolled: 1-line block ×4, first 2 shown]
	s_waitcnt vmcnt(11)
	v_cvt_f64_f32_e32 v[123:124], v59
	v_cvt_f64_f32_e32 v[59:60], v60
	;; [unrolled: 1-line block ×4, first 2 shown]
	v_fma_f64 v[55:56], -v[105:106], v[48:49], v[99:100]
	v_fma_f64 v[57:58], v[103:104], v[48:49], v[101:102]
	v_fma_f64 v[14:15], -v[109:110], v[48:49], v[14:15]
	v_fma_f64 v[97:98], v[107:108], v[48:49], v[97:98]
	v_fma_f64 v[38:39], -v[42:43], v[48:49], v[38:39]
	v_fma_f64 v[87:88], v[113:114], v[48:49], v[87:88]
	v_fma_f64 v[89:90], -v[44:45], v[48:49], v[89:90]
	v_fma_f64 v[46:47], v[115:116], v[48:49], v[46:47]
	global_load_b128 v[42:45], v[93:94], off offset:48
	v_fma_f64 v[93:94], v[111:112], v[51:52], v[55:56]
	v_fma_f64 v[99:100], v[117:118], v[51:52], v[57:58]
	;; [unrolled: 1-line block ×8, first 2 shown]
	s_clause 0x1
	global_load_b128 v[46:49], v[91:92], off offset:2048
	global_load_b128 v[55:58], v[91:92], off offset:2064
	s_waitcnt vmcnt(13)
	v_cvt_f64_f32_e32 v[101:102], v63
	v_cvt_f64_f32_e32 v[103:104], v64
	;; [unrolled: 1-line block ×4, first 2 shown]
	s_waitcnt vmcnt(12)
	v_cvt_f64_f32_e32 v[109:110], v67
	v_cvt_f64_f32_e32 v[67:68], v68
	v_cvt_f64_f32_e32 v[113:114], v69
	v_cvt_f64_f32_e32 v[69:70], v70
	v_fma_f64 v[63:64], -v[117:118], v[53:54], v[93:94]
	v_fma_f64 v[65:66], v[111:112], v[53:54], v[99:100]
	v_fma_f64 v[14:15], -v[121:122], v[53:54], v[14:15]
	v_fma_f64 v[93:94], v[119:120], v[53:54], v[97:98]
	v_fma_f64 v[38:39], -v[59:60], v[53:54], v[38:39]
	v_fma_f64 v[59:60], v[123:124], v[53:54], v[87:88]
	v_fma_f64 v[61:62], -v[61:62], v[53:54], v[89:90]
	v_fma_f64 v[87:88], v[125:126], v[53:54], v[51:52]
	v_lshlrev_b64 v[51:52], 6, v[95:96]
	s_delay_alu instid0(VALU_DEP_1) | instskip(NEXT) | instid1(VALU_DEP_2)
	v_add_co_u32 v89, vcc_lo, s4, v51
	v_add_co_ci_u32_e32 v90, vcc_lo, s5, v52, vcc_lo
	v_add_co_u32 v8, vcc_lo, v8, 64
	v_add_co_ci_u32_e32 v9, vcc_lo, 0, v9, vcc_lo
	global_load_b128 v[51:54], v[89:90], off
	v_add_co_u32 v40, vcc_lo, 0x200, v40
	v_add_co_ci_u32_e32 v41, vcc_lo, 0, v41, vcc_lo
	v_cmp_ge_i64_e32 vcc_lo, v[8:9], v[10:11]
	s_or_b32 s7, vcc_lo, s7
	s_waitcnt vmcnt(12)
	v_fma_f64 v[95:96], v[101:102], v[71:72], v[63:64]
	v_fma_f64 v[97:98], v[103:104], v[71:72], v[65:66]
	;; [unrolled: 1-line block ×8, first 2 shown]
	s_clause 0x1
	global_load_b128 v[59:62], v[91:92], off offset:2080
	global_load_b128 v[63:66], v[91:92], off offset:2096
	s_waitcnt vmcnt(12)
	v_cvt_f64_f32_e32 v[87:88], v79
	v_cvt_f64_f32_e32 v[115:116], v80
	;; [unrolled: 1-line block ×4, first 2 shown]
	s_waitcnt vmcnt(11)
	v_cvt_f64_f32_e32 v[121:122], v83
	v_cvt_f64_f32_e32 v[83:84], v84
	;; [unrolled: 1-line block ×4, first 2 shown]
	v_fma_f64 v[79:80], -v[103:104], v[73:74], v[95:96]
	v_fma_f64 v[81:82], v[101:102], v[73:74], v[97:98]
	v_fma_f64 v[14:15], -v[107:108], v[73:74], v[14:15]
	v_fma_f64 v[93:94], v[105:106], v[73:74], v[93:94]
	v_fma_f64 v[38:39], -v[67:68], v[73:74], v[38:39]
	v_fma_f64 v[95:96], v[109:110], v[73:74], v[99:100]
	v_fma_f64 v[97:98], -v[69:70], v[73:74], v[111:112]
	v_fma_f64 v[71:72], v[113:114], v[73:74], v[71:72]
	global_load_b128 v[67:70], v[89:90], off offset:16
	v_fma_f64 v[99:100], v[87:88], v[75:76], v[79:80]
	v_fma_f64 v[101:102], v[115:116], v[75:76], v[81:82]
	;; [unrolled: 1-line block ×8, first 2 shown]
	s_clause 0x1
	global_load_b128 v[71:74], v[91:92], off offset:2112
	global_load_b128 v[79:82], v[91:92], off offset:2128
	s_waitcnt vmcnt(13)
	v_cvt_f64_f32_e32 v[103:104], v0
	v_cvt_f64_f32_e32 v[105:106], v1
	;; [unrolled: 1-line block ×4, first 2 shown]
	s_waitcnt vmcnt(12)
	v_cvt_f64_f32_e32 v[111:112], v4
	v_cvt_f64_f32_e32 v[113:114], v5
	;; [unrolled: 1-line block ×4, first 2 shown]
	global_load_b128 v[0:3], v[89:90], off offset:32
	v_fma_f64 v[4:5], -v[115:116], v[77:78], v[99:100]
	v_fma_f64 v[6:7], v[87:88], v[77:78], v[101:102]
	v_fma_f64 v[14:15], -v[119:120], v[77:78], v[14:15]
	v_fma_f64 v[87:88], v[117:118], v[77:78], v[93:94]
	;; [unrolled: 2-line block ×4, first 2 shown]
	s_waitcnt vmcnt(12)
	v_fma_f64 v[93:94], v[103:104], v[26:27], v[4:5]
	v_fma_f64 v[95:96], v[105:106], v[26:27], v[6:7]
	;; [unrolled: 1-line block ×8, first 2 shown]
	s_clause 0x1
	global_load_b128 v[4:7], v[91:92], off offset:2144
	global_load_b128 v[75:78], v[91:92], off offset:2160
	s_waitcnt vmcnt(13)
	v_cvt_f64_f32_e32 v[91:92], v30
	v_cvt_f64_f32_e32 v[97:98], v31
	;; [unrolled: 1-line block ×4, first 2 shown]
	s_waitcnt vmcnt(12)
	v_cvt_f64_f32_e32 v[115:116], v34
	v_cvt_f64_f32_e32 v[34:35], v35
	;; [unrolled: 1-line block ×4, first 2 shown]
	global_load_b128 v[30:33], v[89:90], off offset:48
	v_fma_f64 v[93:94], -v[105:106], v[28:29], v[93:94]
	v_fma_f64 v[95:96], v[103:104], v[28:29], v[95:96]
	v_fma_f64 v[14:15], -v[109:110], v[28:29], v[14:15]
	v_fma_f64 v[87:88], v[107:108], v[28:29], v[87:88]
	v_fma_f64 v[38:39], -v[113:114], v[28:29], v[38:39]
	v_fma_f64 v[83:84], v[111:112], v[28:29], v[83:84]
	v_fma_f64 v[85:86], -v[127:128], v[28:29], v[85:86]
	v_fma_f64 v[26:27], v[125:126], v[28:29], v[26:27]
	s_waitcnt vmcnt(12)
	v_fma_f64 v[28:29], v[91:92], v[42:43], v[93:94]
	v_fma_f64 v[89:90], v[97:98], v[42:43], v[95:96]
	v_fma_f64 v[14:15], v[99:100], v[42:43], v[14:15]
	v_fma_f64 v[87:88], v[101:102], v[42:43], v[87:88]
	v_fma_f64 v[38:39], v[115:116], v[42:43], v[38:39]
	v_fma_f64 v[83:84], v[34:35], v[42:43], v[83:84]
	v_fma_f64 v[85:86], v[117:118], v[42:43], v[85:86]
	v_fma_f64 v[26:27], v[36:37], v[42:43], v[26:27]
	s_waitcnt vmcnt(11)
	v_cvt_f64_f32_e32 v[42:43], v46
	v_cvt_f64_f32_e32 v[46:47], v47
	v_cvt_f64_f32_e32 v[93:94], v48
	v_cvt_f64_f32_e32 v[48:49], v49
	s_waitcnt vmcnt(10)
	v_cvt_f64_f32_e32 v[95:96], v55
	v_cvt_f64_f32_e32 v[55:56], v56
	v_cvt_f64_f32_e32 v[103:104], v57
	v_cvt_f64_f32_e32 v[57:58], v58
	v_fma_f64 v[28:29], -v[97:98], v[44:45], v[28:29]
	v_fma_f64 v[89:90], v[91:92], v[44:45], v[89:90]
	v_fma_f64 v[14:15], -v[101:102], v[44:45], v[14:15]
	v_fma_f64 v[87:88], v[99:100], v[44:45], v[87:88]
	v_fma_f64 v[34:35], -v[34:35], v[44:45], v[38:39]
	v_fma_f64 v[38:39], v[115:116], v[44:45], v[83:84]
	v_fma_f64 v[36:37], -v[36:37], v[44:45], v[85:86]
	v_fma_f64 v[26:27], v[117:118], v[44:45], v[26:27]
	s_waitcnt vmcnt(9)
	v_fma_f64 v[28:29], v[42:43], v[51:52], v[28:29]
	v_fma_f64 v[44:45], v[46:47], v[51:52], v[89:90]
	v_fma_f64 v[14:15], v[93:94], v[51:52], v[14:15]
	v_fma_f64 v[83:84], v[48:49], v[51:52], v[87:88]
	v_fma_f64 v[34:35], v[95:96], v[51:52], v[34:35]
	v_fma_f64 v[38:39], v[55:56], v[51:52], v[38:39]
	v_fma_f64 v[36:37], v[103:104], v[51:52], v[36:37]
	v_fma_f64 v[26:27], v[57:58], v[51:52], v[26:27]
	s_waitcnt vmcnt(8)
	v_cvt_f64_f32_e32 v[51:52], v59
	v_cvt_f64_f32_e32 v[59:60], v60
	v_cvt_f64_f32_e32 v[85:86], v61
	v_cvt_f64_f32_e32 v[61:62], v62
	s_waitcnt vmcnt(7)
	v_cvt_f64_f32_e32 v[87:88], v63
	v_cvt_f64_f32_e32 v[63:64], v64
	v_cvt_f64_f32_e32 v[89:90], v65
	v_cvt_f64_f32_e32 v[65:66], v66
	;; [unrolled: 27-line block ×4, first 2 shown]
	v_fma_f64 v[28:29], -v[48:49], v[2:3], v[28:29]
	v_fma_f64 v[42:43], v[46:47], v[2:3], v[42:43]
	v_fma_f64 v[14:15], -v[55:56], v[2:3], v[14:15]
	v_fma_f64 v[44:45], v[53:54], v[2:3], v[44:45]
	;; [unrolled: 2-line block ×4, first 2 shown]
	s_waitcnt vmcnt(0)
	v_fma_f64 v[2:3], v[26:27], v[30:31], v[28:29]
	v_fma_f64 v[28:29], v[4:5], v[30:31], v[42:43]
	;; [unrolled: 1-line block ×8, first 2 shown]
	v_fma_f64 v[30:31], -v[4:5], v[32:33], v[2:3]
	v_fma_f64 v[14:15], v[26:27], v[32:33], v[28:29]
	v_fma_f64 v[36:37], -v[6:7], v[32:33], v[42:43]
	v_fma_f64 v[28:29], v[51:52], v[32:33], v[44:45]
	;; [unrolled: 2-line block ×4, first 2 shown]
	s_and_not1_b32 exec_lo, exec_lo, s7
	s_cbranch_execnz .LBB177_37
; %bb.38:
	s_or_b32 exec_lo, exec_lo, s7
.LBB177_39:
	s_delay_alu instid0(SALU_CYCLE_1)
	s_or_b32 exec_lo, exec_lo, s6
.LBB177_40:
	s_delay_alu instid0(SALU_CYCLE_1)
	s_or_b32 exec_lo, exec_lo, s1
.LBB177_41:
	v_mbcnt_lo_u32_b32 v42, -1, 0
	s_delay_alu instid0(VALU_DEP_1) | instskip(NEXT) | instid1(VALU_DEP_1)
	v_xor_b32_e32 v0, 8, v42
	v_cmp_gt_i32_e32 vcc_lo, 32, v0
	v_cndmask_b32_e32 v0, v42, v0, vcc_lo
	s_delay_alu instid0(VALU_DEP_1)
	v_lshlrev_b32_e32 v41, 2, v0
	ds_bpermute_b32 v12, v41, v26
	ds_bpermute_b32 v13, v41, v27
	s_waitcnt lgkmcnt(0)
	v_add_f64 v[12:13], v[26:27], v[12:13]
	v_xor_b32_e32 v26, 4, v42
	s_delay_alu instid0(VALU_DEP_1)
	v_cmp_gt_i32_e32 vcc_lo, 32, v26
	v_cndmask_b32_e32 v26, v42, v26, vcc_lo
	ds_bpermute_b32 v0, v41, v30
	ds_bpermute_b32 v1, v41, v31
	;; [unrolled: 1-line block ×14, first 2 shown]
	s_waitcnt lgkmcnt(12)
	v_add_f64 v[0:1], v[30:31], v[0:1]
	s_waitcnt lgkmcnt(10)
	v_add_f64 v[6:7], v[28:29], v[6:7]
	;; [unrolled: 2-line block ×7, first 2 shown]
	v_lshlrev_b32_e32 v41, 2, v26
	ds_bpermute_b32 v38, v41, v12
	ds_bpermute_b32 v39, v41, v13
	;; [unrolled: 1-line block ×16, first 2 shown]
	s_waitcnt lgkmcnt(14)
	v_add_f64 v[12:13], v[12:13], v[38:39]
	s_waitcnt lgkmcnt(12)
	v_add_f64 v[0:1], v[0:1], v[26:27]
	;; [unrolled: 2-line block ×8, first 2 shown]
	v_xor_b32_e32 v14, 2, v42
	s_delay_alu instid0(VALU_DEP_1) | instskip(SKIP_1) | instid1(VALU_DEP_1)
	v_cmp_gt_i32_e32 vcc_lo, 32, v14
	v_cndmask_b32_e32 v14, v42, v14, vcc_lo
	v_lshlrev_b32_e32 v41, 2, v14
	ds_bpermute_b32 v38, v41, v12
	ds_bpermute_b32 v39, v41, v13
	;; [unrolled: 1-line block ×6, first 2 shown]
	s_waitcnt lgkmcnt(2)
	v_add_f64 v[0:1], v[0:1], v[14:15]
	s_waitcnt lgkmcnt(0)
	v_add_f64 v[14:15], v[6:7], v[32:33]
	v_add_f64 v[6:7], v[12:13], v[38:39]
	v_xor_b32_e32 v12, 1, v42
	s_delay_alu instid0(VALU_DEP_1)
	v_cmp_gt_i32_e32 vcc_lo, 32, v12
	v_cndmask_b32_e32 v12, v42, v12, vcc_lo
	ds_bpermute_b32 v28, v41, v2
	ds_bpermute_b32 v29, v41, v3
	;; [unrolled: 1-line block ×10, first 2 shown]
	v_cmp_eq_u32_e32 vcc_lo, 15, v50
	s_waitcnt lgkmcnt(8)
	v_add_f64 v[28:29], v[2:3], v[28:29]
	s_waitcnt lgkmcnt(6)
	v_add_f64 v[2:3], v[4:5], v[30:31]
	;; [unrolled: 2-line block ×3, first 2 shown]
	v_lshlrev_b32_e32 v35, 2, v12
	s_waitcnt lgkmcnt(2)
	v_add_f64 v[10:11], v[10:11], v[36:37]
	s_waitcnt lgkmcnt(0)
	v_add_f64 v[8:9], v[26:27], v[40:41]
	ds_bpermute_b32 v12, v35, v0
	ds_bpermute_b32 v13, v35, v1
	;; [unrolled: 1-line block ×16, first 2 shown]
	s_and_b32 exec_lo, exec_lo, vcc_lo
	s_cbranch_execz .LBB177_12
; %bb.42:
	s_waitcnt lgkmcnt(8)
	v_add_f64 v[28:29], v[28:29], v[40:41]
	v_add_f64 v[14:15], v[14:15], v[38:39]
	s_waitcnt lgkmcnt(2)
	v_add_f64 v[10:11], v[10:11], v[36:37]
	s_waitcnt lgkmcnt(0)
	v_add_f64 v[8:9], v[8:9], v[34:35]
	v_add_f64 v[0:1], v[0:1], v[12:13]
	;; [unrolled: 1-line block ×5, first 2 shown]
	v_cmp_eq_f64_e32 vcc_lo, 0, v[16:17]
	v_cmp_eq_f64_e64 s0, 0, v[18:19]
	s_load_b64 s[2:3], s[2:3], 0x68
	v_mul_f64 v[4:5], v[28:29], -v[22:23]
	v_mul_f64 v[6:7], v[20:21], v[28:29]
	v_mul_f64 v[28:29], v[14:15], -v[22:23]
	v_mul_f64 v[32:33], v[20:21], v[14:15]
	;; [unrolled: 2-line block ×4, first 2 shown]
	s_and_b32 s0, vcc_lo, s0
	v_fma_f64 v[12:13], v[20:21], v[0:1], v[4:5]
	v_fma_f64 v[14:15], v[22:23], v[0:1], v[6:7]
	;; [unrolled: 1-line block ×8, first 2 shown]
	v_lshlrev_b64 v[20:21], 6, v[24:25]
	s_and_saveexec_b32 s1, s0
	s_delay_alu instid0(SALU_CYCLE_1)
	s_xor_b32 s0, exec_lo, s1
	s_cbranch_execz .LBB177_44
; %bb.43:
	s_waitcnt lgkmcnt(0)
	s_delay_alu instid0(VALU_DEP_1)
	v_add_co_u32 v16, vcc_lo, s2, v20
	v_add_co_ci_u32_e32 v17, vcc_lo, s3, v21, vcc_lo
                                        ; implicit-def: $vgpr18_vgpr19
                                        ; implicit-def: $vgpr20_vgpr21
	s_clause 0x3
	global_store_b128 v[16:17], v[12:15], off
	global_store_b128 v[16:17], v[8:11], off offset:16
	global_store_b128 v[16:17], v[4:7], off offset:32
	;; [unrolled: 1-line block ×3, first 2 shown]
                                        ; implicit-def: $vgpr16_vgpr17
                                        ; implicit-def: $vgpr12_vgpr13
                                        ; implicit-def: $vgpr8_vgpr9
                                        ; implicit-def: $vgpr4_vgpr5
                                        ; implicit-def: $vgpr0_vgpr1
.LBB177_44:
	s_and_not1_saveexec_b32 s0, s0
	s_cbranch_execz .LBB177_12
; %bb.45:
	s_waitcnt lgkmcnt(0)
	v_add_co_u32 v36, vcc_lo, s2, v20
	v_add_co_ci_u32_e32 v37, vcc_lo, s3, v21, vcc_lo
	s_clause 0x3
	global_load_b128 v[20:23], v[36:37], off
	global_load_b128 v[24:27], v[36:37], off offset:16
	global_load_b128 v[28:31], v[36:37], off offset:32
	;; [unrolled: 1-line block ×3, first 2 shown]
	s_waitcnt vmcnt(3)
	v_fma_f64 v[12:13], v[16:17], v[20:21], v[12:13]
	v_fma_f64 v[14:15], v[18:19], v[20:21], v[14:15]
	s_waitcnt vmcnt(2)
	v_fma_f64 v[8:9], v[16:17], v[24:25], v[8:9]
	v_fma_f64 v[10:11], v[18:19], v[24:25], v[10:11]
	;; [unrolled: 3-line block ×4, first 2 shown]
	v_fma_f64 v[0:1], -v[18:19], v[22:23], v[12:13]
	v_fma_f64 v[2:3], v[16:17], v[22:23], v[14:15]
	v_fma_f64 v[4:5], -v[18:19], v[26:27], v[8:9]
	v_fma_f64 v[6:7], v[16:17], v[26:27], v[10:11]
	;; [unrolled: 2-line block ×4, first 2 shown]
	s_clause 0x3
	global_store_b128 v[36:37], v[0:3], off
	global_store_b128 v[36:37], v[4:7], off offset:16
	global_store_b128 v[36:37], v[8:11], off offset:32
	global_store_b128 v[36:37], v[12:15], off offset:48
	s_nop 0
	s_sendmsg sendmsg(MSG_DEALLOC_VGPRS)
	s_endpgm
	.section	.rodata,"a",@progbits
	.p2align	6, 0x0
	.amdhsa_kernel _ZN9rocsparseL18bsrxmvn_4x4_kernelILj128ELj16E21rocsparse_complex_numIdEllS1_IfES2_S2_EEvT3_20rocsparse_direction_NS_24const_host_device_scalarIT1_EES4_PKS4_PKT2_SD_SA_PKT4_PKT5_S8_PT6_21rocsparse_index_base_b
		.amdhsa_group_segment_fixed_size 2048
		.amdhsa_private_segment_fixed_size 0
		.amdhsa_kernarg_size 120
		.amdhsa_user_sgpr_count 15
		.amdhsa_user_sgpr_dispatch_ptr 1
		.amdhsa_user_sgpr_queue_ptr 0
		.amdhsa_user_sgpr_kernarg_segment_ptr 1
		.amdhsa_user_sgpr_dispatch_id 0
		.amdhsa_user_sgpr_private_segment_size 0
		.amdhsa_wavefront_size32 1
		.amdhsa_uses_dynamic_stack 0
		.amdhsa_enable_private_segment 0
		.amdhsa_system_sgpr_workgroup_id_x 1
		.amdhsa_system_sgpr_workgroup_id_y 0
		.amdhsa_system_sgpr_workgroup_id_z 0
		.amdhsa_system_sgpr_workgroup_info 0
		.amdhsa_system_vgpr_workitem_id 2
		.amdhsa_next_free_vgpr 137
		.amdhsa_next_free_sgpr 18
		.amdhsa_reserve_vcc 1
		.amdhsa_float_round_mode_32 0
		.amdhsa_float_round_mode_16_64 0
		.amdhsa_float_denorm_mode_32 3
		.amdhsa_float_denorm_mode_16_64 3
		.amdhsa_dx10_clamp 1
		.amdhsa_ieee_mode 1
		.amdhsa_fp16_overflow 0
		.amdhsa_workgroup_processor_mode 1
		.amdhsa_memory_ordered 1
		.amdhsa_forward_progress 0
		.amdhsa_shared_vgpr_count 0
		.amdhsa_exception_fp_ieee_invalid_op 0
		.amdhsa_exception_fp_denorm_src 0
		.amdhsa_exception_fp_ieee_div_zero 0
		.amdhsa_exception_fp_ieee_overflow 0
		.amdhsa_exception_fp_ieee_underflow 0
		.amdhsa_exception_fp_ieee_inexact 0
		.amdhsa_exception_int_div_zero 0
	.end_amdhsa_kernel
	.section	.text._ZN9rocsparseL18bsrxmvn_4x4_kernelILj128ELj16E21rocsparse_complex_numIdEllS1_IfES2_S2_EEvT3_20rocsparse_direction_NS_24const_host_device_scalarIT1_EES4_PKS4_PKT2_SD_SA_PKT4_PKT5_S8_PT6_21rocsparse_index_base_b,"axG",@progbits,_ZN9rocsparseL18bsrxmvn_4x4_kernelILj128ELj16E21rocsparse_complex_numIdEllS1_IfES2_S2_EEvT3_20rocsparse_direction_NS_24const_host_device_scalarIT1_EES4_PKS4_PKT2_SD_SA_PKT4_PKT5_S8_PT6_21rocsparse_index_base_b,comdat
.Lfunc_end177:
	.size	_ZN9rocsparseL18bsrxmvn_4x4_kernelILj128ELj16E21rocsparse_complex_numIdEllS1_IfES2_S2_EEvT3_20rocsparse_direction_NS_24const_host_device_scalarIT1_EES4_PKS4_PKT2_SD_SA_PKT4_PKT5_S8_PT6_21rocsparse_index_base_b, .Lfunc_end177-_ZN9rocsparseL18bsrxmvn_4x4_kernelILj128ELj16E21rocsparse_complex_numIdEllS1_IfES2_S2_EEvT3_20rocsparse_direction_NS_24const_host_device_scalarIT1_EES4_PKS4_PKT2_SD_SA_PKT4_PKT5_S8_PT6_21rocsparse_index_base_b
                                        ; -- End function
	.section	.AMDGPU.csdata,"",@progbits
; Kernel info:
; codeLenInByte = 11916
; NumSgprs: 20
; NumVgprs: 137
; ScratchSize: 0
; MemoryBound: 0
; FloatMode: 240
; IeeeMode: 1
; LDSByteSize: 2048 bytes/workgroup (compile time only)
; SGPRBlocks: 2
; VGPRBlocks: 17
; NumSGPRsForWavesPerEU: 20
; NumVGPRsForWavesPerEU: 137
; Occupancy: 10
; WaveLimiterHint : 1
; COMPUTE_PGM_RSRC2:SCRATCH_EN: 0
; COMPUTE_PGM_RSRC2:USER_SGPR: 15
; COMPUTE_PGM_RSRC2:TRAP_HANDLER: 0
; COMPUTE_PGM_RSRC2:TGID_X_EN: 1
; COMPUTE_PGM_RSRC2:TGID_Y_EN: 0
; COMPUTE_PGM_RSRC2:TGID_Z_EN: 0
; COMPUTE_PGM_RSRC2:TIDIG_COMP_CNT: 2
	.section	.text._ZN9rocsparseL18bsrxmvn_4x4_kernelILj128ELj32E21rocsparse_complex_numIdEllS1_IfES2_S2_EEvT3_20rocsparse_direction_NS_24const_host_device_scalarIT1_EES4_PKS4_PKT2_SD_SA_PKT4_PKT5_S8_PT6_21rocsparse_index_base_b,"axG",@progbits,_ZN9rocsparseL18bsrxmvn_4x4_kernelILj128ELj32E21rocsparse_complex_numIdEllS1_IfES2_S2_EEvT3_20rocsparse_direction_NS_24const_host_device_scalarIT1_EES4_PKS4_PKT2_SD_SA_PKT4_PKT5_S8_PT6_21rocsparse_index_base_b,comdat
	.globl	_ZN9rocsparseL18bsrxmvn_4x4_kernelILj128ELj32E21rocsparse_complex_numIdEllS1_IfES2_S2_EEvT3_20rocsparse_direction_NS_24const_host_device_scalarIT1_EES4_PKS4_PKT2_SD_SA_PKT4_PKT5_S8_PT6_21rocsparse_index_base_b ; -- Begin function _ZN9rocsparseL18bsrxmvn_4x4_kernelILj128ELj32E21rocsparse_complex_numIdEllS1_IfES2_S2_EEvT3_20rocsparse_direction_NS_24const_host_device_scalarIT1_EES4_PKS4_PKT2_SD_SA_PKT4_PKT5_S8_PT6_21rocsparse_index_base_b
	.p2align	8
	.type	_ZN9rocsparseL18bsrxmvn_4x4_kernelILj128ELj32E21rocsparse_complex_numIdEllS1_IfES2_S2_EEvT3_20rocsparse_direction_NS_24const_host_device_scalarIT1_EES4_PKS4_PKT2_SD_SA_PKT4_PKT5_S8_PT6_21rocsparse_index_base_b,@function
_ZN9rocsparseL18bsrxmvn_4x4_kernelILj128ELj32E21rocsparse_complex_numIdEllS1_IfES2_S2_EEvT3_20rocsparse_direction_NS_24const_host_device_scalarIT1_EES4_PKS4_PKT2_SD_SA_PKT4_PKT5_S8_PT6_21rocsparse_index_base_b: ; @_ZN9rocsparseL18bsrxmvn_4x4_kernelILj128ELj32E21rocsparse_complex_numIdEllS1_IfES2_S2_EEvT3_20rocsparse_direction_NS_24const_host_device_scalarIT1_EES4_PKS4_PKT2_SD_SA_PKT4_PKT5_S8_PT6_21rocsparse_index_base_b
; %bb.0:
	s_load_b64 s[12:13], s[2:3], 0x70
	s_load_b64 s[16:17], s[0:1], 0x4
	s_load_b128 s[8:11], s[2:3], 0x10
	v_bfe_u32 v1, v0, 10, 10
	s_mov_b64 s[0:1], src_shared_base
	s_load_b128 s[4:7], s[2:3], 0x58
	v_and_b32_e32 v2, 0x3ff, v0
	v_bfe_u32 v0, v0, 20, 10
	s_waitcnt lgkmcnt(0)
	s_bitcmp1_b32 s13, 0
	v_mul_u32_u24_e32 v1, s17, v1
	v_mov_b32_e32 v3, s8
	s_cselect_b32 s0, -1, 0
	v_mov_b32_e32 v23, s11
	s_and_b32 vcc_lo, s0, exec_lo
	s_cselect_b32 s13, s1, s9
	s_lshr_b32 s14, s16, 16
	v_dual_mov_b32 v6, s5 :: v_dual_mov_b32 v5, s4
	s_mul_i32 s14, s14, s17
	v_mov_b32_e32 v8, s13
	v_mad_u32_u24 v1, s14, v2, v1
	v_mov_b32_e32 v22, s10
	s_xor_b32 s10, s0, -1
	v_mov_b32_e32 v4, s9
	s_delay_alu instid0(VALU_DEP_3) | instskip(NEXT) | instid1(VALU_DEP_1)
	v_add_lshl_u32 v0, v1, v0, 3
	v_add_nc_u32_e32 v1, 0x400, v0
	ds_store_2addr_stride64_b64 v0, v[5:6], v[3:4] offset1:2
	v_cndmask_b32_e64 v7, s8, v1, s0
	flat_load_b64 v[20:21], v[7:8]
	s_cbranch_vccnz .LBB178_2
; %bb.1:
	v_dual_mov_b32 v3, s8 :: v_dual_mov_b32 v4, s9
	flat_load_b64 v[22:23], v[3:4] offset:8
.LBB178_2:
	s_and_b32 s8, s0, exec_lo
	s_cselect_b32 s1, s1, s5
	v_cndmask_b32_e64 v0, s4, v0, s0
	v_mov_b32_e32 v1, s1
	v_dual_mov_b32 v19, s7 :: v_dual_mov_b32 v18, s6
	s_and_not1_b32 vcc_lo, exec_lo, s10
	flat_load_b64 v[16:17], v[0:1]
	s_cbranch_vccnz .LBB178_4
; %bb.3:
	v_dual_mov_b32 v0, s4 :: v_dual_mov_b32 v1, s5
	flat_load_b64 v[18:19], v[0:1] offset:8
.LBB178_4:
	s_waitcnt vmcnt(1) lgkmcnt(1)
	v_cmp_eq_f64_e32 vcc_lo, 0, v[20:21]
	v_cmp_eq_f64_e64 s0, 0, v[22:23]
	s_delay_alu instid0(VALU_DEP_1)
	s_and_b32 s4, vcc_lo, s0
	s_mov_b32 s0, -1
	s_and_saveexec_b32 s1, s4
	s_cbranch_execz .LBB178_6
; %bb.5:
	s_waitcnt vmcnt(0) lgkmcnt(0)
	v_cmp_neq_f64_e32 vcc_lo, 1.0, v[16:17]
	v_cmp_neq_f64_e64 s0, 0, v[18:19]
	s_delay_alu instid0(VALU_DEP_1) | instskip(NEXT) | instid1(SALU_CYCLE_1)
	s_or_b32 s0, vcc_lo, s0
	s_or_not1_b32 s0, s0, exec_lo
.LBB178_6:
	s_or_b32 exec_lo, exec_lo, s1
	s_and_saveexec_b32 s1, s0
	s_cbranch_execz .LBB178_12
; %bb.7:
	s_load_b64 s[0:1], s[2:3], 0x28
	v_lshrrev_b32_e32 v0, 5, v2
	v_mov_b32_e32 v1, 0
	s_mov_b32 s4, 0
	s_delay_alu instid0(VALU_DEP_2)
	v_lshl_or_b32 v0, s15, 2, v0
	s_waitcnt lgkmcnt(0)
	s_cmp_lg_u64 s[0:1], 0
	s_cbranch_scc0 .LBB178_13
; %bb.8:
	s_load_b64 s[4:5], s[2:3], 0x20
                                        ; implicit-def: $vgpr24_vgpr25
	s_waitcnt lgkmcnt(0)
	v_cmp_gt_i64_e32 vcc_lo, s[4:5], v[0:1]
	s_mov_b32 s5, 0
	s_mov_b32 s4, 0
	s_and_saveexec_b32 s6, vcc_lo
	s_delay_alu instid0(SALU_CYCLE_1)
	s_xor_b32 s6, exec_lo, s6
                                        ; implicit-def: $sgpr14_sgpr15
	s_cbranch_execz .LBB178_10
; %bb.9:
	v_lshlrev_b64 v[3:4], 3, v[0:1]
	s_mov_b32 s4, exec_lo
	s_mov_b32 s15, 0
	s_delay_alu instid0(VALU_DEP_1) | instskip(NEXT) | instid1(VALU_DEP_2)
	v_add_co_u32 v3, vcc_lo, s0, v3
	v_add_co_ci_u32_e32 v4, vcc_lo, s1, v4, vcc_lo
	global_load_b64 v[3:4], v[3:4], off
	s_waitcnt vmcnt(0)
	v_sub_co_u32 v24, vcc_lo, v3, s12
	v_subrev_co_ci_u32_e32 v25, vcc_lo, 0, v4, vcc_lo
.LBB178_10:
	s_or_b32 exec_lo, exec_lo, s6
	s_delay_alu instid0(SALU_CYCLE_1)
	s_and_b32 vcc_lo, exec_lo, s5
	s_cbranch_vccnz .LBB178_14
.LBB178_11:
	s_and_b32 exec_lo, exec_lo, s4
	s_cbranch_execnz .LBB178_17
.LBB178_12:
	s_nop 0
	s_sendmsg sendmsg(MSG_DEALLOC_VGPRS)
	s_endpgm
.LBB178_13:
                                        ; implicit-def: $vgpr24_vgpr25
                                        ; implicit-def: $sgpr14_sgpr15
	s_cbranch_execz .LBB178_11
.LBB178_14:
	s_load_b64 s[0:1], s[2:3], 0x0
                                        ; implicit-def: $vgpr24_vgpr25
	s_waitcnt lgkmcnt(0)
	v_cmp_gt_i64_e32 vcc_lo, s[0:1], v[0:1]
	s_and_saveexec_b32 s0, vcc_lo
                                        ; implicit-def: $sgpr14_sgpr15
; %bb.15:
	v_dual_mov_b32 v25, v1 :: v_dual_mov_b32 v24, v0
	s_mov_b32 s15, 0
	s_or_b32 s4, s4, exec_lo
; %bb.16:
	s_or_b32 exec_lo, exec_lo, s0
	s_delay_alu instid0(SALU_CYCLE_1)
	s_and_b32 exec_lo, exec_lo, s4
	s_cbranch_execz .LBB178_12
.LBB178_17:
	s_load_b256 s[4:11], s[2:3], 0x30
	v_lshlrev_b64 v[0:1], 3, v[24:25]
	v_and_b32_e32 v58, 31, v2
	s_load_b32 s1, s[2:3], 0x8
	s_waitcnt lgkmcnt(0)
	s_delay_alu instid0(VALU_DEP_2) | instskip(NEXT) | instid1(VALU_DEP_3)
	v_add_co_u32 v3, vcc_lo, s4, v0
	v_add_co_ci_u32_e32 v4, vcc_lo, s5, v1, vcc_lo
	v_add_co_u32 v0, vcc_lo, s6, v0
	v_add_co_ci_u32_e32 v1, vcc_lo, s7, v1, vcc_lo
	s_delay_alu instid0(VALU_DEP_4) | instskip(NEXT) | instid1(VALU_DEP_4)
	v_add_co_u32 v5, vcc_lo, v3, 8
	v_add_co_ci_u32_e32 v6, vcc_lo, 0, v4, vcc_lo
	global_load_b64 v[48:49], v[3:4], off
	s_cmp_eq_u64 s[6:7], 0
	s_load_b64 s[4:5], s[2:3], 0x50
	s_cselect_b32 vcc_lo, -1, 0
	s_cmp_eq_u32 s1, 1
	v_dual_cndmask_b32 v1, v1, v6 :: v_dual_cndmask_b32 v0, v0, v5
	global_load_b64 v[0:1], v[0:1], off
	s_waitcnt vmcnt(1)
	v_sub_co_u32 v2, vcc_lo, v48, s12
	v_subrev_co_ci_u32_e32 v3, vcc_lo, s15, v49, vcc_lo
	s_delay_alu instid0(VALU_DEP_2) | instskip(NEXT) | instid1(VALU_DEP_2)
	v_add_co_u32 v26, vcc_lo, v2, v58
	v_add_co_ci_u32_e32 v27, vcc_lo, 0, v3, vcc_lo
	s_waitcnt vmcnt(0)
	v_sub_co_u32 v28, vcc_lo, v0, s12
	v_subrev_co_ci_u32_e32 v29, vcc_lo, s15, v1, vcc_lo
	s_delay_alu instid0(VALU_DEP_3) | instskip(NEXT) | instid1(VALU_DEP_2)
	v_lshlrev_b64 v[0:1], 7, v[26:27]
	v_cmp_lt_i64_e64 s0, v[26:27], v[28:29]
	s_delay_alu instid0(VALU_DEP_2) | instskip(NEXT) | instid1(VALU_DEP_3)
	v_add_co_u32 v30, vcc_lo, s10, v0
	v_add_co_ci_u32_e32 v31, vcc_lo, s11, v1, vcc_lo
	s_cbranch_scc1 .LBB178_29
; %bb.18:
	v_mov_b32_e32 v32, 0
	v_mov_b32_e32 v33, 0
	s_delay_alu instid0(VALU_DEP_1)
	v_dual_mov_b32 v39, v33 :: v_dual_mov_b32 v38, v32
	v_dual_mov_b32 v37, v33 :: v_dual_mov_b32 v36, v32
	;; [unrolled: 1-line block ×7, first 2 shown]
	s_and_saveexec_b32 s6, s0
	s_cbranch_execz .LBB178_28
; %bb.19:
	v_or_b32_e32 v0, 32, v58
	v_not_b32_e32 v3, v48
	v_not_b32_e32 v2, v49
	v_dual_mov_b32 v34, 0 :: v_dual_mov_b32 v51, v31
	s_delay_alu instid0(VALU_DEP_4) | instskip(NEXT) | instid1(VALU_DEP_1)
	v_sub_co_u32 v0, s1, v0, s12
	v_sub_co_ci_u32_e64 v1, null, 0, s15, s1
	v_sub_co_u32 v4, s1, s12, v58
	s_delay_alu instid0(VALU_DEP_3) | instskip(NEXT) | instid1(VALU_DEP_3)
	v_add_co_u32 v0, vcc_lo, v0, v48
	v_add_co_ci_u32_e32 v1, vcc_lo, v1, v49, vcc_lo
	v_sub_co_ci_u32_e64 v5, null, s15, 0, s1
	s_mov_b32 s10, 0
	s_delay_alu instid0(VALU_DEP_2)
	v_cmp_gt_i64_e32 vcc_lo, v[0:1], v[28:29]
	s_mov_b32 s7, exec_lo
	v_dual_mov_b32 v53, v27 :: v_dual_mov_b32 v52, v26
	v_dual_cndmask_b32 v1, v29, v1 :: v_dual_cndmask_b32 v0, v28, v0
	v_add_co_u32 v3, vcc_lo, v4, v3
	v_add_co_ci_u32_e32 v2, vcc_lo, v5, v2, vcc_lo
	s_delay_alu instid0(VALU_DEP_2) | instskip(NEXT) | instid1(VALU_DEP_2)
	v_add_co_u32 v0, vcc_lo, v3, v0
	v_add_co_ci_u32_e32 v1, vcc_lo, v2, v1, vcc_lo
	s_delay_alu instid0(VALU_DEP_2) | instskip(NEXT) | instid1(VALU_DEP_1)
	v_lshrrev_b32_e32 v2, 5, v0
	v_dual_mov_b32 v35, 0 :: v_dual_add_nc_u32 v2, 1, v2
	s_delay_alu instid0(VALU_DEP_1)
	v_dual_mov_b32 v50, v30 :: v_dual_mov_b32 v41, v35
	v_dual_mov_b32 v40, v34 :: v_dual_mov_b32 v47, v35
	;; [unrolled: 1-line block ×5, first 2 shown]
	v_dual_mov_b32 v37, v35 :: v_dual_and_b32 v2, 3, v2
	v_mov_b32_e32 v38, v34
	v_mov_b32_e32 v32, v34
	v_dual_mov_b32 v36, v34 :: v_dual_mov_b32 v33, v35
	s_delay_alu instid0(VALU_DEP_4)
	v_cmpx_ne_u32_e32 0, v2
	s_cbranch_execz .LBB178_23
; %bb.20:
	v_lshlrev_b64 v[4:5], 3, v[26:27]
	v_dual_mov_b32 v3, 0 :: v_dual_mov_b32 v32, 0
	v_dual_mov_b32 v33, 0 :: v_dual_lshlrev_b32 v2, 3, v2
	v_dual_mov_b32 v53, v27 :: v_dual_mov_b32 v52, v26
	s_delay_alu instid0(VALU_DEP_4)
	v_add_co_u32 v4, vcc_lo, s8, v4
	v_add_co_ci_u32_e32 v5, vcc_lo, s9, v5, vcc_lo
	v_dual_mov_b32 v51, v31 :: v_dual_mov_b32 v50, v30
	v_dual_mov_b32 v39, v33 :: v_dual_mov_b32 v38, v32
	;; [unrolled: 1-line block ×8, first 2 shown]
.LBB178_21:                             ; =>This Inner Loop Header: Depth=1
	global_load_b64 v[14:15], v[4:5], off
	s_clause 0x7
	global_load_b128 v[6:9], v[50:51], off
	global_load_b128 v[10:13], v[50:51], off offset:32
	global_load_b128 v[54:57], v[50:51], off offset:64
	;; [unrolled: 1-line block ×7, first 2 shown]
	v_add_co_u32 v4, s1, 0x100, v4
	s_delay_alu instid0(VALU_DEP_1)
	v_add_co_ci_u32_e64 v5, s1, 0, v5, s1
	s_waitcnt vmcnt(8)
	v_sub_co_u32 v14, vcc_lo, v14, s12
	v_subrev_co_ci_u32_e32 v15, vcc_lo, s15, v15, vcc_lo
	s_waitcnt vmcnt(6)
	v_cvt_f64_f32_e32 v[95:96], v10
	v_cvt_f64_f32_e32 v[10:11], v11
	s_waitcnt vmcnt(5)
	v_cvt_f64_f32_e32 v[97:98], v54
	v_lshlrev_b64 v[14:15], 6, v[14:15]
	v_cvt_f64_f32_e32 v[54:55], v55
	s_waitcnt vmcnt(4)
	v_cvt_f64_f32_e32 v[99:100], v59
	v_cvt_f64_f32_e32 v[59:60], v60
	;; [unrolled: 1-line block ×4, first 2 shown]
	s_waitcnt lgkmcnt(0)
	v_add_co_u32 v14, vcc_lo, s4, v14
	v_add_co_ci_u32_e32 v15, vcc_lo, s5, v15, vcc_lo
	v_cvt_f64_f32_e32 v[103:104], v56
	v_cvt_f64_f32_e32 v[56:57], v57
	;; [unrolled: 1-line block ×3, first 2 shown]
	s_clause 0x3
	global_load_b128 v[79:82], v[14:15], off
	global_load_b128 v[83:86], v[14:15], off offset:16
	global_load_b128 v[87:90], v[14:15], off offset:32
	;; [unrolled: 1-line block ×3, first 2 shown]
	v_cvt_f64_f32_e32 v[14:15], v6
	v_cvt_f64_f32_e32 v[6:7], v7
	;; [unrolled: 1-line block ×3, first 2 shown]
	v_add_co_u32 v50, vcc_lo, 0x1000, v50
	v_add_co_ci_u32_e32 v51, vcc_lo, 0, v51, vcc_lo
	v_add_co_u32 v2, vcc_lo, v2, -8
	v_add_co_ci_u32_e32 v3, vcc_lo, -1, v3, vcc_lo
	v_add_co_u32 v52, vcc_lo, v52, 32
	v_add_co_ci_u32_e32 v53, vcc_lo, 0, v53, vcc_lo
	s_delay_alu instid0(VALU_DEP_3)
	v_cmp_eq_u64_e32 vcc_lo, 0, v[2:3]
	s_or_b32 s10, vcc_lo, s10
	s_waitcnt vmcnt(3)
	v_fma_f64 v[38:39], v[14:15], v[79:80], v[38:39]
	v_fma_f64 v[32:33], v[6:7], v[79:80], v[32:33]
	;; [unrolled: 1-line block ×8, first 2 shown]
	v_cvt_f64_f32_e32 v[79:80], v8
	v_cvt_f64_f32_e32 v[8:9], v9
	v_fma_f64 v[6:7], -v[6:7], v[81:82], v[38:39]
	v_fma_f64 v[14:15], v[14:15], v[81:82], v[32:33]
	v_fma_f64 v[10:11], -v[10:11], v[81:82], v[44:45]
	v_fma_f64 v[32:33], v[95:96], v[81:82], v[36:37]
	;; [unrolled: 2-line block ×4, first 2 shown]
	v_cvt_f64_f32_e32 v[42:43], v67
	v_cvt_f64_f32_e32 v[44:45], v68
	;; [unrolled: 1-line block ×10, first 2 shown]
	s_waitcnt vmcnt(2)
	v_fma_f64 v[6:7], v[79:80], v[83:84], v[6:7]
	v_fma_f64 v[14:15], v[8:9], v[83:84], v[14:15]
	;; [unrolled: 1-line block ×8, first 2 shown]
	v_fma_f64 v[6:7], -v[8:9], v[85:86], v[6:7]
	v_fma_f64 v[8:9], v[79:80], v[85:86], v[14:15]
	v_fma_f64 v[10:11], -v[12:13], v[85:86], v[10:11]
	v_fma_f64 v[12:13], v[101:102], v[85:86], v[32:33]
	;; [unrolled: 2-line block ×4, first 2 shown]
	v_cvt_f64_f32_e32 v[40:41], v69
	v_cvt_f64_f32_e32 v[38:39], v70
	;; [unrolled: 1-line block ×6, first 2 shown]
	s_waitcnt vmcnt(1)
	v_fma_f64 v[6:7], v[42:43], v[87:88], v[6:7]
	v_fma_f64 v[8:9], v[44:45], v[87:88], v[8:9]
	;; [unrolled: 1-line block ×8, first 2 shown]
	v_fma_f64 v[6:7], -v[44:45], v[89:90], v[6:7]
	v_fma_f64 v[8:9], v[42:43], v[89:90], v[8:9]
	v_fma_f64 v[10:11], -v[54:55], v[89:90], v[10:11]
	v_fma_f64 v[12:13], v[46:47], v[89:90], v[12:13]
	;; [unrolled: 2-line block ×4, first 2 shown]
	s_waitcnt vmcnt(0)
	v_fma_f64 v[6:7], v[40:41], v[91:92], v[6:7]
	v_fma_f64 v[8:9], v[38:39], v[91:92], v[8:9]
	;; [unrolled: 1-line block ×8, first 2 shown]
	v_fma_f64 v[38:39], -v[38:39], v[93:94], v[6:7]
	v_fma_f64 v[32:33], v[40:41], v[93:94], v[8:9]
	v_fma_f64 v[44:45], -v[61:62], v[93:94], v[10:11]
	v_fma_f64 v[36:37], v[56:57], v[93:94], v[12:13]
	;; [unrolled: 2-line block ×4, first 2 shown]
	s_and_not1_b32 exec_lo, exec_lo, s10
	s_cbranch_execnz .LBB178_21
; %bb.22:
	s_or_b32 exec_lo, exec_lo, s10
.LBB178_23:
	s_delay_alu instid0(SALU_CYCLE_1) | instskip(NEXT) | instid1(SALU_CYCLE_1)
	s_or_b32 exec_lo, exec_lo, s7
	s_mov_b32 s7, exec_lo
	v_cmpx_lt_u64_e32 0x5f, v[0:1]
	s_cbranch_execz .LBB178_27
; %bb.24:
	v_lshlrev_b64 v[0:1], 3, v[52:53]
	s_mov_b32 s10, 0
	s_delay_alu instid0(VALU_DEP_1) | instskip(NEXT) | instid1(VALU_DEP_2)
	v_add_co_u32 v0, vcc_lo, v0, s8
	v_add_co_ci_u32_e32 v1, vcc_lo, s9, v1, vcc_lo
	s_delay_alu instid0(VALU_DEP_2) | instskip(NEXT) | instid1(VALU_DEP_2)
	v_add_co_u32 v54, vcc_lo, 0x200, v0
	v_add_co_ci_u32_e32 v55, vcc_lo, 0, v1, vcc_lo
.LBB178_25:                             ; =>This Inner Loop Header: Depth=1
	global_load_b64 v[56:57], v[54:55], off offset:-512
	s_clause 0x3
	global_load_b128 v[4:7], v[50:51], off
	global_load_b128 v[0:3], v[50:51], off offset:32
	global_load_b128 v[12:15], v[50:51], off offset:64
	;; [unrolled: 1-line block ×3, first 2 shown]
	s_clause 0x2
	global_load_b64 v[107:108], v[54:55], off offset:-256
	global_load_b64 v[111:112], v[54:55], off
	global_load_b64 v[113:114], v[54:55], off offset:256
	s_waitcnt vmcnt(7)
	v_sub_co_u32 v56, vcc_lo, v56, s12
	v_subrev_co_ci_u32_e32 v57, vcc_lo, s15, v57, vcc_lo
	s_waitcnt vmcnt(6)
	v_cvt_f64_f32_e32 v[117:118], v4
	v_cvt_f64_f32_e32 v[4:5], v5
	s_waitcnt vmcnt(5)
	v_cvt_f64_f32_e32 v[119:120], v0
	v_lshlrev_b64 v[56:57], 6, v[56:57]
	v_cvt_f64_f32_e32 v[0:1], v1
	s_waitcnt vmcnt(4)
	v_cvt_f64_f32_e32 v[121:122], v12
	v_cvt_f64_f32_e32 v[12:13], v13
	s_waitcnt vmcnt(3)
	v_cvt_f64_f32_e32 v[123:124], v8
	v_cvt_f64_f32_e32 v[8:9], v9
	s_waitcnt lgkmcnt(0)
	v_add_co_u32 v56, vcc_lo, s4, v56
	v_add_co_ci_u32_e32 v57, vcc_lo, s5, v57, vcc_lo
	v_cvt_f64_f32_e32 v[127:128], v7
	v_cvt_f64_f32_e32 v[129:130], v2
	;; [unrolled: 1-line block ×3, first 2 shown]
	s_clause 0x1
	global_load_b128 v[59:62], v[56:57], off
	global_load_b128 v[63:66], v[56:57], off offset:16
	s_clause 0x3
	global_load_b128 v[67:70], v[50:51], off offset:16
	global_load_b128 v[71:74], v[50:51], off offset:48
	;; [unrolled: 1-line block ×4, first 2 shown]
	s_clause 0x1
	global_load_b128 v[83:86], v[56:57], off offset:32
	global_load_b128 v[87:90], v[56:57], off offset:48
	v_add_co_u32 v56, vcc_lo, v50, 0x2000
	v_add_co_ci_u32_e32 v57, vcc_lo, 0, v51, vcc_lo
	v_add_co_u32 v115, vcc_lo, 0x1000, v50
	v_add_co_ci_u32_e32 v116, vcc_lo, 0, v51, vcc_lo
	s_clause 0x3
	global_load_b128 v[91:94], v[56:57], off offset:-4096
	global_load_b128 v[95:98], v[115:116], off offset:32
	global_load_b128 v[99:102], v[115:116], off offset:64
	;; [unrolled: 1-line block ×3, first 2 shown]
	s_waitcnt vmcnt(14)
	v_sub_co_u32 v107, vcc_lo, v107, s12
	v_subrev_co_ci_u32_e32 v108, vcc_lo, s15, v108, vcc_lo
	v_cvt_f64_f32_e32 v[133:134], v14
	v_cvt_f64_f32_e32 v[135:136], v15
	;; [unrolled: 1-line block ×3, first 2 shown]
	s_delay_alu instid0(VALU_DEP_4) | instskip(SKIP_1) | instid1(VALU_DEP_2)
	v_lshlrev_b64 v[107:108], 6, v[107:108]
	v_cvt_f64_f32_e32 v[139:140], v11
	v_add_co_u32 v125, vcc_lo, s4, v107
	s_delay_alu instid0(VALU_DEP_3)
	v_add_co_ci_u32_e32 v126, vcc_lo, s5, v108, vcc_lo
	global_load_b128 v[107:110], v[125:126], off
	s_waitcnt vmcnt(12)
	v_fma_f64 v[38:39], v[117:118], v[59:60], v[38:39]
	v_fma_f64 v[32:33], v[4:5], v[59:60], v[32:33]
	;; [unrolled: 1-line block ×8, first 2 shown]
	v_cvt_f64_f32_e32 v[59:60], v6
	v_fma_f64 v[4:5], -v[4:5], v[61:62], v[38:39]
	v_fma_f64 v[6:7], v[117:118], v[61:62], v[32:33]
	v_fma_f64 v[10:11], -v[0:1], v[61:62], v[44:45]
	global_load_b128 v[0:3], v[125:126], off offset:16
	v_fma_f64 v[14:15], v[119:120], v[61:62], v[36:37]
	v_fma_f64 v[12:13], -v[12:13], v[61:62], v[46:47]
	v_fma_f64 v[32:33], v[121:122], v[61:62], v[42:43]
	v_fma_f64 v[8:9], -v[8:9], v[61:62], v[34:35]
	v_fma_f64 v[34:35], v[123:124], v[61:62], v[40:41]
	s_waitcnt vmcnt(10)
	v_cvt_f64_f32_e32 v[117:118], v71
	v_cvt_f64_f32_e32 v[71:72], v72
	s_waitcnt vmcnt(9)
	v_cvt_f64_f32_e32 v[119:120], v75
	v_cvt_f64_f32_e32 v[75:76], v76
	;; [unrolled: 3-line block ×3, first 2 shown]
	v_fma_f64 v[36:37], v[59:60], v[63:64], v[4:5]
	v_fma_f64 v[38:39], v[127:128], v[63:64], v[6:7]
	;; [unrolled: 1-line block ×8, first 2 shown]
	s_clause 0x3
	global_load_b128 v[4:7], v[115:116], off offset:16
	global_load_b128 v[8:11], v[115:116], off offset:48
	;; [unrolled: 1-line block ×4, first 2 shown]
	v_cvt_f64_f32_e32 v[115:116], v67
	v_cvt_f64_f32_e32 v[67:68], v68
	v_fma_f64 v[123:124], -v[127:128], v[65:66], v[36:37]
	v_fma_f64 v[59:60], v[59:60], v[65:66], v[38:39]
	v_fma_f64 v[40:41], -v[131:132], v[65:66], v[40:41]
	global_load_b128 v[36:39], v[125:126], off offset:32
	v_fma_f64 v[42:43], v[129:130], v[65:66], v[42:43]
	v_fma_f64 v[44:45], -v[135:136], v[65:66], v[44:45]
	v_fma_f64 v[46:47], v[133:134], v[65:66], v[46:47]
	v_fma_f64 v[61:62], -v[139:140], v[65:66], v[61:62]
	v_fma_f64 v[63:64], v[137:138], v[65:66], v[63:64]
	v_cvt_f64_f32_e32 v[127:128], v73
	v_cvt_f64_f32_e32 v[73:74], v74
	;; [unrolled: 1-line block ×6, first 2 shown]
	s_waitcnt vmcnt(9)
	v_cvt_f64_f32_e32 v[133:134], v95
	v_cvt_f64_f32_e32 v[95:96], v96
	s_waitcnt vmcnt(8)
	v_cvt_f64_f32_e32 v[135:136], v99
	v_cvt_f64_f32_e32 v[99:100], v100
	;; [unrolled: 3-line block ×3, first 2 shown]
	v_fma_f64 v[65:66], v[115:116], v[83:84], v[123:124]
	v_fma_f64 v[59:60], v[67:68], v[83:84], v[59:60]
	;; [unrolled: 1-line block ×3, first 2 shown]
	v_cvt_f64_f32_e32 v[123:124], v70
	v_fma_f64 v[42:43], v[71:72], v[83:84], v[42:43]
	v_fma_f64 v[44:45], v[119:120], v[83:84], v[44:45]
	;; [unrolled: 1-line block ×5, first 2 shown]
	v_cvt_f64_f32_e32 v[83:84], v69
	v_fma_f64 v[65:66], -v[67:68], v[85:86], v[65:66]
	v_fma_f64 v[59:60], v[115:116], v[85:86], v[59:60]
	v_fma_f64 v[67:68], -v[71:72], v[85:86], v[40:41]
	v_add_co_u32 v115, vcc_lo, 0x2000, v50
	v_fma_f64 v[69:70], v[117:118], v[85:86], v[42:43]
	global_load_b128 v[40:43], v[125:126], off offset:48
	v_fma_f64 v[44:45], -v[75:76], v[85:86], v[44:45]
	v_fma_f64 v[46:47], v[119:120], v[85:86], v[46:47]
	v_fma_f64 v[61:62], -v[79:80], v[85:86], v[61:62]
	v_fma_f64 v[63:64], v[121:122], v[85:86], v[63:64]
	v_add_co_ci_u32_e32 v116, vcc_lo, 0, v51, vcc_lo
	v_cvt_f64_f32_e32 v[125:126], v91
	v_cvt_f64_f32_e32 v[91:92], v92
	v_fma_f64 v[71:72], v[83:84], v[87:88], v[65:66]
	v_fma_f64 v[75:76], v[123:124], v[87:88], v[59:60]
	;; [unrolled: 1-line block ×8, first 2 shown]
	s_clause 0x3
	global_load_b128 v[44:47], v[56:57], off
	global_load_b128 v[59:62], v[115:116], off offset:32
	global_load_b128 v[63:66], v[115:116], off offset:64
	;; [unrolled: 1-line block ×3, first 2 shown]
	v_sub_co_u32 v56, vcc_lo, v111, s12
	v_subrev_co_ci_u32_e32 v57, vcc_lo, s15, v112, vcc_lo
	v_cvt_f64_f32_e32 v[111:112], v94
	s_delay_alu instid0(VALU_DEP_2) | instskip(NEXT) | instid1(VALU_DEP_1)
	v_lshlrev_b64 v[56:57], 6, v[56:57]
	v_add_co_u32 v56, vcc_lo, s4, v56
	s_delay_alu instid0(VALU_DEP_2)
	v_add_co_ci_u32_e32 v57, vcc_lo, s5, v57, vcc_lo
	v_fma_f64 v[123:124], -v[123:124], v[89:90], v[71:72]
	v_fma_f64 v[75:76], v[83:84], v[89:90], v[75:76]
	v_fma_f64 v[79:80], -v[73:74], v[89:90], v[79:80]
	global_load_b128 v[71:74], v[56:57], off
	v_fma_f64 v[83:84], v[127:128], v[89:90], v[85:86]
	v_fma_f64 v[77:78], -v[77:78], v[89:90], v[117:118]
	v_fma_f64 v[85:86], v[129:130], v[89:90], v[119:120]
	v_fma_f64 v[81:82], -v[81:82], v[89:90], v[121:122]
	v_fma_f64 v[87:88], v[131:132], v[89:90], v[87:88]
	v_cvt_f64_f32_e32 v[117:118], v97
	v_cvt_f64_f32_e32 v[97:98], v98
	;; [unrolled: 1-line block ×6, first 2 shown]
	s_waitcnt vmcnt(12)
	v_fma_f64 v[89:90], v[125:126], v[107:108], v[123:124]
	v_fma_f64 v[75:76], v[91:92], v[107:108], v[75:76]
	;; [unrolled: 1-line block ×8, first 2 shown]
	v_cvt_f64_f32_e32 v[107:108], v93
	v_fma_f64 v[89:90], -v[91:92], v[109:110], v[89:90]
	v_fma_f64 v[91:92], v[125:126], v[109:110], v[75:76]
	v_fma_f64 v[79:80], -v[95:96], v[109:110], v[79:80]
	v_fma_f64 v[83:84], v[133:134], v[109:110], v[83:84]
	v_fma_f64 v[93:94], -v[99:100], v[109:110], v[77:78]
	global_load_b128 v[75:78], v[56:57], off offset:16
	v_fma_f64 v[85:86], v[135:136], v[109:110], v[85:86]
	v_fma_f64 v[81:82], -v[103:104], v[109:110], v[81:82]
	v_fma_f64 v[87:88], v[137:138], v[109:110], v[87:88]
	s_waitcnt vmcnt(12)
	v_fma_f64 v[95:96], v[107:108], v[0:1], v[89:90]
	v_fma_f64 v[99:100], v[111:112], v[0:1], v[91:92]
	;; [unrolled: 1-line block ×8, first 2 shown]
	s_clause 0x3
	global_load_b128 v[79:82], v[115:116], off offset:16
	global_load_b128 v[83:86], v[115:116], off offset:48
	;; [unrolled: 1-line block ×4, first 2 shown]
	s_waitcnt vmcnt(15)
	v_cvt_f64_f32_e32 v[115:116], v4
	v_cvt_f64_f32_e32 v[4:5], v5
	s_waitcnt vmcnt(14)
	v_cvt_f64_f32_e32 v[129:130], v8
	v_cvt_f64_f32_e32 v[8:9], v9
	;; [unrolled: 3-line block ×4, first 2 shown]
	v_fma_f64 v[95:96], -v[111:112], v[2:3], v[95:96]
	v_fma_f64 v[99:100], v[107:108], v[2:3], v[99:100]
	v_fma_f64 v[97:98], -v[97:98], v[2:3], v[103:104]
	v_cvt_f64_f32_e32 v[111:112], v7
	v_fma_f64 v[103:104], v[117:118], v[2:3], v[109:110]
	v_cvt_f64_f32_e32 v[117:118], v10
	v_fma_f64 v[101:102], -v[101:102], v[2:3], v[123:124]
	v_cvt_f64_f32_e32 v[123:124], v15
	v_fma_f64 v[107:108], v[119:120], v[2:3], v[125:126]
	v_fma_f64 v[105:106], -v[105:106], v[2:3], v[127:128]
	v_fma_f64 v[109:110], v[121:122], v[2:3], v[0:1]
	global_load_b128 v[0:3], v[56:57], off offset:32
	v_cvt_f64_f32_e32 v[119:120], v11
	v_cvt_f64_f32_e32 v[121:122], v14
	;; [unrolled: 1-line block ×4, first 2 shown]
	s_waitcnt vmcnt(12)
	v_fma_f64 v[95:96], v[115:116], v[36:37], v[95:96]
	v_fma_f64 v[99:100], v[4:5], v[36:37], v[99:100]
	;; [unrolled: 1-line block ×8, first 2 shown]
	v_cvt_f64_f32_e32 v[109:110], v6
	v_fma_f64 v[10:11], -v[4:5], v[38:39], v[95:96]
	global_load_b128 v[4:7], v[56:57], off offset:48
	v_fma_f64 v[14:15], v[115:116], v[38:39], v[99:100]
	v_fma_f64 v[8:9], -v[8:9], v[38:39], v[97:98]
	v_add_co_u32 v56, vcc_lo, 0x3000, v50
	v_fma_f64 v[34:35], v[129:130], v[38:39], v[103:104]
	v_fma_f64 v[12:13], -v[12:13], v[38:39], v[101:102]
	v_add_co_ci_u32_e32 v57, vcc_lo, 0, v51, vcc_lo
	v_fma_f64 v[95:96], v[131:132], v[38:39], v[107:108]
	v_fma_f64 v[32:33], -v[32:33], v[38:39], v[105:106]
	v_fma_f64 v[36:37], v[133:134], v[38:39], v[36:37]
	v_sub_co_u32 v113, vcc_lo, v113, s12
	v_subrev_co_ci_u32_e32 v114, vcc_lo, s15, v114, vcc_lo
	v_add_co_u32 v50, s1, 0x4000, v50
	s_delay_alu instid0(VALU_DEP_1)
	v_add_co_ci_u32_e64 v51, s1, 0, v51, s1
	s_waitcnt vmcnt(12)
	v_fma_f64 v[97:98], v[109:110], v[40:41], v[10:11]
	v_fma_f64 v[99:100], v[111:112], v[40:41], v[14:15]
	;; [unrolled: 1-line block ×8, first 2 shown]
	s_clause 0x3
	global_load_b128 v[8:11], v[56:57], off
	global_load_b128 v[12:15], v[56:57], off offset:32
	global_load_b128 v[32:35], v[56:57], off offset:64
	;; [unrolled: 1-line block ×3, first 2 shown]
	s_waitcnt vmcnt(15)
	v_cvt_f64_f32_e32 v[115:116], v44
	v_cvt_f64_f32_e32 v[44:45], v45
	s_waitcnt vmcnt(14)
	v_cvt_f64_f32_e32 v[129:130], v59
	v_cvt_f64_f32_e32 v[59:60], v60
	;; [unrolled: 3-line block ×4, first 2 shown]
	v_fma_f64 v[97:98], -v[111:112], v[42:43], v[97:98]
	v_fma_f64 v[99:100], v[109:110], v[42:43], v[99:100]
	v_fma_f64 v[101:102], -v[119:120], v[42:43], v[101:102]
	v_cvt_f64_f32_e32 v[119:120], v62
	v_fma_f64 v[103:104], v[117:118], v[42:43], v[103:104]
	v_fma_f64 v[105:106], -v[123:124], v[42:43], v[105:106]
	v_cvt_f64_f32_e32 v[117:118], v61
	v_cvt_f64_f32_e32 v[123:124], v66
	v_fma_f64 v[95:96], v[121:122], v[42:43], v[95:96]
	v_fma_f64 v[107:108], -v[127:128], v[42:43], v[107:108]
	v_fma_f64 v[109:110], v[125:126], v[42:43], v[40:41]
	v_lshlrev_b64 v[40:41], 6, v[113:114]
	v_cvt_f64_f32_e32 v[113:114], v47
	v_cvt_f64_f32_e32 v[121:122], v65
	;; [unrolled: 1-line block ×4, first 2 shown]
	v_add_co_u32 v111, vcc_lo, s4, v40
	v_add_co_ci_u32_e32 v112, vcc_lo, s5, v41, vcc_lo
	v_add_co_u32 v52, vcc_lo, 0x80, v52
	v_add_co_ci_u32_e32 v53, vcc_lo, 0, v53, vcc_lo
	global_load_b128 v[40:43], v[111:112], off
	v_add_co_u32 v54, vcc_lo, 0x400, v54
	v_add_co_ci_u32_e32 v55, vcc_lo, 0, v55, vcc_lo
	v_cmp_ge_i64_e32 vcc_lo, v[52:53], v[28:29]
	s_or_b32 s10, vcc_lo, s10
	s_waitcnt vmcnt(12)
	v_fma_f64 v[97:98], v[115:116], v[71:72], v[97:98]
	v_fma_f64 v[99:100], v[44:45], v[71:72], v[99:100]
	;; [unrolled: 1-line block ×8, first 2 shown]
	v_cvt_f64_f32_e32 v[109:110], v46
	v_fma_f64 v[61:62], -v[44:45], v[73:74], v[97:98]
	global_load_b128 v[44:47], v[111:112], off offset:16
	v_fma_f64 v[65:66], v[115:116], v[73:74], v[99:100]
	v_fma_f64 v[59:60], -v[59:60], v[73:74], v[101:102]
	v_fma_f64 v[69:70], v[129:130], v[73:74], v[103:104]
	v_fma_f64 v[63:64], -v[63:64], v[73:74], v[105:106]
	;; [unrolled: 2-line block ×3, first 2 shown]
	v_fma_f64 v[71:72], v[133:134], v[73:74], v[71:72]
	s_waitcnt vmcnt(12)
	v_fma_f64 v[97:98], v[109:110], v[75:76], v[61:62]
	v_fma_f64 v[99:100], v[113:114], v[75:76], v[65:66]
	;; [unrolled: 1-line block ×8, first 2 shown]
	s_clause 0x3
	global_load_b128 v[59:62], v[56:57], off offset:16
	global_load_b128 v[63:66], v[56:57], off offset:48
	;; [unrolled: 1-line block ×4, first 2 shown]
	s_waitcnt vmcnt(15)
	v_cvt_f64_f32_e32 v[56:57], v79
	v_cvt_f64_f32_e32 v[79:80], v80
	s_waitcnt vmcnt(14)
	v_cvt_f64_f32_e32 v[115:116], v83
	v_cvt_f64_f32_e32 v[83:84], v84
	;; [unrolled: 3-line block ×4, first 2 shown]
	v_fma_f64 v[97:98], -v[113:114], v[77:78], v[97:98]
	v_cvt_f64_f32_e32 v[113:114], v85
	v_fma_f64 v[99:100], v[109:110], v[77:78], v[99:100]
	v_fma_f64 v[101:102], -v[119:120], v[77:78], v[101:102]
	v_cvt_f64_f32_e32 v[85:86], v86
	v_fma_f64 v[103:104], v[117:118], v[77:78], v[103:104]
	v_fma_f64 v[105:106], -v[123:124], v[77:78], v[105:106]
	v_cvt_f64_f32_e32 v[117:118], v89
	v_cvt_f64_f32_e32 v[89:90], v90
	v_fma_f64 v[95:96], v[121:122], v[77:78], v[95:96]
	v_fma_f64 v[107:108], -v[127:128], v[77:78], v[107:108]
	v_fma_f64 v[109:110], v[125:126], v[77:78], v[75:76]
	global_load_b128 v[75:78], v[111:112], off offset:32
	v_cvt_f64_f32_e32 v[119:120], v93
	v_cvt_f64_f32_e32 v[93:94], v94
	s_waitcnt vmcnt(12)
	v_fma_f64 v[97:98], v[56:57], v[0:1], v[97:98]
	v_fma_f64 v[99:100], v[79:80], v[0:1], v[99:100]
	;; [unrolled: 1-line block ×8, first 2 shown]
	v_cvt_f64_f32_e32 v[109:110], v81
	v_cvt_f64_f32_e32 v[81:82], v82
	v_fma_f64 v[79:80], -v[79:80], v[2:3], v[97:98]
	v_fma_f64 v[56:57], v[56:57], v[2:3], v[99:100]
	v_fma_f64 v[83:84], -v[83:84], v[2:3], v[101:102]
	v_fma_f64 v[97:98], v[115:116], v[2:3], v[103:104]
	;; [unrolled: 2-line block ×4, first 2 shown]
	global_load_b128 v[0:3], v[111:112], off offset:48
	s_waitcnt vmcnt(12)
	v_fma_f64 v[79:80], v[109:110], v[4:5], v[79:80]
	v_fma_f64 v[56:57], v[81:82], v[4:5], v[56:57]
	;; [unrolled: 1-line block ×8, first 2 shown]
	s_waitcnt vmcnt(11)
	v_cvt_f64_f32_e32 v[99:100], v8
	v_cvt_f64_f32_e32 v[8:9], v9
	s_waitcnt vmcnt(10)
	v_cvt_f64_f32_e32 v[101:102], v12
	v_cvt_f64_f32_e32 v[12:13], v13
	;; [unrolled: 3-line block ×4, first 2 shown]
	v_fma_f64 v[79:80], -v[81:82], v[6:7], v[79:80]
	v_fma_f64 v[56:57], v[109:110], v[6:7], v[56:57]
	v_fma_f64 v[81:82], -v[85:86], v[6:7], v[83:84]
	v_fma_f64 v[83:84], v[113:114], v[6:7], v[97:98]
	;; [unrolled: 2-line block ×4, first 2 shown]
	v_cvt_f64_f32_e32 v[91:92], v34
	v_cvt_f64_f32_e32 v[34:35], v35
	;; [unrolled: 1-line block ×4, first 2 shown]
	s_waitcnt vmcnt(7)
	v_fma_f64 v[6:7], v[99:100], v[40:41], v[79:80]
	v_fma_f64 v[56:57], v[8:9], v[40:41], v[56:57]
	;; [unrolled: 1-line block ×8, first 2 shown]
	v_cvt_f64_f32_e32 v[40:41], v10
	v_cvt_f64_f32_e32 v[10:11], v11
	;; [unrolled: 1-line block ×4, first 2 shown]
	v_fma_f64 v[6:7], -v[8:9], v[42:43], v[6:7]
	v_fma_f64 v[8:9], v[99:100], v[42:43], v[56:57]
	v_fma_f64 v[12:13], -v[12:13], v[42:43], v[79:80]
	v_fma_f64 v[56:57], v[101:102], v[42:43], v[81:82]
	;; [unrolled: 2-line block ×4, first 2 shown]
	s_waitcnt vmcnt(6)
	v_fma_f64 v[6:7], v[40:41], v[44:45], v[6:7]
	v_fma_f64 v[8:9], v[10:11], v[44:45], v[8:9]
	;; [unrolled: 1-line block ×8, first 2 shown]
	s_waitcnt vmcnt(5)
	v_cvt_f64_f32_e32 v[44:45], v59
	v_cvt_f64_f32_e32 v[59:60], v60
	s_waitcnt vmcnt(4)
	v_cvt_f64_f32_e32 v[79:80], v63
	v_cvt_f64_f32_e32 v[63:64], v64
	;; [unrolled: 3-line block ×4, first 2 shown]
	v_fma_f64 v[6:7], -v[10:11], v[46:47], v[6:7]
	v_fma_f64 v[8:9], v[40:41], v[46:47], v[8:9]
	v_fma_f64 v[10:11], -v[14:15], v[46:47], v[12:13]
	v_fma_f64 v[12:13], v[89:90], v[46:47], v[42:43]
	;; [unrolled: 2-line block ×4, first 2 shown]
	v_cvt_f64_f32_e32 v[36:37], v61
	v_cvt_f64_f32_e32 v[38:39], v62
	;; [unrolled: 1-line block ×8, first 2 shown]
	s_waitcnt vmcnt(1)
	v_fma_f64 v[6:7], v[44:45], v[75:76], v[6:7]
	v_fma_f64 v[8:9], v[59:60], v[75:76], v[8:9]
	;; [unrolled: 1-line block ×8, first 2 shown]
	v_fma_f64 v[6:7], -v[59:60], v[77:78], v[6:7]
	v_fma_f64 v[8:9], v[44:45], v[77:78], v[8:9]
	v_fma_f64 v[10:11], -v[63:64], v[77:78], v[10:11]
	v_fma_f64 v[12:13], v[79:80], v[77:78], v[12:13]
	;; [unrolled: 2-line block ×4, first 2 shown]
	s_waitcnt vmcnt(0)
	v_fma_f64 v[6:7], v[36:37], v[0:1], v[6:7]
	v_fma_f64 v[8:9], v[38:39], v[0:1], v[8:9]
	;; [unrolled: 1-line block ×8, first 2 shown]
	v_fma_f64 v[38:39], -v[38:39], v[2:3], v[6:7]
	v_fma_f64 v[32:33], v[36:37], v[2:3], v[8:9]
	v_fma_f64 v[44:45], -v[42:43], v[2:3], v[10:11]
	v_fma_f64 v[36:37], v[40:41], v[2:3], v[12:13]
	;; [unrolled: 2-line block ×4, first 2 shown]
	s_and_not1_b32 exec_lo, exec_lo, s10
	s_cbranch_execnz .LBB178_25
; %bb.26:
	s_or_b32 exec_lo, exec_lo, s10
.LBB178_27:
	s_delay_alu instid0(SALU_CYCLE_1)
	s_or_b32 exec_lo, exec_lo, s7
.LBB178_28:
	s_delay_alu instid0(SALU_CYCLE_1)
	s_or_b32 exec_lo, exec_lo, s6
	s_cbranch_execz .LBB178_30
	s_branch .LBB178_41
.LBB178_29:
                                        ; implicit-def: $vgpr32_vgpr33
                                        ; implicit-def: $vgpr38_vgpr39
                                        ; implicit-def: $vgpr36_vgpr37
                                        ; implicit-def: $vgpr44_vgpr45
                                        ; implicit-def: $vgpr42_vgpr43
                                        ; implicit-def: $vgpr46_vgpr47
                                        ; implicit-def: $vgpr40_vgpr41
                                        ; implicit-def: $vgpr34_vgpr35
.LBB178_30:
	v_mov_b32_e32 v32, 0
	v_mov_b32_e32 v33, 0
	s_delay_alu instid0(VALU_DEP_1)
	v_dual_mov_b32 v39, v33 :: v_dual_mov_b32 v38, v32
	v_dual_mov_b32 v37, v33 :: v_dual_mov_b32 v36, v32
	;; [unrolled: 1-line block ×7, first 2 shown]
	s_and_saveexec_b32 s1, s0
	s_cbranch_execz .LBB178_40
; %bb.31:
	v_or_b32_e32 v0, 32, v58
	v_not_b32_e32 v3, v48
	v_not_b32_e32 v2, v49
	v_mov_b32_e32 v34, 0
	s_mov_b32 s7, 0
	v_sub_co_u32 v0, s0, v0, s12
	s_delay_alu instid0(VALU_DEP_1) | instskip(SKIP_1) | instid1(VALU_DEP_3)
	v_sub_co_ci_u32_e64 v1, null, 0, s15, s0
	v_sub_co_u32 v4, s0, s12, v58
	v_add_co_u32 v0, vcc_lo, v0, v48
	s_delay_alu instid0(VALU_DEP_3) | instskip(SKIP_2) | instid1(VALU_DEP_2)
	v_add_co_ci_u32_e32 v1, vcc_lo, v1, v49, vcc_lo
	v_sub_co_ci_u32_e64 v5, null, s15, 0, s0
	s_mov_b32 s6, exec_lo
	v_cmp_gt_i64_e32 vcc_lo, v[0:1], v[28:29]
	v_dual_cndmask_b32 v1, v29, v1 :: v_dual_cndmask_b32 v0, v28, v0
	v_add_co_u32 v3, vcc_lo, v4, v3
	v_add_co_ci_u32_e32 v2, vcc_lo, v5, v2, vcc_lo
	s_delay_alu instid0(VALU_DEP_2) | instskip(NEXT) | instid1(VALU_DEP_2)
	v_add_co_u32 v0, vcc_lo, v3, v0
	v_add_co_ci_u32_e32 v1, vcc_lo, v2, v1, vcc_lo
	s_delay_alu instid0(VALU_DEP_2) | instskip(NEXT) | instid1(VALU_DEP_1)
	v_lshrrev_b32_e32 v2, 5, v0
	v_dual_mov_b32 v35, 0 :: v_dual_add_nc_u32 v2, 1, v2
	s_delay_alu instid0(VALU_DEP_1) | instskip(SKIP_1) | instid1(VALU_DEP_3)
	v_dual_mov_b32 v32, v34 :: v_dual_mov_b32 v43, v35
	v_dual_mov_b32 v42, v34 :: v_dual_mov_b32 v45, v35
	v_and_b32_e32 v2, 3, v2
	v_dual_mov_b32 v44, v34 :: v_dual_mov_b32 v37, v35
	v_dual_mov_b32 v36, v34 :: v_dual_mov_b32 v39, v35
	;; [unrolled: 1-line block ×5, first 2 shown]
	v_cmpx_ne_u32_e32 0, v2
	s_cbranch_execz .LBB178_35
; %bb.32:
	v_lshlrev_b64 v[4:5], 3, v[26:27]
	v_dual_mov_b32 v3, 0 :: v_dual_mov_b32 v32, 0
	v_dual_mov_b32 v33, 0 :: v_dual_lshlrev_b32 v2, 3, v2
	s_delay_alu instid0(VALU_DEP_3) | instskip(NEXT) | instid1(VALU_DEP_4)
	v_add_co_u32 v4, vcc_lo, s8, v4
	v_add_co_ci_u32_e32 v5, vcc_lo, s9, v5, vcc_lo
	s_delay_alu instid0(VALU_DEP_3)
	v_dual_mov_b32 v39, v33 :: v_dual_mov_b32 v38, v32
	v_dual_mov_b32 v37, v33 :: v_dual_mov_b32 v36, v32
	;; [unrolled: 1-line block ×7, first 2 shown]
.LBB178_33:                             ; =>This Inner Loop Header: Depth=1
	global_load_b64 v[14:15], v[4:5], off
	s_clause 0x1
	global_load_b128 v[6:9], v[30:31], off
	global_load_b128 v[10:13], v[30:31], off offset:16
	v_add_co_u32 v4, s0, 0x100, v4
	s_delay_alu instid0(VALU_DEP_1)
	v_add_co_ci_u32_e64 v5, s0, 0, v5, s0
	s_waitcnt vmcnt(2)
	v_sub_co_u32 v14, vcc_lo, v14, s12
	v_subrev_co_ci_u32_e32 v15, vcc_lo, s15, v15, vcc_lo
	s_waitcnt vmcnt(1)
	v_cvt_f64_f32_e32 v[56:57], v8
	v_cvt_f64_f32_e32 v[8:9], v9
	s_waitcnt vmcnt(0)
	v_cvt_f64_f32_e32 v[91:92], v10
	v_lshlrev_b64 v[14:15], 6, v[14:15]
	v_cvt_f64_f32_e32 v[10:11], v11
	v_cvt_f64_f32_e32 v[93:94], v12
	;; [unrolled: 1-line block ×3, first 2 shown]
	s_waitcnt lgkmcnt(0)
	s_delay_alu instid0(VALU_DEP_4)
	v_add_co_u32 v14, vcc_lo, s4, v14
	v_add_co_ci_u32_e32 v15, vcc_lo, s5, v15, vcc_lo
	s_clause 0x1
	global_load_b128 v[48:51], v[14:15], off
	global_load_b128 v[52:55], v[14:15], off offset:16
	s_clause 0x3
	global_load_b128 v[59:62], v[30:31], off offset:32
	global_load_b128 v[63:66], v[30:31], off offset:48
	;; [unrolled: 1-line block ×4, first 2 shown]
	s_clause 0x1
	global_load_b128 v[75:78], v[14:15], off offset:32
	global_load_b128 v[79:82], v[14:15], off offset:48
	s_clause 0x1
	global_load_b128 v[83:86], v[30:31], off offset:96
	global_load_b128 v[87:90], v[30:31], off offset:112
	v_cvt_f64_f32_e32 v[14:15], v6
	v_cvt_f64_f32_e32 v[6:7], v7
	v_add_co_u32 v30, vcc_lo, 0x1000, v30
	v_add_co_ci_u32_e32 v31, vcc_lo, 0, v31, vcc_lo
	v_add_co_u32 v2, vcc_lo, v2, -8
	v_add_co_ci_u32_e32 v3, vcc_lo, -1, v3, vcc_lo
	v_add_co_u32 v26, vcc_lo, v26, 32
	v_add_co_ci_u32_e32 v27, vcc_lo, 0, v27, vcc_lo
	s_delay_alu instid0(VALU_DEP_3)
	v_cmp_eq_u64_e32 vcc_lo, 0, v[2:3]
	s_or_b32 s7, vcc_lo, s7
	s_waitcnt vmcnt(9)
	v_fma_f64 v[38:39], v[14:15], v[48:49], v[38:39]
	v_fma_f64 v[32:33], v[6:7], v[48:49], v[32:33]
	;; [unrolled: 1-line block ×8, first 2 shown]
	s_waitcnt vmcnt(7)
	v_cvt_f64_f32_e32 v[48:49], v59
	v_cvt_f64_f32_e32 v[59:60], v60
	;; [unrolled: 1-line block ×4, first 2 shown]
	s_waitcnt vmcnt(6)
	v_cvt_f64_f32_e32 v[97:98], v63
	v_cvt_f64_f32_e32 v[63:64], v64
	;; [unrolled: 1-line block ×4, first 2 shown]
	v_fma_f64 v[6:7], -v[6:7], v[50:51], v[38:39]
	v_fma_f64 v[14:15], v[14:15], v[50:51], v[32:33]
	v_fma_f64 v[8:9], -v[8:9], v[50:51], v[44:45]
	v_fma_f64 v[32:33], v[56:57], v[50:51], v[36:37]
	;; [unrolled: 2-line block ×4, first 2 shown]
	s_waitcnt vmcnt(5)
	v_cvt_f64_f32_e32 v[38:39], v67
	v_cvt_f64_f32_e32 v[40:41], v68
	;; [unrolled: 1-line block ×4, first 2 shown]
	s_waitcnt vmcnt(4)
	v_cvt_f64_f32_e32 v[46:47], v71
	v_cvt_f64_f32_e32 v[50:51], v72
	;; [unrolled: 1-line block ×3, first 2 shown]
	s_waitcnt vmcnt(0)
	v_cvt_f64_f32_e32 v[67:68], v89
	v_cvt_f64_f32_e32 v[69:70], v90
	v_fma_f64 v[6:7], v[48:49], v[52:53], v[6:7]
	v_fma_f64 v[14:15], v[59:60], v[52:53], v[14:15]
	;; [unrolled: 1-line block ×8, first 2 shown]
	v_cvt_f64_f32_e32 v[52:53], v73
	v_fma_f64 v[6:7], -v[59:60], v[54:55], v[6:7]
	v_fma_f64 v[14:15], v[48:49], v[54:55], v[14:15]
	v_fma_f64 v[8:9], -v[61:62], v[54:55], v[8:9]
	v_fma_f64 v[32:33], v[95:96], v[54:55], v[32:33]
	;; [unrolled: 2-line block ×4, first 2 shown]
	v_cvt_f64_f32_e32 v[48:49], v83
	v_cvt_f64_f32_e32 v[54:55], v84
	;; [unrolled: 1-line block ×6, first 2 shown]
	v_fma_f64 v[6:7], v[38:39], v[75:76], v[6:7]
	v_fma_f64 v[14:15], v[40:41], v[75:76], v[14:15]
	;; [unrolled: 1-line block ×8, first 2 shown]
	v_fma_f64 v[6:7], -v[40:41], v[77:78], v[6:7]
	v_fma_f64 v[14:15], v[38:39], v[77:78], v[14:15]
	v_fma_f64 v[8:9], -v[44:45], v[77:78], v[8:9]
	v_fma_f64 v[32:33], v[42:43], v[77:78], v[32:33]
	;; [unrolled: 2-line block ×4, first 2 shown]
	v_fma_f64 v[6:7], v[48:49], v[79:80], v[6:7]
	v_fma_f64 v[14:15], v[54:55], v[79:80], v[14:15]
	;; [unrolled: 1-line block ×8, first 2 shown]
	v_fma_f64 v[38:39], -v[54:55], v[81:82], v[6:7]
	v_fma_f64 v[32:33], v[48:49], v[81:82], v[14:15]
	v_fma_f64 v[44:45], -v[61:62], v[81:82], v[8:9]
	v_fma_f64 v[36:37], v[59:60], v[81:82], v[40:41]
	;; [unrolled: 2-line block ×4, first 2 shown]
	s_and_not1_b32 exec_lo, exec_lo, s7
	s_cbranch_execnz .LBB178_33
; %bb.34:
	s_or_b32 exec_lo, exec_lo, s7
.LBB178_35:
	s_delay_alu instid0(SALU_CYCLE_1) | instskip(NEXT) | instid1(SALU_CYCLE_1)
	s_or_b32 exec_lo, exec_lo, s6
	s_mov_b32 s6, exec_lo
	v_cmpx_lt_u64_e32 0x5f, v[0:1]
	s_cbranch_execz .LBB178_39
; %bb.36:
	v_lshlrev_b64 v[0:1], 3, v[26:27]
	s_mov_b32 s7, 0
	s_delay_alu instid0(VALU_DEP_1) | instskip(NEXT) | instid1(VALU_DEP_2)
	v_add_co_u32 v0, vcc_lo, v0, s8
	v_add_co_ci_u32_e32 v1, vcc_lo, s9, v1, vcc_lo
	s_delay_alu instid0(VALU_DEP_2) | instskip(NEXT) | instid1(VALU_DEP_2)
	v_add_co_u32 v8, vcc_lo, 0x200, v0
	v_add_co_ci_u32_e32 v9, vcc_lo, 0, v1, vcc_lo
.LBB178_37:                             ; =>This Inner Loop Header: Depth=1
	global_load_b64 v[10:11], v[8:9], off offset:-512
	s_clause 0x1
	global_load_b128 v[4:7], v[30:31], off
	global_load_b128 v[0:3], v[30:31], off offset:16
	s_clause 0x2
	global_load_b64 v[14:15], v[8:9], off offset:-256
	global_load_b64 v[56:57], v[8:9], off
	global_load_b64 v[95:96], v[8:9], off offset:256
	s_waitcnt vmcnt(5)
	v_sub_co_u32 v10, vcc_lo, v10, s12
	v_subrev_co_ci_u32_e32 v11, vcc_lo, s15, v11, vcc_lo
	s_waitcnt vmcnt(4)
	v_cvt_f64_f32_e32 v[101:102], v4
	v_cvt_f64_f32_e32 v[103:104], v5
	;; [unrolled: 1-line block ×3, first 2 shown]
	v_lshlrev_b64 v[10:11], 6, v[10:11]
	v_cvt_f64_f32_e32 v[107:108], v7
	s_waitcnt vmcnt(3)
	v_cvt_f64_f32_e32 v[109:110], v0
	v_cvt_f64_f32_e32 v[111:112], v2
	;; [unrolled: 1-line block ×3, first 2 shown]
	s_waitcnt lgkmcnt(0)
	v_add_co_u32 v83, vcc_lo, s4, v10
	v_add_co_ci_u32_e32 v84, vcc_lo, s5, v11, vcc_lo
	v_add_co_u32 v97, vcc_lo, v30, 0x2000
	v_add_co_ci_u32_e32 v98, vcc_lo, 0, v31, vcc_lo
	global_load_b128 v[10:13], v[83:84], off
	s_clause 0x1
	global_load_b128 v[48:51], v[30:31], off offset:32
	global_load_b128 v[52:55], v[30:31], off offset:48
	global_load_b128 v[59:62], v[83:84], off offset:16
	s_clause 0x1
	global_load_b128 v[63:66], v[30:31], off offset:64
	global_load_b128 v[67:70], v[30:31], off offset:80
	global_load_b128 v[71:74], v[83:84], off offset:32
	s_clause 0x1
	global_load_b128 v[75:78], v[30:31], off offset:96
	global_load_b128 v[79:82], v[30:31], off offset:112
	global_load_b128 v[83:86], v[83:84], off offset:48
	v_add_co_u32 v99, vcc_lo, 0x1000, v30
	v_add_co_ci_u32_e32 v100, vcc_lo, 0, v31, vcc_lo
	s_clause 0x1
	global_load_b128 v[87:90], v[97:98], off offset:-4096
	global_load_b128 v[91:94], v[99:100], off offset:16
	s_waitcnt vmcnt(14)
	v_sub_co_u32 v4, vcc_lo, v14, s12
	v_subrev_co_ci_u32_e32 v5, vcc_lo, s15, v15, vcc_lo
	v_cvt_f64_f32_e32 v[14:15], v1
	s_delay_alu instid0(VALU_DEP_2) | instskip(NEXT) | instid1(VALU_DEP_1)
	v_lshlrev_b64 v[0:1], 6, v[4:5]
	v_add_co_u32 v115, vcc_lo, s4, v0
	s_delay_alu instid0(VALU_DEP_2)
	v_add_co_ci_u32_e32 v116, vcc_lo, s5, v1, vcc_lo
	global_load_b128 v[0:3], v[115:116], off
	s_waitcnt vmcnt(12)
	v_fma_f64 v[38:39], v[101:102], v[10:11], v[38:39]
	v_fma_f64 v[117:118], v[103:104], v[10:11], v[32:33]
	;; [unrolled: 1-line block ×8, first 2 shown]
	s_clause 0x1
	global_load_b128 v[4:7], v[99:100], off offset:32
	global_load_b128 v[32:35], v[99:100], off offset:48
	s_waitcnt vmcnt(13)
	v_cvt_f64_f32_e32 v[121:122], v48
	v_cvt_f64_f32_e32 v[48:49], v49
	;; [unrolled: 1-line block ×4, first 2 shown]
	s_waitcnt vmcnt(12)
	v_cvt_f64_f32_e32 v[125:126], v52
	v_cvt_f64_f32_e32 v[52:53], v53
	;; [unrolled: 1-line block ×4, first 2 shown]
	s_waitcnt vmcnt(9)
	v_cvt_f64_f32_e32 v[129:130], v69
	v_cvt_f64_f32_e32 v[69:70], v70
	v_fma_f64 v[38:39], -v[103:104], v[12:13], v[38:39]
	v_fma_f64 v[40:41], v[101:102], v[12:13], v[117:118]
	v_fma_f64 v[44:45], -v[107:108], v[12:13], v[44:45]
	v_fma_f64 v[36:37], v[105:106], v[12:13], v[36:37]
	;; [unrolled: 2-line block ×4, first 2 shown]
	global_load_b128 v[10:13], v[115:116], off offset:16
	v_cvt_f64_f32_e32 v[117:118], v65
	v_cvt_f64_f32_e32 v[65:66], v66
	;; [unrolled: 1-line block ×4, first 2 shown]
	v_fma_f64 v[103:104], v[121:122], v[59:60], v[38:39]
	v_fma_f64 v[105:106], v[48:49], v[59:60], v[40:41]
	;; [unrolled: 1-line block ×8, first 2 shown]
	s_clause 0x2
	global_load_b128 v[36:39], v[99:100], off offset:64
	global_load_b128 v[40:43], v[99:100], off offset:80
	;; [unrolled: 1-line block ×3, first 2 shown]
	v_cvt_f64_f32_e32 v[101:102], v63
	v_cvt_f64_f32_e32 v[63:64], v64
	v_fma_f64 v[103:104], -v[48:49], v[61:62], v[103:104]
	v_fma_f64 v[105:106], v[121:122], v[61:62], v[105:106]
	v_fma_f64 v[107:108], -v[50:51], v[61:62], v[107:108]
	v_fma_f64 v[109:110], v[123:124], v[61:62], v[109:110]
	;; [unrolled: 2-line block ×4, first 2 shown]
	global_load_b128 v[48:51], v[115:116], off offset:32
	s_waitcnt vmcnt(11)
	v_cvt_f64_f32_e32 v[113:114], v79
	v_cvt_f64_f32_e32 v[79:80], v80
	;; [unrolled: 1-line block ×4, first 2 shown]
	s_waitcnt vmcnt(8)
	v_cvt_f64_f32_e32 v[123:124], v93
	v_cvt_f64_f32_e32 v[93:94], v94
	v_fma_f64 v[61:62], v[101:102], v[71:72], v[103:104]
	v_fma_f64 v[103:104], v[63:64], v[71:72], v[105:106]
	;; [unrolled: 1-line block ×8, first 2 shown]
	global_load_b128 v[52:55], v[99:100], off offset:112
	v_cvt_f64_f32_e32 v[71:72], v75
	v_cvt_f64_f32_e32 v[75:76], v76
	v_cvt_f64_f32_e32 v[99:100], v77
	v_cvt_f64_f32_e32 v[77:78], v78
	v_fma_f64 v[63:64], -v[63:64], v[73:74], v[61:62]
	v_fma_f64 v[101:102], v[101:102], v[73:74], v[103:104]
	v_fma_f64 v[65:66], -v[65:66], v[73:74], v[105:106]
	v_fma_f64 v[103:104], v[117:118], v[73:74], v[107:108]
	;; [unrolled: 2-line block ×4, first 2 shown]
	global_load_b128 v[59:62], v[115:116], off offset:48
	v_add_co_u32 v105, vcc_lo, 0x2000, v30
	v_add_co_ci_u32_e32 v106, vcc_lo, 0, v31, vcc_lo
	v_cvt_f64_f32_e32 v[117:118], v89
	v_cvt_f64_f32_e32 v[89:90], v90
	;; [unrolled: 1-line block ×4, first 2 shown]
	v_sub_co_u32 v56, vcc_lo, v56, s12
	v_subrev_co_ci_u32_e32 v57, vcc_lo, s15, v57, vcc_lo
	s_delay_alu instid0(VALU_DEP_1) | instskip(NEXT) | instid1(VALU_DEP_1)
	v_lshlrev_b64 v[56:57], 6, v[56:57]
	v_add_co_u32 v56, vcc_lo, s4, v56
	s_delay_alu instid0(VALU_DEP_2)
	v_add_co_ci_u32_e32 v57, vcc_lo, s5, v57, vcc_lo
	v_fma_f64 v[107:108], v[71:72], v[83:84], v[63:64]
	v_fma_f64 v[101:102], v[75:76], v[83:84], v[101:102]
	;; [unrolled: 1-line block ×8, first 2 shown]
	s_clause 0x1
	global_load_b128 v[63:66], v[97:98], off
	global_load_b128 v[67:70], v[105:106], off offset:16
	v_cvt_f64_f32_e32 v[97:98], v87
	v_cvt_f64_f32_e32 v[87:88], v88
	v_fma_f64 v[83:84], -v[75:76], v[85:86], v[107:108]
	v_fma_f64 v[101:102], v[71:72], v[85:86], v[101:102]
	v_fma_f64 v[107:108], -v[77:78], v[85:86], v[109:110]
	v_fma_f64 v[99:100], v[99:100], v[85:86], v[103:104]
	;; [unrolled: 2-line block ×4, first 2 shown]
	s_clause 0x1
	global_load_b128 v[71:74], v[56:57], off
	global_load_b128 v[75:78], v[56:57], off offset:16
	s_waitcnt vmcnt(13)
	v_fma_f64 v[103:104], v[97:98], v[0:1], v[83:84]
	v_fma_f64 v[101:102], v[87:88], v[0:1], v[101:102]
	;; [unrolled: 1-line block ×8, first 2 shown]
	s_clause 0x1
	global_load_b128 v[79:82], v[105:106], off offset:32
	global_load_b128 v[83:86], v[105:106], off offset:48
	s_waitcnt vmcnt(14)
	v_cvt_f64_f32_e32 v[113:114], v4
	v_cvt_f64_f32_e32 v[115:116], v5
	v_cvt_f64_f32_e32 v[121:122], v6
	v_cvt_f64_f32_e32 v[125:126], v7
	s_waitcnt vmcnt(13)
	v_cvt_f64_f32_e32 v[127:128], v32
	v_cvt_f64_f32_e32 v[32:33], v33
	;; [unrolled: 1-line block ×4, first 2 shown]
	v_fma_f64 v[4:5], -v[87:88], v[2:3], v[103:104]
	v_fma_f64 v[6:7], v[97:98], v[2:3], v[101:102]
	v_fma_f64 v[87:88], -v[89:90], v[2:3], v[107:108]
	v_fma_f64 v[89:90], v[117:118], v[2:3], v[99:100]
	;; [unrolled: 2-line block ×4, first 2 shown]
	s_waitcnt vmcnt(12)
	v_fma_f64 v[97:98], v[113:114], v[10:11], v[4:5]
	v_fma_f64 v[99:100], v[115:116], v[10:11], v[6:7]
	;; [unrolled: 1-line block ×8, first 2 shown]
	s_clause 0x1
	global_load_b128 v[0:3], v[105:106], off offset:64
	global_load_b128 v[4:7], v[105:106], off offset:80
	s_waitcnt vmcnt(13)
	v_cvt_f64_f32_e32 v[101:102], v36
	v_cvt_f64_f32_e32 v[103:104], v37
	;; [unrolled: 1-line block ×4, first 2 shown]
	s_waitcnt vmcnt(12)
	v_cvt_f64_f32_e32 v[111:112], v40
	v_cvt_f64_f32_e32 v[40:41], v41
	;; [unrolled: 1-line block ×4, first 2 shown]
	s_waitcnt vmcnt(11)
	v_cvt_f64_f32_e32 v[119:120], v47
	v_fma_f64 v[36:37], -v[115:116], v[12:13], v[97:98]
	v_fma_f64 v[38:39], v[113:114], v[12:13], v[99:100]
	v_fma_f64 v[87:88], -v[125:126], v[12:13], v[87:88]
	v_fma_f64 v[89:90], v[121:122], v[12:13], v[89:90]
	;; [unrolled: 2-line block ×4, first 2 shown]
	global_load_b128 v[10:13], v[56:57], off offset:32
	v_cvt_f64_f32_e32 v[115:116], v46
	s_waitcnt vmcnt(11)
	v_fma_f64 v[93:94], v[101:102], v[48:49], v[36:37]
	v_fma_f64 v[97:98], v[103:104], v[48:49], v[38:39]
	;; [unrolled: 1-line block ×8, first 2 shown]
	s_clause 0x1
	global_load_b128 v[32:35], v[105:106], off offset:96
	global_load_b128 v[36:39], v[105:106], off offset:112
	v_cvt_f64_f32_e32 v[91:92], v44
	v_cvt_f64_f32_e32 v[105:106], v45
	s_waitcnt vmcnt(12)
	v_cvt_f64_f32_e32 v[121:122], v52
	v_cvt_f64_f32_e32 v[52:53], v53
	;; [unrolled: 1-line block ×4, first 2 shown]
	v_fma_f64 v[44:45], -v[103:104], v[50:51], v[93:94]
	v_fma_f64 v[46:47], v[101:102], v[50:51], v[97:98]
	v_fma_f64 v[87:88], -v[109:110], v[50:51], v[87:88]
	v_fma_f64 v[89:90], v[107:108], v[50:51], v[89:90]
	;; [unrolled: 2-line block ×4, first 2 shown]
	global_load_b128 v[40:43], v[56:57], off offset:48
	v_add_co_u32 v56, vcc_lo, 0x3000, v30
	v_add_co_ci_u32_e32 v57, vcc_lo, 0, v31, vcc_lo
	v_sub_co_u32 v95, vcc_lo, v95, s12
	v_subrev_co_ci_u32_e32 v96, vcc_lo, s15, v96, vcc_lo
	v_add_co_u32 v30, s0, 0x4000, v30
	s_delay_alu instid0(VALU_DEP_1)
	v_add_co_ci_u32_e64 v31, s0, 0, v31, s0
	s_waitcnt vmcnt(12)
	v_fma_f64 v[99:100], v[91:92], v[59:60], v[44:45]
	v_fma_f64 v[101:102], v[105:106], v[59:60], v[46:47]
	;; [unrolled: 1-line block ×8, first 2 shown]
	s_clause 0x1
	global_load_b128 v[44:47], v[56:57], off
	global_load_b128 v[48:51], v[56:57], off offset:16
	s_waitcnt vmcnt(13)
	v_cvt_f64_f32_e32 v[103:104], v63
	v_cvt_f64_f32_e32 v[107:108], v64
	;; [unrolled: 1-line block ×4, first 2 shown]
	s_waitcnt vmcnt(12)
	v_cvt_f64_f32_e32 v[113:114], v67
	v_cvt_f64_f32_e32 v[67:68], v68
	;; [unrolled: 1-line block ×4, first 2 shown]
	v_fma_f64 v[63:64], -v[105:106], v[61:62], v[99:100]
	v_fma_f64 v[65:66], v[91:92], v[61:62], v[101:102]
	v_fma_f64 v[87:88], -v[119:120], v[61:62], v[87:88]
	v_fma_f64 v[89:90], v[115:116], v[61:62], v[89:90]
	;; [unrolled: 2-line block ×4, first 2 shown]
	v_lshlrev_b64 v[52:53], 6, v[95:96]
	s_delay_alu instid0(VALU_DEP_1) | instskip(NEXT) | instid1(VALU_DEP_2)
	v_add_co_u32 v95, vcc_lo, s4, v52
	v_add_co_ci_u32_e32 v96, vcc_lo, s5, v53, vcc_lo
	v_add_co_u32 v26, vcc_lo, 0x80, v26
	v_add_co_ci_u32_e32 v27, vcc_lo, 0, v27, vcc_lo
	global_load_b128 v[52:55], v[95:96], off
	v_add_co_u32 v8, vcc_lo, 0x400, v8
	v_add_co_ci_u32_e32 v9, vcc_lo, 0, v9, vcc_lo
	v_cmp_ge_i64_e32 vcc_lo, v[26:27], v[28:29]
	s_or_b32 s7, vcc_lo, s7
	s_waitcnt vmcnt(12)
	v_fma_f64 v[97:98], v[103:104], v[71:72], v[63:64]
	v_fma_f64 v[99:100], v[107:108], v[71:72], v[65:66]
	v_fma_f64 v[87:88], v[109:110], v[71:72], v[87:88]
	v_fma_f64 v[89:90], v[111:112], v[71:72], v[89:90]
	v_fma_f64 v[14:15], v[113:114], v[71:72], v[14:15]
	v_fma_f64 v[91:92], v[67:68], v[71:72], v[91:92]
	v_fma_f64 v[93:94], v[117:118], v[71:72], v[93:94]
	v_fma_f64 v[71:72], v[69:70], v[71:72], v[59:60]
	s_clause 0x1
	global_load_b128 v[59:62], v[56:57], off offset:32
	global_load_b128 v[63:66], v[56:57], off offset:48
	s_waitcnt vmcnt(12)
	v_cvt_f64_f32_e32 v[101:102], v79
	v_cvt_f64_f32_e32 v[105:106], v80
	;; [unrolled: 1-line block ×4, first 2 shown]
	s_waitcnt vmcnt(11)
	v_cvt_f64_f32_e32 v[121:122], v83
	v_cvt_f64_f32_e32 v[83:84], v84
	;; [unrolled: 1-line block ×4, first 2 shown]
	v_fma_f64 v[79:80], -v[107:108], v[73:74], v[97:98]
	v_fma_f64 v[81:82], v[103:104], v[73:74], v[99:100]
	v_fma_f64 v[87:88], -v[111:112], v[73:74], v[87:88]
	v_fma_f64 v[89:90], v[109:110], v[73:74], v[89:90]
	;; [unrolled: 2-line block ×4, first 2 shown]
	global_load_b128 v[67:70], v[95:96], off offset:16
	v_fma_f64 v[97:98], v[101:102], v[75:76], v[79:80]
	v_fma_f64 v[99:100], v[105:106], v[75:76], v[81:82]
	;; [unrolled: 1-line block ×8, first 2 shown]
	s_clause 0x1
	global_load_b128 v[71:74], v[56:57], off offset:64
	global_load_b128 v[79:82], v[56:57], off offset:80
	s_waitcnt vmcnt(13)
	v_cvt_f64_f32_e32 v[103:104], v0
	v_cvt_f64_f32_e32 v[107:108], v1
	;; [unrolled: 1-line block ×4, first 2 shown]
	s_waitcnt vmcnt(12)
	v_cvt_f64_f32_e32 v[113:114], v4
	v_cvt_f64_f32_e32 v[117:118], v5
	;; [unrolled: 1-line block ×4, first 2 shown]
	global_load_b128 v[0:3], v[95:96], off offset:32
	v_fma_f64 v[4:5], -v[105:106], v[77:78], v[97:98]
	v_fma_f64 v[6:7], v[101:102], v[77:78], v[99:100]
	v_fma_f64 v[87:88], -v[119:120], v[77:78], v[87:88]
	v_fma_f64 v[89:90], v[115:116], v[77:78], v[89:90]
	;; [unrolled: 2-line block ×4, first 2 shown]
	s_waitcnt vmcnt(12)
	v_fma_f64 v[91:92], v[103:104], v[10:11], v[4:5]
	v_fma_f64 v[93:94], v[107:108], v[10:11], v[6:7]
	;; [unrolled: 1-line block ×8, first 2 shown]
	s_clause 0x1
	global_load_b128 v[4:7], v[56:57], off offset:96
	global_load_b128 v[75:78], v[56:57], off offset:112
	s_waitcnt vmcnt(13)
	v_cvt_f64_f32_e32 v[56:57], v32
	v_cvt_f64_f32_e32 v[32:33], v33
	;; [unrolled: 1-line block ×4, first 2 shown]
	s_waitcnt vmcnt(12)
	v_cvt_f64_f32_e32 v[99:100], v36
	v_cvt_f64_f32_e32 v[36:37], v37
	;; [unrolled: 1-line block ×4, first 2 shown]
	v_fma_f64 v[91:92], -v[107:108], v[12:13], v[91:92]
	v_fma_f64 v[93:94], v[103:104], v[12:13], v[93:94]
	v_fma_f64 v[87:88], -v[111:112], v[12:13], v[87:88]
	v_fma_f64 v[89:90], v[109:110], v[12:13], v[89:90]
	;; [unrolled: 2-line block ×4, first 2 shown]
	global_load_b128 v[10:13], v[95:96], off offset:48
	s_waitcnt vmcnt(12)
	v_fma_f64 v[91:92], v[56:57], v[40:41], v[91:92]
	v_fma_f64 v[93:94], v[32:33], v[40:41], v[93:94]
	v_fma_f64 v[87:88], v[97:98], v[40:41], v[87:88]
	v_fma_f64 v[89:90], v[34:35], v[40:41], v[89:90]
	v_fma_f64 v[14:15], v[99:100], v[40:41], v[14:15]
	v_fma_f64 v[83:84], v[36:37], v[40:41], v[83:84]
	v_fma_f64 v[85:86], v[101:102], v[40:41], v[85:86]
	v_fma_f64 v[40:41], v[38:39], v[40:41], v[103:104]
	s_waitcnt vmcnt(11)
	v_cvt_f64_f32_e32 v[95:96], v44
	v_cvt_f64_f32_e32 v[44:45], v45
	v_cvt_f64_f32_e32 v[103:104], v46
	v_cvt_f64_f32_e32 v[46:47], v47
	s_waitcnt vmcnt(10)
	v_cvt_f64_f32_e32 v[105:106], v48
	v_cvt_f64_f32_e32 v[48:49], v49
	v_cvt_f64_f32_e32 v[107:108], v50
	v_cvt_f64_f32_e32 v[50:51], v51
	v_fma_f64 v[32:33], -v[32:33], v[42:43], v[91:92]
	v_fma_f64 v[56:57], v[56:57], v[42:43], v[93:94]
	v_fma_f64 v[34:35], -v[34:35], v[42:43], v[87:88]
	v_fma_f64 v[87:88], v[97:98], v[42:43], v[89:90]
	v_fma_f64 v[14:15], -v[36:37], v[42:43], v[14:15]
	v_fma_f64 v[36:37], v[99:100], v[42:43], v[83:84]
	v_fma_f64 v[38:39], -v[38:39], v[42:43], v[85:86]
	v_fma_f64 v[40:41], v[101:102], v[42:43], v[40:41]
	s_waitcnt vmcnt(9)
	v_fma_f64 v[32:33], v[95:96], v[52:53], v[32:33]
	v_fma_f64 v[42:43], v[44:45], v[52:53], v[56:57]
	v_fma_f64 v[34:35], v[103:104], v[52:53], v[34:35]
	v_fma_f64 v[56:57], v[46:47], v[52:53], v[87:88]
	v_fma_f64 v[14:15], v[105:106], v[52:53], v[14:15]
	v_fma_f64 v[36:37], v[48:49], v[52:53], v[36:37]
	v_fma_f64 v[38:39], v[107:108], v[52:53], v[38:39]
	v_fma_f64 v[40:41], v[50:51], v[52:53], v[40:41]
	s_waitcnt vmcnt(8)
	v_cvt_f64_f32_e32 v[52:53], v59
	v_cvt_f64_f32_e32 v[59:60], v60
	v_cvt_f64_f32_e32 v[83:84], v61
	v_cvt_f64_f32_e32 v[61:62], v62
	s_waitcnt vmcnt(7)
	v_cvt_f64_f32_e32 v[85:86], v63
	v_cvt_f64_f32_e32 v[63:64], v64
	v_cvt_f64_f32_e32 v[87:88], v65
	v_cvt_f64_f32_e32 v[65:66], v66
	v_fma_f64 v[32:33], -v[44:45], v[54:55], v[32:33]
	v_fma_f64 v[42:43], v[95:96], v[54:55], v[42:43]
	v_fma_f64 v[34:35], -v[46:47], v[54:55], v[34:35]
	v_fma_f64 v[44:45], v[103:104], v[54:55], v[56:57]
	v_fma_f64 v[14:15], -v[48:49], v[54:55], v[14:15]
	v_fma_f64 v[36:37], v[105:106], v[54:55], v[36:37]
	v_fma_f64 v[38:39], -v[50:51], v[54:55], v[38:39]
	v_fma_f64 v[40:41], v[107:108], v[54:55], v[40:41]
	;; [unrolled: 27-line block ×4, first 2 shown]
	s_waitcnt vmcnt(0)
	v_fma_f64 v[2:3], v[40:41], v[10:11], v[32:33]
	v_fma_f64 v[32:33], v[4:5], v[10:11], v[42:43]
	;; [unrolled: 1-line block ×8, first 2 shown]
	v_fma_f64 v[38:39], -v[4:5], v[12:13], v[2:3]
	v_fma_f64 v[32:33], v[40:41], v[12:13], v[32:33]
	v_fma_f64 v[44:45], -v[6:7], v[12:13], v[34:35]
	v_fma_f64 v[36:37], v[52:53], v[12:13], v[42:43]
	;; [unrolled: 2-line block ×4, first 2 shown]
	s_and_not1_b32 exec_lo, exec_lo, s7
	s_cbranch_execnz .LBB178_37
; %bb.38:
	s_or_b32 exec_lo, exec_lo, s7
.LBB178_39:
	s_delay_alu instid0(SALU_CYCLE_1)
	s_or_b32 exec_lo, exec_lo, s6
.LBB178_40:
	s_delay_alu instid0(SALU_CYCLE_1)
	s_or_b32 exec_lo, exec_lo, s1
.LBB178_41:
	v_mbcnt_lo_u32_b32 v48, -1, 0
	s_delay_alu instid0(VALU_DEP_1) | instskip(SKIP_1) | instid1(VALU_DEP_2)
	v_xor_b32_e32 v0, 16, v48
	v_xor_b32_e32 v26, 8, v48
	v_cmp_gt_i32_e32 vcc_lo, 32, v0
	v_cndmask_b32_e32 v0, v48, v0, vcc_lo
	s_delay_alu instid0(VALU_DEP_3) | instskip(NEXT) | instid1(VALU_DEP_2)
	v_cmp_gt_i32_e32 vcc_lo, 32, v26
	v_dual_cndmask_b32 v26, v48, v26 :: v_dual_lshlrev_b32 v15, 2, v0
	ds_bpermute_b32 v0, v15, v38
	ds_bpermute_b32 v1, v15, v39
	;; [unrolled: 1-line block ×16, first 2 shown]
	s_waitcnt lgkmcnt(0)
	v_add_f64 v[0:1], v[38:39], v[0:1]
	v_add_f64 v[2:3], v[32:33], v[2:3]
	;; [unrolled: 1-line block ×8, first 2 shown]
	v_lshlrev_b32_e32 v41, 2, v26
	ds_bpermute_b32 v26, v41, v0
	ds_bpermute_b32 v27, v41, v1
	;; [unrolled: 1-line block ×16, first 2 shown]
	s_waitcnt lgkmcnt(14)
	v_add_f64 v[0:1], v[0:1], v[26:27]
	v_xor_b32_e32 v26, 4, v48
	s_waitcnt lgkmcnt(12)
	v_add_f64 v[2:3], v[2:3], v[28:29]
	s_waitcnt lgkmcnt(10)
	v_add_f64 v[4:5], v[4:5], v[30:31]
	;; [unrolled: 2-line block ×3, first 2 shown]
	v_cmp_gt_i32_e32 vcc_lo, 32, v26
	s_waitcnt lgkmcnt(6)
	v_add_f64 v[8:9], v[8:9], v[34:35]
	s_waitcnt lgkmcnt(4)
	v_add_f64 v[10:11], v[10:11], v[36:37]
	;; [unrolled: 2-line block ×3, first 2 shown]
	v_cndmask_b32_e32 v26, v48, v26, vcc_lo
	s_waitcnt lgkmcnt(0)
	v_add_f64 v[14:15], v[14:15], v[40:41]
	s_delay_alu instid0(VALU_DEP_2)
	v_lshlrev_b32_e32 v41, 2, v26
	ds_bpermute_b32 v26, v41, v0
	ds_bpermute_b32 v27, v41, v1
	;; [unrolled: 1-line block ×16, first 2 shown]
	s_waitcnt lgkmcnt(14)
	v_add_f64 v[0:1], v[0:1], v[26:27]
	s_waitcnt lgkmcnt(12)
	v_add_f64 v[2:3], v[2:3], v[28:29]
	;; [unrolled: 2-line block ×8, first 2 shown]
	v_xor_b32_e32 v14, 2, v48
	s_delay_alu instid0(VALU_DEP_1) | instskip(SKIP_1) | instid1(VALU_DEP_1)
	v_cmp_gt_i32_e32 vcc_lo, 32, v14
	v_cndmask_b32_e32 v14, v48, v14, vcc_lo
	v_lshlrev_b32_e32 v41, 2, v14
	ds_bpermute_b32 v14, v41, v0
	ds_bpermute_b32 v15, v41, v1
	;; [unrolled: 1-line block ×16, first 2 shown]
	s_waitcnt lgkmcnt(14)
	v_add_f64 v[0:1], v[0:1], v[14:15]
	s_waitcnt lgkmcnt(12)
	v_add_f64 v[28:29], v[2:3], v[28:29]
	;; [unrolled: 2-line block ×7, first 2 shown]
	v_xor_b32_e32 v12, 1, v48
	s_waitcnt lgkmcnt(0)
	v_add_f64 v[8:9], v[26:27], v[40:41]
	s_delay_alu instid0(VALU_DEP_2) | instskip(SKIP_2) | instid1(VALU_DEP_2)
	v_cmp_gt_i32_e32 vcc_lo, 32, v12
	v_cndmask_b32_e32 v12, v48, v12, vcc_lo
	v_cmp_eq_u32_e32 vcc_lo, 31, v58
	v_lshlrev_b32_e32 v35, 2, v12
	ds_bpermute_b32 v12, v35, v0
	ds_bpermute_b32 v13, v35, v1
	;; [unrolled: 1-line block ×16, first 2 shown]
	s_and_b32 exec_lo, exec_lo, vcc_lo
	s_cbranch_execz .LBB178_12
; %bb.42:
	s_waitcnt lgkmcnt(12)
	v_add_f64 v[28:29], v[28:29], v[40:41]
	s_waitcnt lgkmcnt(8)
	v_add_f64 v[14:15], v[14:15], v[38:39]
	s_waitcnt lgkmcnt(4)
	v_add_f64 v[10:11], v[10:11], v[36:37]
	s_waitcnt lgkmcnt(0)
	v_add_f64 v[8:9], v[8:9], v[34:35]
	v_add_f64 v[0:1], v[0:1], v[12:13]
	v_add_f64 v[2:3], v[2:3], v[26:27]
	;; [unrolled: 1-line block ×4, first 2 shown]
	v_cmp_eq_f64_e32 vcc_lo, 0, v[16:17]
	v_cmp_eq_f64_e64 s0, 0, v[18:19]
	s_load_b64 s[2:3], s[2:3], 0x68
	v_mul_f64 v[4:5], v[28:29], -v[22:23]
	v_mul_f64 v[6:7], v[20:21], v[28:29]
	v_mul_f64 v[28:29], v[14:15], -v[22:23]
	v_mul_f64 v[32:33], v[20:21], v[14:15]
	;; [unrolled: 2-line block ×4, first 2 shown]
	s_and_b32 s0, vcc_lo, s0
	v_fma_f64 v[12:13], v[20:21], v[0:1], v[4:5]
	v_fma_f64 v[14:15], v[22:23], v[0:1], v[6:7]
	v_fma_f64 v[8:9], v[20:21], v[2:3], v[28:29]
	v_fma_f64 v[10:11], v[22:23], v[2:3], v[32:33]
	v_fma_f64 v[4:5], v[20:21], v[26:27], v[34:35]
	v_fma_f64 v[6:7], v[22:23], v[26:27], v[36:37]
	v_fma_f64 v[0:1], v[20:21], v[30:31], v[38:39]
	v_fma_f64 v[2:3], v[22:23], v[30:31], v[40:41]
	v_lshlrev_b64 v[20:21], 6, v[24:25]
	s_and_saveexec_b32 s1, s0
	s_delay_alu instid0(SALU_CYCLE_1)
	s_xor_b32 s0, exec_lo, s1
	s_cbranch_execz .LBB178_44
; %bb.43:
	s_waitcnt lgkmcnt(0)
	s_delay_alu instid0(VALU_DEP_1)
	v_add_co_u32 v16, vcc_lo, s2, v20
	v_add_co_ci_u32_e32 v17, vcc_lo, s3, v21, vcc_lo
                                        ; implicit-def: $vgpr18_vgpr19
                                        ; implicit-def: $vgpr20_vgpr21
	s_clause 0x3
	global_store_b128 v[16:17], v[12:15], off
	global_store_b128 v[16:17], v[8:11], off offset:16
	global_store_b128 v[16:17], v[4:7], off offset:32
	;; [unrolled: 1-line block ×3, first 2 shown]
                                        ; implicit-def: $vgpr16_vgpr17
                                        ; implicit-def: $vgpr12_vgpr13
                                        ; implicit-def: $vgpr8_vgpr9
                                        ; implicit-def: $vgpr4_vgpr5
                                        ; implicit-def: $vgpr0_vgpr1
.LBB178_44:
	s_and_not1_saveexec_b32 s0, s0
	s_cbranch_execz .LBB178_12
; %bb.45:
	s_waitcnt lgkmcnt(0)
	v_add_co_u32 v36, vcc_lo, s2, v20
	v_add_co_ci_u32_e32 v37, vcc_lo, s3, v21, vcc_lo
	s_clause 0x3
	global_load_b128 v[20:23], v[36:37], off
	global_load_b128 v[24:27], v[36:37], off offset:16
	global_load_b128 v[28:31], v[36:37], off offset:32
	;; [unrolled: 1-line block ×3, first 2 shown]
	s_waitcnt vmcnt(3)
	v_fma_f64 v[12:13], v[16:17], v[20:21], v[12:13]
	v_fma_f64 v[14:15], v[18:19], v[20:21], v[14:15]
	s_waitcnt vmcnt(2)
	v_fma_f64 v[8:9], v[16:17], v[24:25], v[8:9]
	v_fma_f64 v[10:11], v[18:19], v[24:25], v[10:11]
	;; [unrolled: 3-line block ×4, first 2 shown]
	v_fma_f64 v[0:1], -v[18:19], v[22:23], v[12:13]
	v_fma_f64 v[2:3], v[16:17], v[22:23], v[14:15]
	v_fma_f64 v[4:5], -v[18:19], v[26:27], v[8:9]
	v_fma_f64 v[6:7], v[16:17], v[26:27], v[10:11]
	;; [unrolled: 2-line block ×4, first 2 shown]
	s_clause 0x3
	global_store_b128 v[36:37], v[0:3], off
	global_store_b128 v[36:37], v[4:7], off offset:16
	global_store_b128 v[36:37], v[8:11], off offset:32
	;; [unrolled: 1-line block ×3, first 2 shown]
	s_nop 0
	s_sendmsg sendmsg(MSG_DEALLOC_VGPRS)
	s_endpgm
	.section	.rodata,"a",@progbits
	.p2align	6, 0x0
	.amdhsa_kernel _ZN9rocsparseL18bsrxmvn_4x4_kernelILj128ELj32E21rocsparse_complex_numIdEllS1_IfES2_S2_EEvT3_20rocsparse_direction_NS_24const_host_device_scalarIT1_EES4_PKS4_PKT2_SD_SA_PKT4_PKT5_S8_PT6_21rocsparse_index_base_b
		.amdhsa_group_segment_fixed_size 2048
		.amdhsa_private_segment_fixed_size 0
		.amdhsa_kernarg_size 120
		.amdhsa_user_sgpr_count 15
		.amdhsa_user_sgpr_dispatch_ptr 1
		.amdhsa_user_sgpr_queue_ptr 0
		.amdhsa_user_sgpr_kernarg_segment_ptr 1
		.amdhsa_user_sgpr_dispatch_id 0
		.amdhsa_user_sgpr_private_segment_size 0
		.amdhsa_wavefront_size32 1
		.amdhsa_uses_dynamic_stack 0
		.amdhsa_enable_private_segment 0
		.amdhsa_system_sgpr_workgroup_id_x 1
		.amdhsa_system_sgpr_workgroup_id_y 0
		.amdhsa_system_sgpr_workgroup_id_z 0
		.amdhsa_system_sgpr_workgroup_info 0
		.amdhsa_system_vgpr_workitem_id 2
		.amdhsa_next_free_vgpr 141
		.amdhsa_next_free_sgpr 18
		.amdhsa_reserve_vcc 1
		.amdhsa_float_round_mode_32 0
		.amdhsa_float_round_mode_16_64 0
		.amdhsa_float_denorm_mode_32 3
		.amdhsa_float_denorm_mode_16_64 3
		.amdhsa_dx10_clamp 1
		.amdhsa_ieee_mode 1
		.amdhsa_fp16_overflow 0
		.amdhsa_workgroup_processor_mode 1
		.amdhsa_memory_ordered 1
		.amdhsa_forward_progress 0
		.amdhsa_shared_vgpr_count 0
		.amdhsa_exception_fp_ieee_invalid_op 0
		.amdhsa_exception_fp_denorm_src 0
		.amdhsa_exception_fp_ieee_div_zero 0
		.amdhsa_exception_fp_ieee_overflow 0
		.amdhsa_exception_fp_ieee_underflow 0
		.amdhsa_exception_fp_ieee_inexact 0
		.amdhsa_exception_int_div_zero 0
	.end_amdhsa_kernel
	.section	.text._ZN9rocsparseL18bsrxmvn_4x4_kernelILj128ELj32E21rocsparse_complex_numIdEllS1_IfES2_S2_EEvT3_20rocsparse_direction_NS_24const_host_device_scalarIT1_EES4_PKS4_PKT2_SD_SA_PKT4_PKT5_S8_PT6_21rocsparse_index_base_b,"axG",@progbits,_ZN9rocsparseL18bsrxmvn_4x4_kernelILj128ELj32E21rocsparse_complex_numIdEllS1_IfES2_S2_EEvT3_20rocsparse_direction_NS_24const_host_device_scalarIT1_EES4_PKS4_PKT2_SD_SA_PKT4_PKT5_S8_PT6_21rocsparse_index_base_b,comdat
.Lfunc_end178:
	.size	_ZN9rocsparseL18bsrxmvn_4x4_kernelILj128ELj32E21rocsparse_complex_numIdEllS1_IfES2_S2_EEvT3_20rocsparse_direction_NS_24const_host_device_scalarIT1_EES4_PKS4_PKT2_SD_SA_PKT4_PKT5_S8_PT6_21rocsparse_index_base_b, .Lfunc_end178-_ZN9rocsparseL18bsrxmvn_4x4_kernelILj128ELj32E21rocsparse_complex_numIdEllS1_IfES2_S2_EEvT3_20rocsparse_direction_NS_24const_host_device_scalarIT1_EES4_PKS4_PKT2_SD_SA_PKT4_PKT5_S8_PT6_21rocsparse_index_base_b
                                        ; -- End function
	.section	.AMDGPU.csdata,"",@progbits
; Kernel info:
; codeLenInByte = 12264
; NumSgprs: 20
; NumVgprs: 141
; ScratchSize: 0
; MemoryBound: 0
; FloatMode: 240
; IeeeMode: 1
; LDSByteSize: 2048 bytes/workgroup (compile time only)
; SGPRBlocks: 2
; VGPRBlocks: 17
; NumSGPRsForWavesPerEU: 20
; NumVGPRsForWavesPerEU: 141
; Occupancy: 10
; WaveLimiterHint : 1
; COMPUTE_PGM_RSRC2:SCRATCH_EN: 0
; COMPUTE_PGM_RSRC2:USER_SGPR: 15
; COMPUTE_PGM_RSRC2:TRAP_HANDLER: 0
; COMPUTE_PGM_RSRC2:TGID_X_EN: 1
; COMPUTE_PGM_RSRC2:TGID_Y_EN: 0
; COMPUTE_PGM_RSRC2:TGID_Z_EN: 0
; COMPUTE_PGM_RSRC2:TIDIG_COMP_CNT: 2
	.section	.text._ZN9rocsparseL18bsrxmvn_4x4_kernelILj128ELj64E21rocsparse_complex_numIdEllS1_IfES2_S2_EEvT3_20rocsparse_direction_NS_24const_host_device_scalarIT1_EES4_PKS4_PKT2_SD_SA_PKT4_PKT5_S8_PT6_21rocsparse_index_base_b,"axG",@progbits,_ZN9rocsparseL18bsrxmvn_4x4_kernelILj128ELj64E21rocsparse_complex_numIdEllS1_IfES2_S2_EEvT3_20rocsparse_direction_NS_24const_host_device_scalarIT1_EES4_PKS4_PKT2_SD_SA_PKT4_PKT5_S8_PT6_21rocsparse_index_base_b,comdat
	.globl	_ZN9rocsparseL18bsrxmvn_4x4_kernelILj128ELj64E21rocsparse_complex_numIdEllS1_IfES2_S2_EEvT3_20rocsparse_direction_NS_24const_host_device_scalarIT1_EES4_PKS4_PKT2_SD_SA_PKT4_PKT5_S8_PT6_21rocsparse_index_base_b ; -- Begin function _ZN9rocsparseL18bsrxmvn_4x4_kernelILj128ELj64E21rocsparse_complex_numIdEllS1_IfES2_S2_EEvT3_20rocsparse_direction_NS_24const_host_device_scalarIT1_EES4_PKS4_PKT2_SD_SA_PKT4_PKT5_S8_PT6_21rocsparse_index_base_b
	.p2align	8
	.type	_ZN9rocsparseL18bsrxmvn_4x4_kernelILj128ELj64E21rocsparse_complex_numIdEllS1_IfES2_S2_EEvT3_20rocsparse_direction_NS_24const_host_device_scalarIT1_EES4_PKS4_PKT2_SD_SA_PKT4_PKT5_S8_PT6_21rocsparse_index_base_b,@function
_ZN9rocsparseL18bsrxmvn_4x4_kernelILj128ELj64E21rocsparse_complex_numIdEllS1_IfES2_S2_EEvT3_20rocsparse_direction_NS_24const_host_device_scalarIT1_EES4_PKS4_PKT2_SD_SA_PKT4_PKT5_S8_PT6_21rocsparse_index_base_b: ; @_ZN9rocsparseL18bsrxmvn_4x4_kernelILj128ELj64E21rocsparse_complex_numIdEllS1_IfES2_S2_EEvT3_20rocsparse_direction_NS_24const_host_device_scalarIT1_EES4_PKS4_PKT2_SD_SA_PKT4_PKT5_S8_PT6_21rocsparse_index_base_b
; %bb.0:
	s_load_b64 s[12:13], s[2:3], 0x70
	s_load_b64 s[16:17], s[0:1], 0x4
	s_load_b128 s[8:11], s[2:3], 0x10
	v_bfe_u32 v1, v0, 10, 10
	s_mov_b64 s[0:1], src_shared_base
	s_load_b128 s[4:7], s[2:3], 0x58
	v_and_b32_e32 v2, 0x3ff, v0
	v_bfe_u32 v0, v0, 20, 10
	s_waitcnt lgkmcnt(0)
	s_bitcmp1_b32 s13, 0
	v_mul_u32_u24_e32 v1, s17, v1
	v_mov_b32_e32 v3, s8
	s_cselect_b32 s0, -1, 0
	v_mov_b32_e32 v23, s11
	s_and_b32 vcc_lo, s0, exec_lo
	s_cselect_b32 s13, s1, s9
	s_lshr_b32 s14, s16, 16
	v_dual_mov_b32 v6, s5 :: v_dual_mov_b32 v5, s4
	s_mul_i32 s14, s14, s17
	v_mov_b32_e32 v8, s13
	v_mad_u32_u24 v1, s14, v2, v1
	v_mov_b32_e32 v22, s10
	s_xor_b32 s10, s0, -1
	v_mov_b32_e32 v4, s9
	s_delay_alu instid0(VALU_DEP_3) | instskip(NEXT) | instid1(VALU_DEP_1)
	v_add_lshl_u32 v0, v1, v0, 3
	v_add_nc_u32_e32 v1, 0x400, v0
	ds_store_2addr_stride64_b64 v0, v[5:6], v[3:4] offset1:2
	v_cndmask_b32_e64 v7, s8, v1, s0
	flat_load_b64 v[20:21], v[7:8]
	s_cbranch_vccnz .LBB179_2
; %bb.1:
	v_dual_mov_b32 v3, s8 :: v_dual_mov_b32 v4, s9
	flat_load_b64 v[22:23], v[3:4] offset:8
.LBB179_2:
	s_and_b32 s8, s0, exec_lo
	s_cselect_b32 s1, s1, s5
	v_cndmask_b32_e64 v0, s4, v0, s0
	v_mov_b32_e32 v1, s1
	v_dual_mov_b32 v19, s7 :: v_dual_mov_b32 v18, s6
	s_and_not1_b32 vcc_lo, exec_lo, s10
	flat_load_b64 v[16:17], v[0:1]
	s_cbranch_vccnz .LBB179_4
; %bb.3:
	v_dual_mov_b32 v0, s4 :: v_dual_mov_b32 v1, s5
	flat_load_b64 v[18:19], v[0:1] offset:8
.LBB179_4:
	s_waitcnt vmcnt(1) lgkmcnt(1)
	v_cmp_eq_f64_e32 vcc_lo, 0, v[20:21]
	v_cmp_eq_f64_e64 s0, 0, v[22:23]
	s_delay_alu instid0(VALU_DEP_1)
	s_and_b32 s4, vcc_lo, s0
	s_mov_b32 s0, -1
	s_and_saveexec_b32 s1, s4
	s_cbranch_execz .LBB179_6
; %bb.5:
	s_waitcnt vmcnt(0) lgkmcnt(0)
	v_cmp_neq_f64_e32 vcc_lo, 1.0, v[16:17]
	v_cmp_neq_f64_e64 s0, 0, v[18:19]
	s_delay_alu instid0(VALU_DEP_1) | instskip(NEXT) | instid1(SALU_CYCLE_1)
	s_or_b32 s0, vcc_lo, s0
	s_or_not1_b32 s0, s0, exec_lo
.LBB179_6:
	s_or_b32 exec_lo, exec_lo, s1
	s_and_saveexec_b32 s1, s0
	s_cbranch_execz .LBB179_12
; %bb.7:
	s_load_b64 s[0:1], s[2:3], 0x28
	v_lshrrev_b32_e32 v0, 6, v2
	v_mov_b32_e32 v1, 0
	s_mov_b32 s4, 0
	s_delay_alu instid0(VALU_DEP_2)
	v_lshl_or_b32 v0, s15, 1, v0
	s_waitcnt lgkmcnt(0)
	s_cmp_lg_u64 s[0:1], 0
	s_cbranch_scc0 .LBB179_13
; %bb.8:
	s_load_b64 s[4:5], s[2:3], 0x20
                                        ; implicit-def: $vgpr24_vgpr25
	s_waitcnt lgkmcnt(0)
	v_cmp_gt_i64_e32 vcc_lo, s[4:5], v[0:1]
	s_mov_b32 s5, 0
	s_mov_b32 s4, 0
	s_and_saveexec_b32 s6, vcc_lo
	s_delay_alu instid0(SALU_CYCLE_1)
	s_xor_b32 s6, exec_lo, s6
                                        ; implicit-def: $sgpr14_sgpr15
	s_cbranch_execz .LBB179_10
; %bb.9:
	v_lshlrev_b64 v[3:4], 3, v[0:1]
	s_mov_b32 s4, exec_lo
	s_mov_b32 s15, 0
	s_delay_alu instid0(VALU_DEP_1) | instskip(NEXT) | instid1(VALU_DEP_2)
	v_add_co_u32 v3, vcc_lo, s0, v3
	v_add_co_ci_u32_e32 v4, vcc_lo, s1, v4, vcc_lo
	global_load_b64 v[3:4], v[3:4], off
	s_waitcnt vmcnt(0)
	v_sub_co_u32 v24, vcc_lo, v3, s12
	v_subrev_co_ci_u32_e32 v25, vcc_lo, 0, v4, vcc_lo
.LBB179_10:
	s_or_b32 exec_lo, exec_lo, s6
	s_delay_alu instid0(SALU_CYCLE_1)
	s_and_b32 vcc_lo, exec_lo, s5
	s_cbranch_vccnz .LBB179_14
.LBB179_11:
	s_and_b32 exec_lo, exec_lo, s4
	s_cbranch_execnz .LBB179_17
.LBB179_12:
	s_nop 0
	s_sendmsg sendmsg(MSG_DEALLOC_VGPRS)
	s_endpgm
.LBB179_13:
                                        ; implicit-def: $vgpr24_vgpr25
                                        ; implicit-def: $sgpr14_sgpr15
	s_cbranch_execz .LBB179_11
.LBB179_14:
	s_load_b64 s[0:1], s[2:3], 0x0
                                        ; implicit-def: $vgpr24_vgpr25
	s_waitcnt lgkmcnt(0)
	v_cmp_gt_i64_e32 vcc_lo, s[0:1], v[0:1]
	s_and_saveexec_b32 s0, vcc_lo
                                        ; implicit-def: $sgpr14_sgpr15
; %bb.15:
	v_dual_mov_b32 v25, v1 :: v_dual_mov_b32 v24, v0
	s_mov_b32 s15, 0
	s_or_b32 s4, s4, exec_lo
; %bb.16:
	s_or_b32 exec_lo, exec_lo, s0
	s_delay_alu instid0(SALU_CYCLE_1)
	s_and_b32 exec_lo, exec_lo, s4
	s_cbranch_execz .LBB179_12
.LBB179_17:
	s_load_b256 s[4:11], s[2:3], 0x30
	v_lshlrev_b64 v[0:1], 3, v[24:25]
	v_and_b32_e32 v50, 63, v2
	s_load_b32 s1, s[2:3], 0x8
	s_waitcnt lgkmcnt(0)
	s_delay_alu instid0(VALU_DEP_2) | instskip(NEXT) | instid1(VALU_DEP_3)
	v_add_co_u32 v3, vcc_lo, s4, v0
	v_add_co_ci_u32_e32 v4, vcc_lo, s5, v1, vcc_lo
	v_add_co_u32 v0, vcc_lo, s6, v0
	v_add_co_ci_u32_e32 v1, vcc_lo, s7, v1, vcc_lo
	s_delay_alu instid0(VALU_DEP_4) | instskip(NEXT) | instid1(VALU_DEP_4)
	v_add_co_u32 v5, vcc_lo, v3, 8
	v_add_co_ci_u32_e32 v6, vcc_lo, 0, v4, vcc_lo
	global_load_b64 v[40:41], v[3:4], off
	s_cmp_eq_u64 s[6:7], 0
	s_load_b64 s[4:5], s[2:3], 0x50
	s_cselect_b32 vcc_lo, -1, 0
	s_cmp_eq_u32 s1, 1
	v_dual_cndmask_b32 v1, v1, v6 :: v_dual_cndmask_b32 v0, v0, v5
	global_load_b64 v[0:1], v[0:1], off
	s_waitcnt vmcnt(1)
	v_sub_co_u32 v2, vcc_lo, v40, s12
	v_subrev_co_ci_u32_e32 v3, vcc_lo, s15, v41, vcc_lo
	s_delay_alu instid0(VALU_DEP_2) | instskip(NEXT) | instid1(VALU_DEP_2)
	v_add_co_u32 v8, vcc_lo, v2, v50
	v_add_co_ci_u32_e32 v9, vcc_lo, 0, v3, vcc_lo
	s_waitcnt vmcnt(0)
	v_sub_co_u32 v10, vcc_lo, v0, s12
	v_subrev_co_ci_u32_e32 v11, vcc_lo, s15, v1, vcc_lo
	s_delay_alu instid0(VALU_DEP_3) | instskip(NEXT) | instid1(VALU_DEP_2)
	v_lshlrev_b64 v[0:1], 7, v[8:9]
	v_cmp_lt_i64_e64 s0, v[8:9], v[10:11]
	s_delay_alu instid0(VALU_DEP_2) | instskip(NEXT) | instid1(VALU_DEP_3)
	v_add_co_u32 v12, vcc_lo, s10, v0
	v_add_co_ci_u32_e32 v13, vcc_lo, s11, v1, vcc_lo
	s_cbranch_scc1 .LBB179_29
; %bb.18:
	v_mov_b32_e32 v14, 0
	v_mov_b32_e32 v15, 0
	s_delay_alu instid0(VALU_DEP_1)
	v_dual_mov_b32 v31, v15 :: v_dual_mov_b32 v30, v14
	v_dual_mov_b32 v29, v15 :: v_dual_mov_b32 v28, v14
	;; [unrolled: 1-line block ×7, first 2 shown]
	s_and_saveexec_b32 s6, s0
	s_cbranch_execz .LBB179_28
; %bb.19:
	v_or_b32_e32 v0, 64, v50
	v_not_b32_e32 v3, v40
	v_not_b32_e32 v2, v41
	v_dual_mov_b32 v26, 0 :: v_dual_mov_b32 v43, v13
	s_delay_alu instid0(VALU_DEP_4) | instskip(NEXT) | instid1(VALU_DEP_1)
	v_sub_co_u32 v0, s1, v0, s12
	v_sub_co_ci_u32_e64 v1, null, 0, s15, s1
	v_sub_co_u32 v4, s1, s12, v50
	s_delay_alu instid0(VALU_DEP_3) | instskip(NEXT) | instid1(VALU_DEP_3)
	v_add_co_u32 v0, vcc_lo, v0, v40
	v_add_co_ci_u32_e32 v1, vcc_lo, v1, v41, vcc_lo
	v_sub_co_ci_u32_e64 v5, null, s15, 0, s1
	s_mov_b32 s10, 0
	s_delay_alu instid0(VALU_DEP_2)
	v_cmp_gt_i64_e32 vcc_lo, v[0:1], v[10:11]
	s_mov_b32 s7, exec_lo
	v_dual_mov_b32 v45, v9 :: v_dual_mov_b32 v44, v8
	v_dual_cndmask_b32 v1, v11, v1 :: v_dual_cndmask_b32 v0, v10, v0
	v_add_co_u32 v3, vcc_lo, v4, v3
	v_add_co_ci_u32_e32 v2, vcc_lo, v5, v2, vcc_lo
	s_delay_alu instid0(VALU_DEP_2) | instskip(NEXT) | instid1(VALU_DEP_2)
	v_add_co_u32 v0, vcc_lo, v3, v0
	v_add_co_ci_u32_e32 v1, vcc_lo, v2, v1, vcc_lo
	s_delay_alu instid0(VALU_DEP_2) | instskip(NEXT) | instid1(VALU_DEP_1)
	v_lshrrev_b32_e32 v2, 6, v0
	v_dual_mov_b32 v27, 0 :: v_dual_add_nc_u32 v2, 1, v2
	s_delay_alu instid0(VALU_DEP_1)
	v_dual_mov_b32 v42, v12 :: v_dual_mov_b32 v33, v27
	v_dual_mov_b32 v32, v26 :: v_dual_mov_b32 v39, v27
	;; [unrolled: 1-line block ×5, first 2 shown]
	v_dual_mov_b32 v29, v27 :: v_dual_and_b32 v2, 3, v2
	v_mov_b32_e32 v30, v26
	v_mov_b32_e32 v14, v26
	v_dual_mov_b32 v28, v26 :: v_dual_mov_b32 v15, v27
	s_delay_alu instid0(VALU_DEP_4)
	v_cmpx_ne_u32_e32 0, v2
	s_cbranch_execz .LBB179_23
; %bb.20:
	v_lshlrev_b64 v[4:5], 3, v[8:9]
	v_dual_mov_b32 v3, 0 :: v_dual_mov_b32 v14, 0
	v_dual_mov_b32 v15, 0 :: v_dual_lshlrev_b32 v2, 3, v2
	v_dual_mov_b32 v45, v9 :: v_dual_mov_b32 v44, v8
	s_delay_alu instid0(VALU_DEP_4)
	v_add_co_u32 v4, vcc_lo, s8, v4
	v_add_co_ci_u32_e32 v5, vcc_lo, s9, v5, vcc_lo
	v_dual_mov_b32 v43, v13 :: v_dual_mov_b32 v42, v12
	v_dual_mov_b32 v31, v15 :: v_dual_mov_b32 v30, v14
	v_dual_mov_b32 v29, v15 :: v_dual_mov_b32 v28, v14
	v_dual_mov_b32 v37, v15 :: v_dual_mov_b32 v36, v14
	v_dual_mov_b32 v35, v15 :: v_dual_mov_b32 v34, v14
	v_dual_mov_b32 v39, v15 :: v_dual_mov_b32 v38, v14
	v_dual_mov_b32 v33, v15 :: v_dual_mov_b32 v32, v14
	v_dual_mov_b32 v27, v15 :: v_dual_mov_b32 v26, v14
.LBB179_21:                             ; =>This Inner Loop Header: Depth=1
	global_load_b64 v[6:7], v[4:5], off
	s_clause 0x7
	global_load_b128 v[46:49], v[42:43], off
	global_load_b128 v[51:54], v[42:43], off offset:32
	global_load_b128 v[55:58], v[42:43], off offset:64
	global_load_b128 v[59:62], v[42:43], off offset:96
	global_load_b128 v[63:66], v[42:43], off offset:48
	global_load_b128 v[67:70], v[42:43], off offset:16
	global_load_b128 v[71:74], v[42:43], off offset:112
	global_load_b128 v[75:78], v[42:43], off offset:80
	v_add_co_u32 v4, s1, 0x200, v4
	s_delay_alu instid0(VALU_DEP_1)
	v_add_co_ci_u32_e64 v5, s1, 0, v5, s1
	s_waitcnt vmcnt(8)
	v_sub_co_u32 v6, vcc_lo, v6, s12
	v_subrev_co_ci_u32_e32 v7, vcc_lo, s15, v7, vcc_lo
	s_waitcnt vmcnt(6)
	v_cvt_f64_f32_e32 v[95:96], v51
	v_cvt_f64_f32_e32 v[51:52], v52
	s_waitcnt vmcnt(5)
	v_cvt_f64_f32_e32 v[97:98], v55
	v_lshlrev_b64 v[6:7], 6, v[6:7]
	v_cvt_f64_f32_e32 v[55:56], v56
	s_waitcnt vmcnt(4)
	v_cvt_f64_f32_e32 v[99:100], v59
	v_cvt_f64_f32_e32 v[59:60], v60
	;; [unrolled: 1-line block ×4, first 2 shown]
	s_waitcnt lgkmcnt(0)
	v_add_co_u32 v6, vcc_lo, s4, v6
	v_add_co_ci_u32_e32 v7, vcc_lo, s5, v7, vcc_lo
	v_cvt_f64_f32_e32 v[103:104], v57
	v_cvt_f64_f32_e32 v[57:58], v58
	;; [unrolled: 1-line block ×3, first 2 shown]
	s_clause 0x3
	global_load_b128 v[79:82], v[6:7], off
	global_load_b128 v[83:86], v[6:7], off offset:16
	global_load_b128 v[87:90], v[6:7], off offset:32
	;; [unrolled: 1-line block ×3, first 2 shown]
	v_cvt_f64_f32_e32 v[6:7], v46
	v_cvt_f64_f32_e32 v[46:47], v47
	;; [unrolled: 1-line block ×3, first 2 shown]
	v_add_co_u32 v42, vcc_lo, 0x2000, v42
	v_add_co_ci_u32_e32 v43, vcc_lo, 0, v43, vcc_lo
	v_add_co_u32 v2, vcc_lo, v2, -8
	v_add_co_ci_u32_e32 v3, vcc_lo, -1, v3, vcc_lo
	v_add_co_u32 v44, vcc_lo, v44, 64
	v_add_co_ci_u32_e32 v45, vcc_lo, 0, v45, vcc_lo
	s_delay_alu instid0(VALU_DEP_3)
	v_cmp_eq_u64_e32 vcc_lo, 0, v[2:3]
	s_or_b32 s10, vcc_lo, s10
	s_waitcnt vmcnt(3)
	v_fma_f64 v[30:31], v[6:7], v[79:80], v[30:31]
	v_fma_f64 v[14:15], v[46:47], v[79:80], v[14:15]
	;; [unrolled: 1-line block ×8, first 2 shown]
	v_cvt_f64_f32_e32 v[79:80], v48
	v_cvt_f64_f32_e32 v[48:49], v49
	v_fma_f64 v[30:31], -v[46:47], v[81:82], v[30:31]
	v_fma_f64 v[6:7], v[6:7], v[81:82], v[14:15]
	v_fma_f64 v[14:15], -v[51:52], v[81:82], v[36:37]
	v_fma_f64 v[28:29], v[95:96], v[81:82], v[28:29]
	;; [unrolled: 2-line block ×4, first 2 shown]
	v_cvt_f64_f32_e32 v[38:39], v67
	v_cvt_f64_f32_e32 v[46:47], v68
	v_cvt_f64_f32_e32 v[51:52], v63
	v_cvt_f64_f32_e32 v[55:56], v64
	v_cvt_f64_f32_e32 v[59:60], v75
	v_cvt_f64_f32_e32 v[63:64], v76
	v_cvt_f64_f32_e32 v[67:68], v71
	v_cvt_f64_f32_e32 v[71:72], v72
	v_cvt_f64_f32_e32 v[75:76], v73
	v_cvt_f64_f32_e32 v[73:74], v74
	s_waitcnt vmcnt(2)
	v_fma_f64 v[30:31], v[79:80], v[83:84], v[30:31]
	v_fma_f64 v[6:7], v[48:49], v[83:84], v[6:7]
	;; [unrolled: 1-line block ×8, first 2 shown]
	v_fma_f64 v[30:31], -v[48:49], v[85:86], v[30:31]
	v_fma_f64 v[6:7], v[79:80], v[85:86], v[6:7]
	v_fma_f64 v[14:15], -v[53:54], v[85:86], v[14:15]
	v_fma_f64 v[28:29], v[101:102], v[85:86], v[28:29]
	;; [unrolled: 2-line block ×4, first 2 shown]
	v_cvt_f64_f32_e32 v[48:49], v69
	v_cvt_f64_f32_e32 v[53:54], v70
	;; [unrolled: 1-line block ×6, first 2 shown]
	s_waitcnt vmcnt(1)
	v_fma_f64 v[30:31], v[38:39], v[87:88], v[30:31]
	v_fma_f64 v[6:7], v[46:47], v[87:88], v[6:7]
	;; [unrolled: 1-line block ×8, first 2 shown]
	v_fma_f64 v[30:31], -v[46:47], v[89:90], v[30:31]
	v_fma_f64 v[6:7], v[38:39], v[89:90], v[6:7]
	v_fma_f64 v[14:15], -v[55:56], v[89:90], v[14:15]
	v_fma_f64 v[28:29], v[51:52], v[89:90], v[28:29]
	;; [unrolled: 2-line block ×4, first 2 shown]
	s_waitcnt vmcnt(0)
	v_fma_f64 v[30:31], v[48:49], v[91:92], v[30:31]
	v_fma_f64 v[6:7], v[53:54], v[91:92], v[6:7]
	;; [unrolled: 1-line block ×8, first 2 shown]
	v_fma_f64 v[30:31], -v[53:54], v[93:94], v[30:31]
	v_fma_f64 v[14:15], v[48:49], v[93:94], v[6:7]
	v_fma_f64 v[36:37], -v[61:62], v[93:94], v[38:39]
	v_fma_f64 v[28:29], v[57:58], v[93:94], v[28:29]
	;; [unrolled: 2-line block ×4, first 2 shown]
	s_and_not1_b32 exec_lo, exec_lo, s10
	s_cbranch_execnz .LBB179_21
; %bb.22:
	s_or_b32 exec_lo, exec_lo, s10
.LBB179_23:
	s_delay_alu instid0(SALU_CYCLE_1) | instskip(NEXT) | instid1(SALU_CYCLE_1)
	s_or_b32 exec_lo, exec_lo, s7
	s_mov_b32 s7, exec_lo
	v_cmpx_lt_u64_e32 0xbf, v[0:1]
	s_cbranch_execz .LBB179_27
; %bb.24:
	v_lshlrev_b64 v[0:1], 3, v[44:45]
	s_mov_b32 s10, 0
	s_delay_alu instid0(VALU_DEP_1) | instskip(NEXT) | instid1(VALU_DEP_2)
	v_add_co_u32 v0, vcc_lo, v0, s8
	v_add_co_ci_u32_e32 v1, vcc_lo, s9, v1, vcc_lo
	s_delay_alu instid0(VALU_DEP_2) | instskip(NEXT) | instid1(VALU_DEP_2)
	v_add_co_u32 v46, vcc_lo, 0x400, v0
	v_add_co_ci_u32_e32 v47, vcc_lo, 0, v1, vcc_lo
.LBB179_25:                             ; =>This Inner Loop Header: Depth=1
	global_load_b64 v[48:49], v[46:47], off offset:-1024
	s_clause 0x3
	global_load_b128 v[4:7], v[42:43], off
	global_load_b128 v[0:3], v[42:43], off offset:32
	global_load_b128 v[51:54], v[42:43], off offset:64
	;; [unrolled: 1-line block ×3, first 2 shown]
	s_clause 0x2
	global_load_b64 v[107:108], v[46:47], off offset:-512
	global_load_b64 v[111:112], v[46:47], off
	global_load_b64 v[113:114], v[46:47], off offset:512
	s_waitcnt vmcnt(7)
	v_sub_co_u32 v48, vcc_lo, v48, s12
	v_subrev_co_ci_u32_e32 v49, vcc_lo, s15, v49, vcc_lo
	s_waitcnt vmcnt(6)
	v_cvt_f64_f32_e32 v[115:116], v4
	v_cvt_f64_f32_e32 v[4:5], v5
	s_waitcnt vmcnt(5)
	v_cvt_f64_f32_e32 v[117:118], v0
	v_lshlrev_b64 v[48:49], 6, v[48:49]
	v_cvt_f64_f32_e32 v[0:1], v1
	s_waitcnt vmcnt(4)
	v_cvt_f64_f32_e32 v[119:120], v51
	v_cvt_f64_f32_e32 v[51:52], v52
	s_waitcnt vmcnt(3)
	v_cvt_f64_f32_e32 v[121:122], v55
	v_cvt_f64_f32_e32 v[55:56], v56
	s_waitcnt lgkmcnt(0)
	v_add_co_u32 v48, vcc_lo, s4, v48
	v_add_co_ci_u32_e32 v49, vcc_lo, s5, v49, vcc_lo
	v_cvt_f64_f32_e32 v[125:126], v7
	v_cvt_f64_f32_e32 v[127:128], v2
	v_cvt_f64_f32_e32 v[129:130], v3
	s_clause 0x1
	global_load_b128 v[59:62], v[48:49], off
	global_load_b128 v[63:66], v[48:49], off offset:16
	s_clause 0x3
	global_load_b128 v[67:70], v[42:43], off offset:16
	global_load_b128 v[71:74], v[42:43], off offset:48
	;; [unrolled: 1-line block ×4, first 2 shown]
	s_clause 0x1
	global_load_b128 v[83:86], v[48:49], off offset:32
	global_load_b128 v[87:90], v[48:49], off offset:48
	v_add_co_u32 v48, vcc_lo, 0x2000, v42
	v_add_co_ci_u32_e32 v49, vcc_lo, 0, v43, vcc_lo
	s_waitcnt vmcnt(10)
	v_sub_co_u32 v107, vcc_lo, v107, s12
	s_clause 0x3
	global_load_b128 v[91:94], v[48:49], off
	global_load_b128 v[95:98], v[48:49], off offset:32
	global_load_b128 v[99:102], v[48:49], off offset:64
	;; [unrolled: 1-line block ×3, first 2 shown]
	v_subrev_co_ci_u32_e32 v108, vcc_lo, s15, v108, vcc_lo
	v_cvt_f64_f32_e32 v[131:132], v53
	v_cvt_f64_f32_e32 v[53:54], v54
	;; [unrolled: 1-line block ×3, first 2 shown]
	s_delay_alu instid0(VALU_DEP_4) | instskip(SKIP_1) | instid1(VALU_DEP_2)
	v_lshlrev_b64 v[107:108], 6, v[107:108]
	v_cvt_f64_f32_e32 v[57:58], v58
	v_add_co_u32 v123, vcc_lo, s4, v107
	s_delay_alu instid0(VALU_DEP_3)
	v_add_co_ci_u32_e32 v124, vcc_lo, s5, v108, vcc_lo
	global_load_b128 v[107:110], v[123:124], off
	s_waitcnt vmcnt(12)
	v_fma_f64 v[30:31], v[115:116], v[59:60], v[30:31]
	v_fma_f64 v[14:15], v[4:5], v[59:60], v[14:15]
	;; [unrolled: 1-line block ×8, first 2 shown]
	v_cvt_f64_f32_e32 v[59:60], v6
	s_waitcnt vmcnt(7)
	v_cvt_f64_f32_e32 v[135:136], v79
	v_cvt_f64_f32_e32 v[79:80], v80
	v_fma_f64 v[4:5], -v[4:5], v[61:62], v[30:31]
	v_fma_f64 v[6:7], v[115:116], v[61:62], v[14:15]
	v_fma_f64 v[14:15], -v[0:1], v[61:62], v[36:37]
	global_load_b128 v[0:3], v[123:124], off offset:16
	v_fma_f64 v[28:29], v[117:118], v[61:62], v[28:29]
	v_fma_f64 v[30:31], -v[51:52], v[61:62], v[38:39]
	v_fma_f64 v[34:35], v[119:120], v[61:62], v[34:35]
	v_fma_f64 v[26:27], -v[55:56], v[61:62], v[26:27]
	v_fma_f64 v[32:33], v[121:122], v[61:62], v[32:33]
	v_cvt_f64_f32_e32 v[119:120], v71
	v_cvt_f64_f32_e32 v[71:72], v72
	;; [unrolled: 1-line block ×4, first 2 shown]
	v_fma_f64 v[38:39], v[59:60], v[63:64], v[4:5]
	v_fma_f64 v[51:52], v[125:126], v[63:64], v[6:7]
	;; [unrolled: 1-line block ×8, first 2 shown]
	s_clause 0x3
	global_load_b128 v[4:7], v[48:49], off offset:16
	global_load_b128 v[26:29], v[48:49], off offset:48
	;; [unrolled: 1-line block ×4, first 2 shown]
	v_cvt_f64_f32_e32 v[48:49], v67
	v_cvt_f64_f32_e32 v[67:68], v68
	v_fma_f64 v[38:39], -v[125:126], v[65:66], v[38:39]
	v_fma_f64 v[59:60], v[59:60], v[65:66], v[51:52]
	v_fma_f64 v[14:15], -v[129:130], v[65:66], v[14:15]
	v_cvt_f64_f32_e32 v[125:126], v74
	v_fma_f64 v[55:56], v[127:128], v[65:66], v[55:56]
	v_fma_f64 v[61:62], -v[53:54], v[65:66], v[61:62]
	v_fma_f64 v[115:116], v[131:132], v[65:66], v[115:116]
	v_fma_f64 v[57:58], -v[57:58], v[65:66], v[117:118]
	v_fma_f64 v[63:64], v[133:134], v[65:66], v[63:64]
	global_load_b128 v[51:54], v[123:124], off offset:32
	v_cvt_f64_f32_e32 v[117:118], v73
	v_cvt_f64_f32_e32 v[127:128], v77
	;; [unrolled: 1-line block ×5, first 2 shown]
	s_waitcnt vmcnt(9)
	v_cvt_f64_f32_e32 v[131:132], v95
	v_cvt_f64_f32_e32 v[95:96], v96
	s_waitcnt vmcnt(8)
	v_cvt_f64_f32_e32 v[133:134], v99
	v_cvt_f64_f32_e32 v[99:100], v100
	v_fma_f64 v[38:39], v[48:49], v[83:84], v[38:39]
	v_fma_f64 v[59:60], v[67:68], v[83:84], v[59:60]
	;; [unrolled: 1-line block ×8, first 2 shown]
	v_cvt_f64_f32_e32 v[83:84], v69
	v_cvt_f64_f32_e32 v[115:116], v70
	v_fma_f64 v[38:39], -v[67:68], v[85:86], v[38:39]
	v_fma_f64 v[48:49], v[48:49], v[85:86], v[59:60]
	v_fma_f64 v[14:15], -v[71:72], v[85:86], v[14:15]
	v_fma_f64 v[59:60], v[119:120], v[85:86], v[55:56]
	;; [unrolled: 2-line block ×3, first 2 shown]
	v_fma_f64 v[67:68], -v[79:80], v[85:86], v[57:58]
	global_load_b128 v[55:58], v[123:124], off offset:48
	v_fma_f64 v[63:64], v[135:136], v[85:86], v[63:64]
	v_add_co_u32 v119, vcc_lo, 0x4000, v42
	v_add_co_ci_u32_e32 v120, vcc_lo, 0, v43, vcc_lo
	v_cvt_f64_f32_e32 v[123:124], v91
	v_cvt_f64_f32_e32 v[91:92], v92
	s_waitcnt vmcnt(8)
	v_cvt_f64_f32_e32 v[135:136], v103
	v_cvt_f64_f32_e32 v[103:104], v104
	v_sub_co_u32 v111, vcc_lo, v111, s12
	v_subrev_co_ci_u32_e32 v112, vcc_lo, s15, v112, vcc_lo
	v_fma_f64 v[38:39], v[83:84], v[87:88], v[38:39]
	v_fma_f64 v[48:49], v[115:116], v[87:88], v[48:49]
	v_fma_f64 v[14:15], v[117:118], v[87:88], v[14:15]
	v_fma_f64 v[75:76], v[125:126], v[87:88], v[59:60]
	v_fma_f64 v[79:80], v[127:128], v[87:88], v[61:62]
	v_fma_f64 v[85:86], v[77:78], v[87:88], v[65:66]
	v_fma_f64 v[121:122], v[129:130], v[87:88], v[67:68]
	v_fma_f64 v[87:88], v[81:82], v[87:88], v[63:64]
	s_clause 0x3
	global_load_b128 v[59:62], v[119:120], off
	global_load_b128 v[63:66], v[119:120], off offset:32
	global_load_b128 v[67:70], v[119:120], off offset:64
	;; [unrolled: 1-line block ×3, first 2 shown]
	v_fma_f64 v[38:39], -v[115:116], v[89:90], v[38:39]
	v_fma_f64 v[48:49], v[83:84], v[89:90], v[48:49]
	v_fma_f64 v[14:15], -v[125:126], v[89:90], v[14:15]
	v_cvt_f64_f32_e32 v[115:116], v94
	v_fma_f64 v[83:84], v[117:118], v[89:90], v[75:76]
	v_fma_f64 v[79:80], -v[77:78], v[89:90], v[79:80]
	v_fma_f64 v[85:86], v[127:128], v[89:90], v[85:86]
	v_fma_f64 v[81:82], -v[81:82], v[89:90], v[121:122]
	v_lshlrev_b64 v[75:76], 6, v[111:112]
	v_fma_f64 v[87:88], v[129:130], v[89:90], v[87:88]
	v_cvt_f64_f32_e32 v[117:118], v97
	v_cvt_f64_f32_e32 v[121:122], v98
	;; [unrolled: 1-line block ×4, first 2 shown]
	v_add_co_u32 v111, vcc_lo, s4, v75
	v_add_co_ci_u32_e32 v112, vcc_lo, s5, v76, vcc_lo
	v_cvt_f64_f32_e32 v[127:128], v105
	v_cvt_f64_f32_e32 v[105:106], v106
	global_load_b128 v[75:78], v[111:112], off
	s_waitcnt vmcnt(12)
	v_fma_f64 v[38:39], v[123:124], v[107:108], v[38:39]
	v_fma_f64 v[48:49], v[91:92], v[107:108], v[48:49]
	v_fma_f64 v[14:15], v[131:132], v[107:108], v[14:15]
	v_fma_f64 v[83:84], v[95:96], v[107:108], v[83:84]
	v_fma_f64 v[79:80], v[133:134], v[107:108], v[79:80]
	v_fma_f64 v[85:86], v[99:100], v[107:108], v[85:86]
	v_fma_f64 v[81:82], v[135:136], v[107:108], v[81:82]
	v_fma_f64 v[87:88], v[103:104], v[107:108], v[87:88]
	v_cvt_f64_f32_e32 v[107:108], v93
	v_fma_f64 v[38:39], -v[91:92], v[109:110], v[38:39]
	v_fma_f64 v[48:49], v[123:124], v[109:110], v[48:49]
	v_fma_f64 v[14:15], -v[95:96], v[109:110], v[14:15]
	v_fma_f64 v[83:84], v[131:132], v[109:110], v[83:84]
	;; [unrolled: 2-line block ×3, first 2 shown]
	v_fma_f64 v[91:92], -v[103:104], v[109:110], v[81:82]
	global_load_b128 v[79:82], v[111:112], off offset:16
	v_fma_f64 v[87:88], v[135:136], v[109:110], v[87:88]
	s_waitcnt vmcnt(12)
	v_fma_f64 v[38:39], v[107:108], v[0:1], v[38:39]
	v_fma_f64 v[48:49], v[115:116], v[0:1], v[48:49]
	;; [unrolled: 1-line block ×8, first 2 shown]
	s_clause 0x3
	global_load_b128 v[83:86], v[119:120], off offset:16
	global_load_b128 v[87:90], v[119:120], off offset:48
	;; [unrolled: 1-line block ×4, first 2 shown]
	s_waitcnt vmcnt(15)
	v_cvt_f64_f32_e32 v[119:120], v4
	v_cvt_f64_f32_e32 v[4:5], v5
	s_waitcnt vmcnt(14)
	v_cvt_f64_f32_e32 v[129:130], v26
	v_cvt_f64_f32_e32 v[26:27], v27
	;; [unrolled: 3-line block ×4, first 2 shown]
	v_fma_f64 v[38:39], -v[115:116], v[2:3], v[38:39]
	v_fma_f64 v[48:49], v[107:108], v[2:3], v[48:49]
	v_fma_f64 v[14:15], -v[121:122], v[2:3], v[14:15]
	v_cvt_f64_f32_e32 v[115:116], v28
	v_fma_f64 v[99:100], v[117:118], v[2:3], v[99:100]
	v_fma_f64 v[101:102], -v[101:102], v[2:3], v[103:104]
	v_fma_f64 v[103:104], v[125:126], v[2:3], v[109:110]
	v_fma_f64 v[105:106], -v[105:106], v[2:3], v[123:124]
	v_cvt_f64_f32_e32 v[109:110], v7
	v_fma_f64 v[107:108], v[127:128], v[2:3], v[0:1]
	global_load_b128 v[0:3], v[111:112], off offset:32
	v_cvt_f64_f32_e32 v[117:118], v29
	v_cvt_f64_f32_e32 v[121:122], v32
	;; [unrolled: 1-line block ×5, first 2 shown]
	s_waitcnt vmcnt(12)
	v_fma_f64 v[38:39], v[119:120], v[51:52], v[38:39]
	v_fma_f64 v[48:49], v[4:5], v[51:52], v[48:49]
	v_fma_f64 v[14:15], v[129:130], v[51:52], v[14:15]
	v_fma_f64 v[99:100], v[26:27], v[51:52], v[99:100]
	v_fma_f64 v[101:102], v[131:132], v[51:52], v[101:102]
	v_fma_f64 v[103:104], v[30:31], v[51:52], v[103:104]
	v_fma_f64 v[105:106], v[133:134], v[51:52], v[105:106]
	v_fma_f64 v[51:52], v[34:35], v[51:52], v[107:108]
	v_cvt_f64_f32_e32 v[107:108], v6
	v_fma_f64 v[28:29], -v[4:5], v[53:54], v[38:39]
	global_load_b128 v[4:7], v[111:112], off offset:48
	v_fma_f64 v[32:33], v[119:120], v[53:54], v[48:49]
	v_fma_f64 v[14:15], -v[26:27], v[53:54], v[14:15]
	v_fma_f64 v[26:27], v[129:130], v[53:54], v[99:100]
	v_fma_f64 v[30:31], -v[30:31], v[53:54], v[101:102]
	;; [unrolled: 2-line block ×3, first 2 shown]
	v_add_co_u32 v48, vcc_lo, 0x6000, v42
	v_fma_f64 v[38:39], v[133:134], v[53:54], v[51:52]
	v_add_co_ci_u32_e32 v49, vcc_lo, 0, v43, vcc_lo
	v_add_co_u32 v42, s1, 0x8000, v42
	s_delay_alu instid0(VALU_DEP_1)
	v_add_co_ci_u32_e64 v43, s1, 0, v43, s1
	s_waitcnt vmcnt(12)
	v_fma_f64 v[99:100], v[107:108], v[55:56], v[28:29]
	v_fma_f64 v[101:102], v[109:110], v[55:56], v[32:33]
	;; [unrolled: 1-line block ×7, first 2 shown]
	s_clause 0x3
	global_load_b128 v[26:29], v[48:49], off
	global_load_b128 v[30:33], v[48:49], off offset:32
	global_load_b128 v[34:37], v[48:49], off offset:64
	;; [unrolled: 1-line block ×3, first 2 shown]
	v_fma_f64 v[38:39], v[127:128], v[55:56], v[38:39]
	v_sub_co_u32 v55, vcc_lo, v113, s12
	v_subrev_co_ci_u32_e32 v56, vcc_lo, s15, v114, vcc_lo
	s_delay_alu instid0(VALU_DEP_1)
	v_lshlrev_b64 v[55:56], 6, v[55:56]
	s_waitcnt vmcnt(15)
	v_cvt_f64_f32_e32 v[129:130], v59
	v_cvt_f64_f32_e32 v[59:60], v60
	s_waitcnt vmcnt(14)
	v_cvt_f64_f32_e32 v[131:132], v63
	v_cvt_f64_f32_e32 v[63:64], v64
	;; [unrolled: 3-line block ×4, first 2 shown]
	v_cvt_f64_f32_e32 v[113:114], v61
	v_fma_f64 v[99:100], -v[109:110], v[57:58], v[99:100]
	v_fma_f64 v[101:102], v[107:108], v[57:58], v[101:102]
	v_fma_f64 v[14:15], -v[117:118], v[57:58], v[14:15]
	v_fma_f64 v[103:104], v[115:116], v[57:58], v[103:104]
	;; [unrolled: 2-line block ×3, first 2 shown]
	v_fma_f64 v[109:110], -v[127:128], v[57:58], v[119:120]
	v_add_co_u32 v111, vcc_lo, s4, v55
	v_fma_f64 v[38:39], v[125:126], v[57:58], v[38:39]
	v_add_co_ci_u32_e32 v112, vcc_lo, s5, v56, vcc_lo
	v_cvt_f64_f32_e32 v[115:116], v62
	v_cvt_f64_f32_e32 v[117:118], v65
	;; [unrolled: 1-line block ×3, first 2 shown]
	global_load_b128 v[55:58], v[111:112], off
	v_cvt_f64_f32_e32 v[121:122], v69
	v_cvt_f64_f32_e32 v[123:124], v70
	v_cvt_f64_f32_e32 v[125:126], v73
	v_cvt_f64_f32_e32 v[127:128], v74
	v_add_co_u32 v44, vcc_lo, 0x100, v44
	v_add_co_ci_u32_e32 v45, vcc_lo, 0, v45, vcc_lo
	v_add_co_u32 v46, vcc_lo, 0x800, v46
	v_add_co_ci_u32_e32 v47, vcc_lo, 0, v47, vcc_lo
	s_delay_alu instid0(VALU_DEP_3)
	v_cmp_ge_i64_e32 vcc_lo, v[44:45], v[10:11]
	s_or_b32 s10, vcc_lo, s10
	s_waitcnt vmcnt(12)
	v_fma_f64 v[99:100], v[129:130], v[75:76], v[99:100]
	v_fma_f64 v[101:102], v[59:60], v[75:76], v[101:102]
	;; [unrolled: 1-line block ×8, first 2 shown]
	v_fma_f64 v[65:66], -v[59:60], v[77:78], v[99:100]
	global_load_b128 v[59:62], v[111:112], off offset:16
	v_fma_f64 v[69:70], v[129:130], v[77:78], v[101:102]
	v_fma_f64 v[14:15], -v[63:64], v[77:78], v[14:15]
	v_fma_f64 v[63:64], v[131:132], v[77:78], v[103:104]
	v_fma_f64 v[67:68], -v[67:68], v[77:78], v[105:106]
	;; [unrolled: 2-line block ×3, first 2 shown]
	v_fma_f64 v[38:39], v[135:136], v[77:78], v[38:39]
	s_waitcnt vmcnt(12)
	v_fma_f64 v[99:100], v[113:114], v[79:80], v[65:66]
	v_fma_f64 v[101:102], v[115:116], v[79:80], v[69:70]
	;; [unrolled: 1-line block ×7, first 2 shown]
	s_clause 0x3
	global_load_b128 v[63:66], v[48:49], off offset:16
	global_load_b128 v[67:70], v[48:49], off offset:48
	;; [unrolled: 1-line block ×4, first 2 shown]
	v_fma_f64 v[38:39], v[127:128], v[79:80], v[38:39]
	s_waitcnt vmcnt(15)
	v_cvt_f64_f32_e32 v[48:49], v83
	v_cvt_f64_f32_e32 v[83:84], v84
	s_waitcnt vmcnt(14)
	v_cvt_f64_f32_e32 v[129:130], v87
	v_cvt_f64_f32_e32 v[87:88], v88
	;; [unrolled: 3-line block ×4, first 2 shown]
	v_fma_f64 v[99:100], -v[115:116], v[81:82], v[99:100]
	v_cvt_f64_f32_e32 v[115:116], v93
	v_fma_f64 v[101:102], v[113:114], v[81:82], v[101:102]
	v_fma_f64 v[14:15], -v[119:120], v[81:82], v[14:15]
	v_fma_f64 v[103:104], v[117:118], v[81:82], v[103:104]
	v_fma_f64 v[105:106], -v[123:124], v[81:82], v[105:106]
	;; [unrolled: 2-line block ×3, first 2 shown]
	v_cvt_f64_f32_e32 v[113:114], v89
	v_cvt_f64_f32_e32 v[89:90], v90
	v_fma_f64 v[38:39], v[125:126], v[81:82], v[38:39]
	global_load_b128 v[79:82], v[111:112], off offset:32
	v_cvt_f64_f32_e32 v[93:94], v94
	v_cvt_f64_f32_e32 v[117:118], v97
	;; [unrolled: 1-line block ×3, first 2 shown]
	s_waitcnt vmcnt(12)
	v_fma_f64 v[99:100], v[48:49], v[0:1], v[99:100]
	v_fma_f64 v[101:102], v[83:84], v[0:1], v[101:102]
	;; [unrolled: 1-line block ×8, first 2 shown]
	v_cvt_f64_f32_e32 v[38:39], v85
	v_cvt_f64_f32_e32 v[85:86], v86
	v_fma_f64 v[83:84], -v[83:84], v[2:3], v[99:100]
	v_fma_f64 v[48:49], v[48:49], v[2:3], v[101:102]
	v_fma_f64 v[14:15], -v[87:88], v[2:3], v[14:15]
	v_fma_f64 v[87:88], v[129:130], v[2:3], v[103:104]
	;; [unrolled: 2-line block ×4, first 2 shown]
	global_load_b128 v[0:3], v[111:112], off offset:48
	s_waitcnt vmcnt(12)
	v_fma_f64 v[83:84], v[38:39], v[4:5], v[83:84]
	v_fma_f64 v[48:49], v[85:86], v[4:5], v[48:49]
	;; [unrolled: 1-line block ×8, first 2 shown]
	s_waitcnt vmcnt(11)
	v_cvt_f64_f32_e32 v[101:102], v26
	v_cvt_f64_f32_e32 v[26:27], v27
	s_waitcnt vmcnt(10)
	v_cvt_f64_f32_e32 v[103:104], v30
	v_cvt_f64_f32_e32 v[30:31], v31
	;; [unrolled: 3-line block ×4, first 2 shown]
	v_fma_f64 v[83:84], -v[85:86], v[6:7], v[83:84]
	v_fma_f64 v[38:39], v[38:39], v[6:7], v[48:49]
	v_fma_f64 v[14:15], -v[89:90], v[6:7], v[14:15]
	v_fma_f64 v[48:49], v[113:114], v[6:7], v[87:88]
	;; [unrolled: 2-line block ×3, first 2 shown]
	v_fma_f64 v[89:90], -v[97:98], v[6:7], v[95:96]
	v_cvt_f64_f32_e32 v[91:92], v36
	v_cvt_f64_f32_e32 v[36:37], v37
	v_fma_f64 v[4:5], v[117:118], v[6:7], v[4:5]
	v_cvt_f64_f32_e32 v[93:94], v53
	v_cvt_f64_f32_e32 v[53:54], v54
	s_waitcnt vmcnt(7)
	v_fma_f64 v[6:7], v[101:102], v[55:56], v[83:84]
	v_fma_f64 v[38:39], v[26:27], v[55:56], v[38:39]
	;; [unrolled: 1-line block ×7, first 2 shown]
	v_cvt_f64_f32_e32 v[89:90], v32
	v_cvt_f64_f32_e32 v[32:33], v33
	v_fma_f64 v[4:5], v[51:52], v[55:56], v[4:5]
	v_cvt_f64_f32_e32 v[55:56], v28
	v_cvt_f64_f32_e32 v[28:29], v29
	v_fma_f64 v[6:7], -v[26:27], v[57:58], v[6:7]
	v_fma_f64 v[26:27], v[101:102], v[57:58], v[38:39]
	v_fma_f64 v[14:15], -v[30:31], v[57:58], v[14:15]
	v_fma_f64 v[30:31], v[103:104], v[57:58], v[48:49]
	;; [unrolled: 2-line block ×4, first 2 shown]
	s_waitcnt vmcnt(6)
	v_fma_f64 v[6:7], v[55:56], v[59:60], v[6:7]
	v_fma_f64 v[26:27], v[28:29], v[59:60], v[26:27]
	;; [unrolled: 1-line block ×8, first 2 shown]
	s_waitcnt vmcnt(5)
	v_cvt_f64_f32_e32 v[51:52], v63
	v_cvt_f64_f32_e32 v[57:58], v64
	s_waitcnt vmcnt(4)
	v_cvt_f64_f32_e32 v[59:60], v67
	v_cvt_f64_f32_e32 v[63:64], v68
	;; [unrolled: 3-line block ×4, first 2 shown]
	v_fma_f64 v[6:7], -v[28:29], v[61:62], v[6:7]
	v_fma_f64 v[26:27], v[55:56], v[61:62], v[26:27]
	v_fma_f64 v[14:15], -v[32:33], v[61:62], v[14:15]
	v_fma_f64 v[28:29], v[89:90], v[61:62], v[30:31]
	;; [unrolled: 2-line block ×3, first 2 shown]
	v_fma_f64 v[34:35], -v[53:54], v[61:62], v[48:49]
	v_cvt_f64_f32_e32 v[36:37], v65
	v_cvt_f64_f32_e32 v[38:39], v66
	v_fma_f64 v[4:5], v[93:94], v[61:62], v[4:5]
	v_cvt_f64_f32_e32 v[48:49], v69
	v_cvt_f64_f32_e32 v[53:54], v70
	;; [unrolled: 1-line block ×6, first 2 shown]
	s_waitcnt vmcnt(1)
	v_fma_f64 v[6:7], v[51:52], v[79:80], v[6:7]
	v_fma_f64 v[26:27], v[57:58], v[79:80], v[26:27]
	;; [unrolled: 1-line block ×8, first 2 shown]
	v_fma_f64 v[6:7], -v[57:58], v[81:82], v[6:7]
	v_fma_f64 v[26:27], v[51:52], v[81:82], v[26:27]
	v_fma_f64 v[14:15], -v[63:64], v[81:82], v[14:15]
	v_fma_f64 v[28:29], v[59:60], v[81:82], v[28:29]
	;; [unrolled: 2-line block ×4, first 2 shown]
	s_waitcnt vmcnt(0)
	v_fma_f64 v[6:7], v[36:37], v[0:1], v[6:7]
	v_fma_f64 v[26:27], v[38:39], v[0:1], v[26:27]
	;; [unrolled: 1-line block ×8, first 2 shown]
	v_fma_f64 v[30:31], -v[38:39], v[2:3], v[6:7]
	v_fma_f64 v[14:15], v[36:37], v[2:3], v[26:27]
	v_fma_f64 v[36:37], -v[53:54], v[2:3], v[51:52]
	v_fma_f64 v[28:29], v[48:49], v[2:3], v[28:29]
	;; [unrolled: 2-line block ×4, first 2 shown]
	s_and_not1_b32 exec_lo, exec_lo, s10
	s_cbranch_execnz .LBB179_25
; %bb.26:
	s_or_b32 exec_lo, exec_lo, s10
.LBB179_27:
	s_delay_alu instid0(SALU_CYCLE_1)
	s_or_b32 exec_lo, exec_lo, s7
.LBB179_28:
	s_delay_alu instid0(SALU_CYCLE_1)
	s_or_b32 exec_lo, exec_lo, s6
	s_cbranch_execz .LBB179_30
	s_branch .LBB179_41
.LBB179_29:
                                        ; implicit-def: $vgpr14_vgpr15
                                        ; implicit-def: $vgpr30_vgpr31
                                        ; implicit-def: $vgpr28_vgpr29
                                        ; implicit-def: $vgpr36_vgpr37
                                        ; implicit-def: $vgpr34_vgpr35
                                        ; implicit-def: $vgpr38_vgpr39
                                        ; implicit-def: $vgpr32_vgpr33
                                        ; implicit-def: $vgpr26_vgpr27
.LBB179_30:
	v_mov_b32_e32 v14, 0
	v_mov_b32_e32 v15, 0
	s_delay_alu instid0(VALU_DEP_1)
	v_dual_mov_b32 v31, v15 :: v_dual_mov_b32 v30, v14
	v_dual_mov_b32 v29, v15 :: v_dual_mov_b32 v28, v14
	;; [unrolled: 1-line block ×7, first 2 shown]
	s_and_saveexec_b32 s1, s0
	s_cbranch_execz .LBB179_40
; %bb.31:
	v_or_b32_e32 v0, 64, v50
	v_not_b32_e32 v3, v40
	v_not_b32_e32 v2, v41
	v_mov_b32_e32 v26, 0
	s_mov_b32 s7, 0
	v_sub_co_u32 v0, s0, v0, s12
	s_delay_alu instid0(VALU_DEP_1) | instskip(SKIP_1) | instid1(VALU_DEP_3)
	v_sub_co_ci_u32_e64 v1, null, 0, s15, s0
	v_sub_co_u32 v4, s0, s12, v50
	v_add_co_u32 v0, vcc_lo, v0, v40
	s_delay_alu instid0(VALU_DEP_3) | instskip(SKIP_2) | instid1(VALU_DEP_2)
	v_add_co_ci_u32_e32 v1, vcc_lo, v1, v41, vcc_lo
	v_sub_co_ci_u32_e64 v5, null, s15, 0, s0
	s_mov_b32 s6, exec_lo
	v_cmp_gt_i64_e32 vcc_lo, v[0:1], v[10:11]
	v_dual_cndmask_b32 v1, v11, v1 :: v_dual_cndmask_b32 v0, v10, v0
	v_add_co_u32 v3, vcc_lo, v4, v3
	v_add_co_ci_u32_e32 v2, vcc_lo, v5, v2, vcc_lo
	s_delay_alu instid0(VALU_DEP_2) | instskip(NEXT) | instid1(VALU_DEP_2)
	v_add_co_u32 v0, vcc_lo, v3, v0
	v_add_co_ci_u32_e32 v1, vcc_lo, v2, v1, vcc_lo
	s_delay_alu instid0(VALU_DEP_2) | instskip(NEXT) | instid1(VALU_DEP_1)
	v_lshrrev_b32_e32 v2, 6, v0
	v_dual_mov_b32 v27, 0 :: v_dual_add_nc_u32 v2, 1, v2
	s_delay_alu instid0(VALU_DEP_1) | instskip(SKIP_1) | instid1(VALU_DEP_3)
	v_dual_mov_b32 v14, v26 :: v_dual_mov_b32 v35, v27
	v_dual_mov_b32 v34, v26 :: v_dual_mov_b32 v37, v27
	v_and_b32_e32 v2, 3, v2
	v_dual_mov_b32 v36, v26 :: v_dual_mov_b32 v29, v27
	v_dual_mov_b32 v28, v26 :: v_dual_mov_b32 v31, v27
	;; [unrolled: 1-line block ×5, first 2 shown]
	v_cmpx_ne_u32_e32 0, v2
	s_cbranch_execz .LBB179_35
; %bb.32:
	v_lshlrev_b64 v[4:5], 3, v[8:9]
	v_dual_mov_b32 v3, 0 :: v_dual_mov_b32 v14, 0
	v_dual_mov_b32 v15, 0 :: v_dual_lshlrev_b32 v2, 3, v2
	s_delay_alu instid0(VALU_DEP_3) | instskip(NEXT) | instid1(VALU_DEP_4)
	v_add_co_u32 v4, vcc_lo, s8, v4
	v_add_co_ci_u32_e32 v5, vcc_lo, s9, v5, vcc_lo
	s_delay_alu instid0(VALU_DEP_3)
	v_dual_mov_b32 v31, v15 :: v_dual_mov_b32 v30, v14
	v_dual_mov_b32 v29, v15 :: v_dual_mov_b32 v28, v14
	;; [unrolled: 1-line block ×7, first 2 shown]
.LBB179_33:                             ; =>This Inner Loop Header: Depth=1
	global_load_b64 v[6:7], v[4:5], off
	s_clause 0x1
	global_load_b128 v[40:43], v[12:13], off
	global_load_b128 v[44:47], v[12:13], off offset:16
	v_add_co_u32 v4, s0, 0x200, v4
	s_delay_alu instid0(VALU_DEP_1)
	v_add_co_ci_u32_e64 v5, s0, 0, v5, s0
	s_waitcnt vmcnt(2)
	v_sub_co_u32 v6, vcc_lo, v6, s12
	v_subrev_co_ci_u32_e32 v7, vcc_lo, s15, v7, vcc_lo
	s_waitcnt vmcnt(1)
	v_cvt_f64_f32_e32 v[48:49], v42
	v_cvt_f64_f32_e32 v[42:43], v43
	s_waitcnt vmcnt(0)
	v_cvt_f64_f32_e32 v[91:92], v44
	v_lshlrev_b64 v[6:7], 6, v[6:7]
	v_cvt_f64_f32_e32 v[44:45], v45
	v_cvt_f64_f32_e32 v[93:94], v46
	;; [unrolled: 1-line block ×3, first 2 shown]
	s_waitcnt lgkmcnt(0)
	s_delay_alu instid0(VALU_DEP_4)
	v_add_co_u32 v6, vcc_lo, s4, v6
	v_add_co_ci_u32_e32 v7, vcc_lo, s5, v7, vcc_lo
	s_clause 0x1
	global_load_b128 v[51:54], v[6:7], off
	global_load_b128 v[55:58], v[6:7], off offset:16
	s_clause 0x3
	global_load_b128 v[59:62], v[12:13], off offset:32
	global_load_b128 v[63:66], v[12:13], off offset:48
	;; [unrolled: 1-line block ×4, first 2 shown]
	s_clause 0x1
	global_load_b128 v[75:78], v[6:7], off offset:32
	global_load_b128 v[79:82], v[6:7], off offset:48
	s_clause 0x1
	global_load_b128 v[83:86], v[12:13], off offset:96
	global_load_b128 v[87:90], v[12:13], off offset:112
	v_cvt_f64_f32_e32 v[6:7], v40
	v_cvt_f64_f32_e32 v[40:41], v41
	v_add_co_u32 v12, vcc_lo, 0x2000, v12
	v_add_co_ci_u32_e32 v13, vcc_lo, 0, v13, vcc_lo
	v_add_co_u32 v2, vcc_lo, v2, -8
	v_add_co_ci_u32_e32 v3, vcc_lo, -1, v3, vcc_lo
	v_add_co_u32 v8, vcc_lo, v8, 64
	v_add_co_ci_u32_e32 v9, vcc_lo, 0, v9, vcc_lo
	s_delay_alu instid0(VALU_DEP_3)
	v_cmp_eq_u64_e32 vcc_lo, 0, v[2:3]
	s_or_b32 s7, vcc_lo, s7
	s_waitcnt vmcnt(9)
	v_fma_f64 v[30:31], v[6:7], v[51:52], v[30:31]
	v_fma_f64 v[14:15], v[40:41], v[51:52], v[14:15]
	;; [unrolled: 1-line block ×8, first 2 shown]
	s_waitcnt vmcnt(7)
	v_cvt_f64_f32_e32 v[51:52], v59
	v_cvt_f64_f32_e32 v[59:60], v60
	;; [unrolled: 1-line block ×4, first 2 shown]
	s_waitcnt vmcnt(6)
	v_cvt_f64_f32_e32 v[97:98], v63
	v_cvt_f64_f32_e32 v[63:64], v64
	;; [unrolled: 1-line block ×4, first 2 shown]
	v_fma_f64 v[30:31], -v[40:41], v[53:54], v[30:31]
	v_fma_f64 v[6:7], v[6:7], v[53:54], v[14:15]
	v_fma_f64 v[14:15], -v[42:43], v[53:54], v[36:37]
	v_fma_f64 v[28:29], v[48:49], v[53:54], v[28:29]
	;; [unrolled: 2-line block ×4, first 2 shown]
	s_waitcnt vmcnt(5)
	v_cvt_f64_f32_e32 v[38:39], v67
	v_cvt_f64_f32_e32 v[40:41], v68
	;; [unrolled: 1-line block ×4, first 2 shown]
	s_waitcnt vmcnt(4)
	v_cvt_f64_f32_e32 v[46:47], v71
	v_cvt_f64_f32_e32 v[48:49], v72
	;; [unrolled: 1-line block ×3, first 2 shown]
	s_waitcnt vmcnt(0)
	v_cvt_f64_f32_e32 v[67:68], v89
	v_cvt_f64_f32_e32 v[69:70], v90
	v_fma_f64 v[30:31], v[51:52], v[55:56], v[30:31]
	v_fma_f64 v[6:7], v[59:60], v[55:56], v[6:7]
	;; [unrolled: 1-line block ×8, first 2 shown]
	v_cvt_f64_f32_e32 v[55:56], v74
	v_fma_f64 v[30:31], -v[59:60], v[57:58], v[30:31]
	v_fma_f64 v[6:7], v[51:52], v[57:58], v[6:7]
	v_fma_f64 v[14:15], -v[61:62], v[57:58], v[14:15]
	v_fma_f64 v[28:29], v[95:96], v[57:58], v[28:29]
	;; [unrolled: 2-line block ×4, first 2 shown]
	v_cvt_f64_f32_e32 v[51:52], v83
	v_cvt_f64_f32_e32 v[57:58], v84
	;; [unrolled: 1-line block ×6, first 2 shown]
	v_fma_f64 v[30:31], v[38:39], v[75:76], v[30:31]
	v_fma_f64 v[6:7], v[40:41], v[75:76], v[6:7]
	;; [unrolled: 1-line block ×8, first 2 shown]
	v_fma_f64 v[30:31], -v[40:41], v[77:78], v[30:31]
	v_fma_f64 v[6:7], v[38:39], v[77:78], v[6:7]
	v_fma_f64 v[14:15], -v[44:45], v[77:78], v[14:15]
	v_fma_f64 v[28:29], v[42:43], v[77:78], v[28:29]
	;; [unrolled: 2-line block ×4, first 2 shown]
	v_fma_f64 v[30:31], v[51:52], v[79:80], v[30:31]
	v_fma_f64 v[6:7], v[57:58], v[79:80], v[6:7]
	;; [unrolled: 1-line block ×8, first 2 shown]
	v_fma_f64 v[30:31], -v[57:58], v[81:82], v[30:31]
	v_fma_f64 v[14:15], v[51:52], v[81:82], v[6:7]
	v_fma_f64 v[36:37], -v[61:62], v[81:82], v[38:39]
	v_fma_f64 v[28:29], v[59:60], v[81:82], v[28:29]
	;; [unrolled: 2-line block ×4, first 2 shown]
	s_and_not1_b32 exec_lo, exec_lo, s7
	s_cbranch_execnz .LBB179_33
; %bb.34:
	s_or_b32 exec_lo, exec_lo, s7
.LBB179_35:
	s_delay_alu instid0(SALU_CYCLE_1) | instskip(NEXT) | instid1(SALU_CYCLE_1)
	s_or_b32 exec_lo, exec_lo, s6
	s_mov_b32 s6, exec_lo
	v_cmpx_lt_u64_e32 0xbf, v[0:1]
	s_cbranch_execz .LBB179_39
; %bb.36:
	v_lshlrev_b64 v[0:1], 3, v[8:9]
	s_mov_b32 s7, 0
	s_delay_alu instid0(VALU_DEP_1) | instskip(NEXT) | instid1(VALU_DEP_2)
	v_add_co_u32 v0, vcc_lo, v0, s8
	v_add_co_ci_u32_e32 v1, vcc_lo, s9, v1, vcc_lo
	s_delay_alu instid0(VALU_DEP_2) | instskip(NEXT) | instid1(VALU_DEP_2)
	v_add_co_u32 v40, vcc_lo, 0x400, v0
	v_add_co_ci_u32_e32 v41, vcc_lo, 0, v1, vcc_lo
.LBB179_37:                             ; =>This Inner Loop Header: Depth=1
	global_load_b64 v[42:43], v[40:41], off offset:-1024
	s_clause 0x1
	global_load_b128 v[4:7], v[12:13], off
	global_load_b128 v[0:3], v[12:13], off offset:16
	s_clause 0x2
	global_load_b64 v[91:92], v[40:41], off offset:-512
	global_load_b64 v[93:94], v[40:41], off
	global_load_b64 v[95:96], v[40:41], off offset:512
	s_waitcnt vmcnt(5)
	v_sub_co_u32 v42, vcc_lo, v42, s12
	v_subrev_co_ci_u32_e32 v43, vcc_lo, s15, v43, vcc_lo
	s_waitcnt vmcnt(4)
	v_cvt_f64_f32_e32 v[99:100], v4
	v_cvt_f64_f32_e32 v[101:102], v5
	;; [unrolled: 1-line block ×3, first 2 shown]
	v_lshlrev_b64 v[42:43], 6, v[42:43]
	v_cvt_f64_f32_e32 v[105:106], v7
	s_waitcnt vmcnt(3)
	v_cvt_f64_f32_e32 v[107:108], v0
	v_cvt_f64_f32_e32 v[109:110], v2
	;; [unrolled: 1-line block ×3, first 2 shown]
	s_waitcnt lgkmcnt(0)
	v_add_co_u32 v79, vcc_lo, s4, v42
	v_add_co_ci_u32_e32 v80, vcc_lo, s5, v43, vcc_lo
	v_add_co_u32 v97, vcc_lo, 0x2000, v12
	v_add_co_ci_u32_e32 v98, vcc_lo, 0, v13, vcc_lo
	global_load_b128 v[42:45], v[79:80], off
	s_clause 0x1
	global_load_b128 v[46:49], v[12:13], off offset:32
	global_load_b128 v[51:54], v[12:13], off offset:48
	global_load_b128 v[55:58], v[79:80], off offset:16
	s_clause 0x1
	global_load_b128 v[59:62], v[12:13], off offset:64
	global_load_b128 v[63:66], v[12:13], off offset:80
	global_load_b128 v[67:70], v[79:80], off offset:32
	;; [unrolled: 4-line block ×3, first 2 shown]
	s_waitcnt vmcnt(12)
	v_sub_co_u32 v4, vcc_lo, v91, s12
	s_clause 0x1
	global_load_b128 v[83:86], v[97:98], off
	global_load_b128 v[87:90], v[97:98], off offset:16
	v_subrev_co_ci_u32_e32 v5, vcc_lo, s15, v92, vcc_lo
	v_cvt_f64_f32_e32 v[91:92], v1
	s_delay_alu instid0(VALU_DEP_2) | instskip(NEXT) | instid1(VALU_DEP_1)
	v_lshlrev_b64 v[0:1], 6, v[4:5]
	v_add_co_u32 v113, vcc_lo, s4, v0
	s_delay_alu instid0(VALU_DEP_2)
	v_add_co_ci_u32_e32 v114, vcc_lo, s5, v1, vcc_lo
	s_clause 0x1
	global_load_b128 v[0:3], v[113:114], off
	global_load_b128 v[4:7], v[113:114], off offset:16
	s_waitcnt vmcnt(13)
	v_fma_f64 v[115:116], v[99:100], v[42:43], v[30:31]
	v_fma_f64 v[14:15], v[101:102], v[42:43], v[14:15]
	;; [unrolled: 1-line block ×8, first 2 shown]
	s_clause 0x1
	global_load_b128 v[26:29], v[97:98], off offset:32
	global_load_b128 v[30:33], v[97:98], off offset:48
	s_waitcnt vmcnt(14)
	v_cvt_f64_f32_e32 v[121:122], v46
	v_cvt_f64_f32_e32 v[46:47], v47
	;; [unrolled: 1-line block ×4, first 2 shown]
	s_waitcnt vmcnt(13)
	v_cvt_f64_f32_e32 v[125:126], v51
	v_cvt_f64_f32_e32 v[51:52], v52
	v_cvt_f64_f32_e32 v[127:128], v53
	v_cvt_f64_f32_e32 v[53:54], v54
	v_fma_f64 v[101:102], -v[101:102], v[44:45], v[115:116]
	v_fma_f64 v[14:15], v[99:100], v[44:45], v[14:15]
	v_fma_f64 v[36:37], -v[105:106], v[44:45], v[36:37]
	v_fma_f64 v[99:100], v[103:104], v[44:45], v[117:118]
	;; [unrolled: 2-line block ×4, first 2 shown]
	s_waitcnt vmcnt(11)
	v_cvt_f64_f32_e32 v[107:108], v59
	v_cvt_f64_f32_e32 v[109:110], v60
	;; [unrolled: 1-line block ×4, first 2 shown]
	s_waitcnt vmcnt(10)
	v_cvt_f64_f32_e32 v[117:118], v63
	v_cvt_f64_f32_e32 v[63:64], v64
	;; [unrolled: 1-line block ×4, first 2 shown]
	v_fma_f64 v[101:102], v[121:122], v[55:56], v[101:102]
	v_fma_f64 v[14:15], v[46:47], v[55:56], v[14:15]
	;; [unrolled: 1-line block ×8, first 2 shown]
	s_clause 0x1
	global_load_b128 v[34:37], v[97:98], off offset:64
	global_load_b128 v[42:45], v[97:98], off offset:80
	v_fma_f64 v[59:60], -v[46:47], v[57:58], v[101:102]
	v_fma_f64 v[14:15], v[121:122], v[57:58], v[14:15]
	v_fma_f64 v[61:62], -v[48:49], v[57:58], v[103:104]
	v_fma_f64 v[99:100], v[123:124], v[57:58], v[99:100]
	;; [unrolled: 2-line block ×4, first 2 shown]
	s_clause 0x1
	global_load_b128 v[46:49], v[113:114], off offset:32
	global_load_b128 v[51:54], v[113:114], off offset:48
	s_waitcnt vmcnt(12)
	v_cvt_f64_f32_e32 v[113:114], v73
	v_cvt_f64_f32_e32 v[73:74], v74
	s_waitcnt vmcnt(11)
	v_cvt_f64_f32_e32 v[121:122], v75
	v_cvt_f64_f32_e32 v[75:76], v76
	;; [unrolled: 1-line block ×4, first 2 shown]
	s_waitcnt vmcnt(8)
	v_cvt_f64_f32_e32 v[125:126], v89
	v_cvt_f64_f32_e32 v[89:90], v90
	v_fma_f64 v[103:104], v[107:108], v[67:68], v[59:60]
	v_fma_f64 v[14:15], v[109:110], v[67:68], v[14:15]
	v_fma_f64 v[105:106], v[111:112], v[67:68], v[61:62]
	v_fma_f64 v[99:100], v[115:116], v[67:68], v[99:100]
	v_fma_f64 v[38:39], v[117:118], v[67:68], v[38:39]
	v_fma_f64 v[101:102], v[63:64], v[67:68], v[101:102]
	v_fma_f64 v[91:92], v[119:120], v[67:68], v[91:92]
	v_fma_f64 v[67:68], v[65:66], v[67:68], v[55:56]
	s_clause 0x1
	global_load_b128 v[55:58], v[97:98], off offset:96
	global_load_b128 v[59:62], v[97:98], off offset:112
	v_cvt_f64_f32_e32 v[97:98], v71
	v_cvt_f64_f32_e32 v[71:72], v72
	v_fma_f64 v[103:104], -v[109:110], v[69:70], v[103:104]
	v_fma_f64 v[14:15], v[107:108], v[69:70], v[14:15]
	v_fma_f64 v[105:106], -v[115:116], v[69:70], v[105:106]
	v_fma_f64 v[99:100], v[111:112], v[69:70], v[99:100]
	;; [unrolled: 2-line block ×4, first 2 shown]
	v_add_co_u32 v91, vcc_lo, 0x4000, v12
	v_add_co_ci_u32_e32 v92, vcc_lo, 0, v13, vcc_lo
	v_cvt_f64_f32_e32 v[109:110], v83
	v_cvt_f64_f32_e32 v[111:112], v84
	;; [unrolled: 1-line block ×6, first 2 shown]
	v_sub_co_u32 v93, vcc_lo, v93, s12
	v_subrev_co_ci_u32_e32 v94, vcc_lo, s15, v94, vcc_lo
	v_fma_f64 v[101:102], v[97:98], v[79:80], v[103:104]
	v_fma_f64 v[14:15], v[71:72], v[79:80], v[14:15]
	;; [unrolled: 1-line block ×8, first 2 shown]
	s_clause 0x1
	global_load_b128 v[63:66], v[91:92], off
	global_load_b128 v[67:70], v[91:92], off offset:16
	v_fma_f64 v[83:84], -v[71:72], v[81:82], v[101:102]
	v_fma_f64 v[14:15], v[97:98], v[81:82], v[14:15]
	v_fma_f64 v[85:86], -v[73:74], v[81:82], v[103:104]
	v_fma_f64 v[97:98], v[113:114], v[81:82], v[99:100]
	;; [unrolled: 2-line block ×4, first 2 shown]
	v_lshlrev_b64 v[71:72], 6, v[93:94]
	s_delay_alu instid0(VALU_DEP_1) | instskip(NEXT) | instid1(VALU_DEP_2)
	v_add_co_u32 v93, vcc_lo, s4, v71
	v_add_co_ci_u32_e32 v94, vcc_lo, s5, v72, vcc_lo
	s_clause 0x1
	global_load_b128 v[71:74], v[93:94], off
	global_load_b128 v[75:78], v[93:94], off offset:16
	s_waitcnt vmcnt(13)
	v_fma_f64 v[103:104], v[109:110], v[0:1], v[83:84]
	v_fma_f64 v[14:15], v[111:112], v[0:1], v[14:15]
	;; [unrolled: 1-line block ×8, first 2 shown]
	s_clause 0x1
	global_load_b128 v[79:82], v[91:92], off offset:32
	global_load_b128 v[83:86], v[91:92], off offset:48
	s_waitcnt vmcnt(13)
	v_cvt_f64_f32_e32 v[107:108], v26
	v_cvt_f64_f32_e32 v[113:114], v27
	;; [unrolled: 1-line block ×4, first 2 shown]
	s_waitcnt vmcnt(12)
	v_cvt_f64_f32_e32 v[127:128], v30
	v_cvt_f64_f32_e32 v[30:31], v31
	;; [unrolled: 1-line block ×4, first 2 shown]
	v_fma_f64 v[26:27], -v[111:112], v[2:3], v[103:104]
	v_fma_f64 v[14:15], v[109:110], v[2:3], v[14:15]
	v_fma_f64 v[28:29], -v[117:118], v[2:3], v[105:106]
	v_fma_f64 v[97:98], v[115:116], v[2:3], v[97:98]
	;; [unrolled: 2-line block ×4, first 2 shown]
	v_fma_f64 v[99:100], v[107:108], v[4:5], v[26:27]
	v_fma_f64 v[14:15], v[113:114], v[4:5], v[14:15]
	;; [unrolled: 1-line block ×8, first 2 shown]
	s_clause 0x1
	global_load_b128 v[0:3], v[91:92], off offset:64
	global_load_b128 v[26:29], v[91:92], off offset:80
	s_waitcnt vmcnt(13)
	v_cvt_f64_f32_e32 v[103:104], v34
	v_cvt_f64_f32_e32 v[105:106], v35
	;; [unrolled: 1-line block ×4, first 2 shown]
	s_waitcnt vmcnt(12)
	v_cvt_f64_f32_e32 v[115:116], v42
	v_cvt_f64_f32_e32 v[42:43], v43
	;; [unrolled: 1-line block ×4, first 2 shown]
	v_fma_f64 v[34:35], -v[113:114], v[6:7], v[99:100]
	v_fma_f64 v[14:15], v[107:108], v[6:7], v[14:15]
	v_fma_f64 v[36:37], -v[123:124], v[6:7], v[101:102]
	v_fma_f64 v[97:98], v[121:122], v[6:7], v[97:98]
	;; [unrolled: 2-line block ×4, first 2 shown]
	global_load_b128 v[4:7], v[93:94], off offset:32
	s_waitcnt vmcnt(12)
	v_fma_f64 v[89:90], v[103:104], v[46:47], v[34:35]
	v_fma_f64 v[14:15], v[105:106], v[46:47], v[14:15]
	;; [unrolled: 1-line block ×8, first 2 shown]
	s_clause 0x1
	global_load_b128 v[30:33], v[91:92], off offset:96
	global_load_b128 v[34:37], v[91:92], off offset:112
	s_waitcnt vmcnt(12)
	v_cvt_f64_f32_e32 v[87:88], v55
	v_cvt_f64_f32_e32 v[91:92], v56
	;; [unrolled: 1-line block ×4, first 2 shown]
	s_waitcnt vmcnt(11)
	v_cvt_f64_f32_e32 v[121:122], v59
	v_cvt_f64_f32_e32 v[59:60], v60
	;; [unrolled: 1-line block ×4, first 2 shown]
	v_fma_f64 v[55:56], -v[105:106], v[48:49], v[89:90]
	v_fma_f64 v[14:15], v[103:104], v[48:49], v[14:15]
	v_fma_f64 v[57:58], -v[111:112], v[48:49], v[99:100]
	v_fma_f64 v[89:90], v[109:110], v[48:49], v[97:98]
	v_fma_f64 v[97:98], -v[42:43], v[48:49], v[101:102]
	v_fma_f64 v[38:39], v[115:116], v[48:49], v[38:39]
	v_fma_f64 v[99:100], -v[44:45], v[48:49], v[107:108]
	v_fma_f64 v[46:47], v[117:118], v[48:49], v[46:47]
	global_load_b128 v[42:45], v[93:94], off offset:48
	v_add_co_u32 v93, vcc_lo, 0x6000, v12
	v_add_co_ci_u32_e32 v94, vcc_lo, 0, v13, vcc_lo
	v_sub_co_u32 v95, vcc_lo, v95, s12
	v_subrev_co_ci_u32_e32 v96, vcc_lo, s15, v96, vcc_lo
	v_add_co_u32 v12, s0, 0x8000, v12
	s_delay_alu instid0(VALU_DEP_1)
	v_add_co_ci_u32_e64 v13, s0, 0, v13, s0
	v_fma_f64 v[101:102], v[87:88], v[51:52], v[55:56]
	v_fma_f64 v[14:15], v[91:92], v[51:52], v[14:15]
	;; [unrolled: 1-line block ×8, first 2 shown]
	s_clause 0x1
	global_load_b128 v[46:49], v[93:94], off
	global_load_b128 v[55:58], v[93:94], off offset:16
	s_waitcnt vmcnt(13)
	v_cvt_f64_f32_e32 v[105:106], v63
	v_cvt_f64_f32_e32 v[107:108], v64
	;; [unrolled: 1-line block ×4, first 2 shown]
	s_waitcnt vmcnt(12)
	v_cvt_f64_f32_e32 v[115:116], v67
	v_cvt_f64_f32_e32 v[67:68], v68
	;; [unrolled: 1-line block ×4, first 2 shown]
	v_fma_f64 v[63:64], -v[91:92], v[53:54], v[101:102]
	v_fma_f64 v[14:15], v[87:88], v[53:54], v[14:15]
	v_fma_f64 v[65:66], -v[119:120], v[53:54], v[103:104]
	v_fma_f64 v[87:88], v[113:114], v[53:54], v[89:90]
	;; [unrolled: 2-line block ×4, first 2 shown]
	v_lshlrev_b64 v[51:52], 6, v[95:96]
	s_delay_alu instid0(VALU_DEP_1) | instskip(NEXT) | instid1(VALU_DEP_2)
	v_add_co_u32 v91, vcc_lo, s4, v51
	v_add_co_ci_u32_e32 v92, vcc_lo, s5, v52, vcc_lo
	v_add_co_u32 v8, vcc_lo, 0x100, v8
	v_add_co_ci_u32_e32 v9, vcc_lo, 0, v9, vcc_lo
	global_load_b128 v[51:54], v[91:92], off
	v_add_co_u32 v40, vcc_lo, 0x800, v40
	v_add_co_ci_u32_e32 v41, vcc_lo, 0, v41, vcc_lo
	v_cmp_ge_i64_e32 vcc_lo, v[8:9], v[10:11]
	s_or_b32 s7, vcc_lo, s7
	s_waitcnt vmcnt(12)
	v_fma_f64 v[95:96], v[105:106], v[71:72], v[63:64]
	v_fma_f64 v[14:15], v[107:108], v[71:72], v[14:15]
	;; [unrolled: 1-line block ×8, first 2 shown]
	s_clause 0x1
	global_load_b128 v[59:62], v[93:94], off offset:32
	global_load_b128 v[63:66], v[93:94], off offset:48
	s_waitcnt vmcnt(12)
	v_cvt_f64_f32_e32 v[89:90], v79
	v_cvt_f64_f32_e32 v[103:104], v80
	;; [unrolled: 1-line block ×4, first 2 shown]
	s_waitcnt vmcnt(11)
	v_cvt_f64_f32_e32 v[121:122], v83
	v_cvt_f64_f32_e32 v[83:84], v84
	;; [unrolled: 1-line block ×4, first 2 shown]
	v_fma_f64 v[79:80], -v[107:108], v[73:74], v[95:96]
	v_fma_f64 v[14:15], v[105:106], v[73:74], v[14:15]
	v_fma_f64 v[81:82], -v[111:112], v[73:74], v[97:98]
	v_fma_f64 v[87:88], v[109:110], v[73:74], v[87:88]
	;; [unrolled: 2-line block ×4, first 2 shown]
	global_load_b128 v[67:70], v[91:92], off offset:16
	v_fma_f64 v[99:100], v[89:90], v[75:76], v[79:80]
	v_fma_f64 v[14:15], v[103:104], v[75:76], v[14:15]
	;; [unrolled: 1-line block ×8, first 2 shown]
	s_clause 0x1
	global_load_b128 v[71:74], v[93:94], off offset:64
	global_load_b128 v[79:82], v[93:94], off offset:80
	s_waitcnt vmcnt(13)
	v_cvt_f64_f32_e32 v[105:106], v0
	v_cvt_f64_f32_e32 v[107:108], v1
	v_cvt_f64_f32_e32 v[109:110], v2
	v_cvt_f64_f32_e32 v[111:112], v3
	s_waitcnt vmcnt(12)
	v_cvt_f64_f32_e32 v[115:116], v26
	v_cvt_f64_f32_e32 v[117:118], v27
	;; [unrolled: 1-line block ×4, first 2 shown]
	global_load_b128 v[0:3], v[91:92], off offset:32
	v_fma_f64 v[26:27], -v[103:104], v[77:78], v[99:100]
	v_fma_f64 v[14:15], v[89:90], v[77:78], v[14:15]
	v_fma_f64 v[28:29], -v[119:120], v[77:78], v[101:102]
	v_fma_f64 v[87:88], v[113:114], v[77:78], v[87:88]
	;; [unrolled: 2-line block ×4, first 2 shown]
	s_waitcnt vmcnt(12)
	v_fma_f64 v[89:90], v[105:106], v[4:5], v[26:27]
	v_fma_f64 v[14:15], v[107:108], v[4:5], v[14:15]
	;; [unrolled: 1-line block ×8, first 2 shown]
	s_clause 0x1
	global_load_b128 v[26:29], v[93:94], off offset:96
	global_load_b128 v[75:78], v[93:94], off offset:112
	s_waitcnt vmcnt(13)
	v_cvt_f64_f32_e32 v[93:94], v30
	v_cvt_f64_f32_e32 v[30:31], v31
	v_cvt_f64_f32_e32 v[97:98], v32
	v_cvt_f64_f32_e32 v[32:33], v33
	s_waitcnt vmcnt(12)
	v_cvt_f64_f32_e32 v[99:100], v34
	v_cvt_f64_f32_e32 v[34:35], v35
	;; [unrolled: 1-line block ×4, first 2 shown]
	v_fma_f64 v[89:90], -v[107:108], v[6:7], v[89:90]
	v_fma_f64 v[14:15], v[105:106], v[6:7], v[14:15]
	v_fma_f64 v[95:96], -v[111:112], v[6:7], v[95:96]
	v_fma_f64 v[87:88], v[109:110], v[6:7], v[87:88]
	;; [unrolled: 2-line block ×4, first 2 shown]
	global_load_b128 v[4:7], v[91:92], off offset:48
	s_waitcnt vmcnt(12)
	v_fma_f64 v[89:90], v[93:94], v[42:43], v[89:90]
	v_fma_f64 v[14:15], v[30:31], v[42:43], v[14:15]
	v_fma_f64 v[91:92], v[97:98], v[42:43], v[95:96]
	v_fma_f64 v[87:88], v[32:33], v[42:43], v[87:88]
	v_fma_f64 v[83:84], v[99:100], v[42:43], v[83:84]
	v_fma_f64 v[38:39], v[34:35], v[42:43], v[38:39]
	v_fma_f64 v[85:86], v[101:102], v[42:43], v[85:86]
	v_fma_f64 v[42:43], v[36:37], v[42:43], v[103:104]
	s_waitcnt vmcnt(11)
	v_cvt_f64_f32_e32 v[95:96], v46
	v_cvt_f64_f32_e32 v[46:47], v47
	v_cvt_f64_f32_e32 v[103:104], v48
	v_cvt_f64_f32_e32 v[48:49], v49
	s_waitcnt vmcnt(10)
	v_cvt_f64_f32_e32 v[105:106], v55
	v_cvt_f64_f32_e32 v[55:56], v56
	v_cvt_f64_f32_e32 v[107:108], v57
	v_cvt_f64_f32_e32 v[57:58], v58
	v_fma_f64 v[30:31], -v[30:31], v[44:45], v[89:90]
	v_fma_f64 v[14:15], v[93:94], v[44:45], v[14:15]
	v_fma_f64 v[32:33], -v[32:33], v[44:45], v[91:92]
	v_fma_f64 v[87:88], v[97:98], v[44:45], v[87:88]
	v_fma_f64 v[34:35], -v[34:35], v[44:45], v[83:84]
	v_fma_f64 v[38:39], v[99:100], v[44:45], v[38:39]
	v_fma_f64 v[36:37], -v[36:37], v[44:45], v[85:86]
	v_fma_f64 v[42:43], v[101:102], v[44:45], v[42:43]
	s_waitcnt vmcnt(9)
	v_fma_f64 v[30:31], v[95:96], v[51:52], v[30:31]
	v_fma_f64 v[14:15], v[46:47], v[51:52], v[14:15]
	v_fma_f64 v[32:33], v[103:104], v[51:52], v[32:33]
	v_fma_f64 v[44:45], v[48:49], v[51:52], v[87:88]
	v_fma_f64 v[34:35], v[105:106], v[51:52], v[34:35]
	v_fma_f64 v[38:39], v[55:56], v[51:52], v[38:39]
	v_fma_f64 v[36:37], v[107:108], v[51:52], v[36:37]
	v_fma_f64 v[42:43], v[57:58], v[51:52], v[42:43]
	s_waitcnt vmcnt(8)
	v_cvt_f64_f32_e32 v[51:52], v59
	v_cvt_f64_f32_e32 v[59:60], v60
	v_cvt_f64_f32_e32 v[83:84], v61
	v_cvt_f64_f32_e32 v[61:62], v62
	s_waitcnt vmcnt(7)
	v_cvt_f64_f32_e32 v[85:86], v63
	v_cvt_f64_f32_e32 v[63:64], v64
	v_cvt_f64_f32_e32 v[87:88], v65
	v_cvt_f64_f32_e32 v[65:66], v66
	v_fma_f64 v[30:31], -v[46:47], v[53:54], v[30:31]
	v_fma_f64 v[14:15], v[95:96], v[53:54], v[14:15]
	v_fma_f64 v[32:33], -v[48:49], v[53:54], v[32:33]
	v_fma_f64 v[44:45], v[103:104], v[53:54], v[44:45]
	v_fma_f64 v[34:35], -v[55:56], v[53:54], v[34:35]
	v_fma_f64 v[38:39], v[105:106], v[53:54], v[38:39]
	v_fma_f64 v[36:37], -v[57:58], v[53:54], v[36:37]
	v_fma_f64 v[42:43], v[107:108], v[53:54], v[42:43]
	;; [unrolled: 27-line block ×4, first 2 shown]
	s_waitcnt vmcnt(0)
	v_fma_f64 v[2:3], v[42:43], v[4:5], v[30:31]
	v_fma_f64 v[14:15], v[26:27], v[4:5], v[14:15]
	;; [unrolled: 1-line block ×8, first 2 shown]
	v_fma_f64 v[30:31], -v[26:27], v[6:7], v[2:3]
	v_fma_f64 v[14:15], v[42:43], v[6:7], v[14:15]
	v_fma_f64 v[36:37], -v[28:29], v[6:7], v[32:33]
	v_fma_f64 v[28:29], v[51:52], v[6:7], v[44:45]
	;; [unrolled: 2-line block ×4, first 2 shown]
	s_and_not1_b32 exec_lo, exec_lo, s7
	s_cbranch_execnz .LBB179_37
; %bb.38:
	s_or_b32 exec_lo, exec_lo, s7
.LBB179_39:
	s_delay_alu instid0(SALU_CYCLE_1)
	s_or_b32 exec_lo, exec_lo, s6
.LBB179_40:
	s_delay_alu instid0(SALU_CYCLE_1)
	s_or_b32 exec_lo, exec_lo, s1
.LBB179_41:
	v_mbcnt_lo_u32_b32 v42, -1, 0
	s_delay_alu instid0(VALU_DEP_1) | instskip(NEXT) | instid1(VALU_DEP_1)
	v_or_b32_e32 v0, 32, v42
	v_cmp_gt_i32_e32 vcc_lo, 32, v0
	v_cndmask_b32_e32 v0, v42, v0, vcc_lo
	s_delay_alu instid0(VALU_DEP_1)
	v_lshlrev_b32_e32 v41, 2, v0
	ds_bpermute_b32 v12, v41, v26
	ds_bpermute_b32 v13, v41, v27
	s_waitcnt lgkmcnt(0)
	v_add_f64 v[12:13], v[26:27], v[12:13]
	v_xor_b32_e32 v26, 16, v42
	s_delay_alu instid0(VALU_DEP_1)
	v_cmp_gt_i32_e32 vcc_lo, 32, v26
	v_cndmask_b32_e32 v26, v42, v26, vcc_lo
	ds_bpermute_b32 v0, v41, v30
	ds_bpermute_b32 v1, v41, v31
	;; [unrolled: 1-line block ×14, first 2 shown]
	s_waitcnt lgkmcnt(12)
	v_add_f64 v[0:1], v[30:31], v[0:1]
	s_waitcnt lgkmcnt(10)
	v_add_f64 v[2:3], v[14:15], v[2:3]
	s_waitcnt lgkmcnt(8)
	v_add_f64 v[4:5], v[36:37], v[4:5]
	s_waitcnt lgkmcnt(6)
	v_add_f64 v[6:7], v[28:29], v[6:7]
	s_waitcnt lgkmcnt(4)
	v_add_f64 v[8:9], v[38:39], v[8:9]
	s_waitcnt lgkmcnt(2)
	v_add_f64 v[10:11], v[34:35], v[10:11]
	s_waitcnt lgkmcnt(0)
	v_add_f64 v[14:15], v[32:33], v[40:41]
	v_lshlrev_b32_e32 v41, 2, v26
	ds_bpermute_b32 v38, v41, v12
	ds_bpermute_b32 v39, v41, v13
	;; [unrolled: 1-line block ×16, first 2 shown]
	s_waitcnt lgkmcnt(14)
	v_add_f64 v[12:13], v[12:13], v[38:39]
	s_waitcnt lgkmcnt(12)
	v_add_f64 v[0:1], v[0:1], v[26:27]
	v_xor_b32_e32 v26, 8, v42
	s_waitcnt lgkmcnt(10)
	v_add_f64 v[2:3], v[2:3], v[28:29]
	s_waitcnt lgkmcnt(8)
	v_add_f64 v[4:5], v[4:5], v[30:31]
	;; [unrolled: 2-line block ×3, first 2 shown]
	v_cmp_gt_i32_e32 vcc_lo, 32, v26
	s_waitcnt lgkmcnt(4)
	v_add_f64 v[8:9], v[8:9], v[34:35]
	s_waitcnt lgkmcnt(2)
	v_add_f64 v[10:11], v[10:11], v[36:37]
	;; [unrolled: 2-line block ×3, first 2 shown]
	v_cndmask_b32_e32 v26, v42, v26, vcc_lo
	s_delay_alu instid0(VALU_DEP_1)
	v_lshlrev_b32_e32 v41, 2, v26
	ds_bpermute_b32 v38, v41, v12
	ds_bpermute_b32 v39, v41, v13
	;; [unrolled: 1-line block ×16, first 2 shown]
	s_waitcnt lgkmcnt(14)
	v_add_f64 v[12:13], v[12:13], v[38:39]
	s_waitcnt lgkmcnt(12)
	v_add_f64 v[0:1], v[0:1], v[26:27]
	v_xor_b32_e32 v26, 4, v42
	s_waitcnt lgkmcnt(10)
	v_add_f64 v[2:3], v[2:3], v[28:29]
	s_waitcnt lgkmcnt(8)
	v_add_f64 v[4:5], v[4:5], v[30:31]
	;; [unrolled: 2-line block ×3, first 2 shown]
	v_cmp_gt_i32_e32 vcc_lo, 32, v26
	s_waitcnt lgkmcnt(4)
	v_add_f64 v[8:9], v[8:9], v[34:35]
	s_waitcnt lgkmcnt(2)
	v_add_f64 v[10:11], v[10:11], v[36:37]
	;; [unrolled: 2-line block ×3, first 2 shown]
	v_cndmask_b32_e32 v26, v42, v26, vcc_lo
	s_delay_alu instid0(VALU_DEP_1)
	v_lshlrev_b32_e32 v41, 2, v26
	ds_bpermute_b32 v38, v41, v12
	ds_bpermute_b32 v39, v41, v13
	;; [unrolled: 1-line block ×16, first 2 shown]
	s_waitcnt lgkmcnt(14)
	v_add_f64 v[12:13], v[12:13], v[38:39]
	s_waitcnt lgkmcnt(12)
	v_add_f64 v[0:1], v[0:1], v[26:27]
	;; [unrolled: 2-line block ×8, first 2 shown]
	v_xor_b32_e32 v14, 2, v42
	s_delay_alu instid0(VALU_DEP_1) | instskip(SKIP_1) | instid1(VALU_DEP_1)
	v_cmp_gt_i32_e32 vcc_lo, 32, v14
	v_cndmask_b32_e32 v14, v42, v14, vcc_lo
	v_lshlrev_b32_e32 v41, 2, v14
	ds_bpermute_b32 v38, v41, v12
	ds_bpermute_b32 v39, v41, v13
	;; [unrolled: 1-line block ×16, first 2 shown]
	s_waitcnt lgkmcnt(12)
	v_add_f64 v[0:1], v[0:1], v[14:15]
	s_waitcnt lgkmcnt(10)
	v_add_f64 v[28:29], v[2:3], v[28:29]
	;; [unrolled: 2-line block ×4, first 2 shown]
	v_add_f64 v[6:7], v[12:13], v[38:39]
	s_waitcnt lgkmcnt(4)
	v_add_f64 v[4:5], v[8:9], v[34:35]
	v_xor_b32_e32 v12, 1, v42
	s_waitcnt lgkmcnt(2)
	v_add_f64 v[10:11], v[10:11], v[36:37]
	s_waitcnt lgkmcnt(0)
	v_add_f64 v[8:9], v[26:27], v[40:41]
	v_cmp_gt_i32_e32 vcc_lo, 32, v12
	v_cndmask_b32_e32 v12, v42, v12, vcc_lo
	v_cmp_eq_u32_e32 vcc_lo, 63, v50
	s_delay_alu instid0(VALU_DEP_2)
	v_lshlrev_b32_e32 v35, 2, v12
	ds_bpermute_b32 v12, v35, v0
	ds_bpermute_b32 v13, v35, v1
	;; [unrolled: 1-line block ×16, first 2 shown]
	s_and_b32 exec_lo, exec_lo, vcc_lo
	s_cbranch_execz .LBB179_12
; %bb.42:
	s_waitcnt lgkmcnt(12)
	v_add_f64 v[28:29], v[28:29], v[40:41]
	s_waitcnt lgkmcnt(8)
	v_add_f64 v[14:15], v[14:15], v[38:39]
	;; [unrolled: 2-line block ×4, first 2 shown]
	v_add_f64 v[0:1], v[0:1], v[12:13]
	v_add_f64 v[2:3], v[2:3], v[26:27]
	;; [unrolled: 1-line block ×4, first 2 shown]
	v_cmp_eq_f64_e32 vcc_lo, 0, v[16:17]
	v_cmp_eq_f64_e64 s0, 0, v[18:19]
	s_load_b64 s[2:3], s[2:3], 0x68
	v_mul_f64 v[4:5], v[28:29], -v[22:23]
	v_mul_f64 v[6:7], v[20:21], v[28:29]
	v_mul_f64 v[28:29], v[14:15], -v[22:23]
	v_mul_f64 v[32:33], v[20:21], v[14:15]
	;; [unrolled: 2-line block ×4, first 2 shown]
	s_and_b32 s0, vcc_lo, s0
	v_fma_f64 v[12:13], v[20:21], v[0:1], v[4:5]
	v_fma_f64 v[14:15], v[22:23], v[0:1], v[6:7]
	;; [unrolled: 1-line block ×8, first 2 shown]
	v_lshlrev_b64 v[20:21], 6, v[24:25]
	s_and_saveexec_b32 s1, s0
	s_delay_alu instid0(SALU_CYCLE_1)
	s_xor_b32 s0, exec_lo, s1
	s_cbranch_execz .LBB179_44
; %bb.43:
	s_waitcnt lgkmcnt(0)
	s_delay_alu instid0(VALU_DEP_1)
	v_add_co_u32 v16, vcc_lo, s2, v20
	v_add_co_ci_u32_e32 v17, vcc_lo, s3, v21, vcc_lo
                                        ; implicit-def: $vgpr18_vgpr19
                                        ; implicit-def: $vgpr20_vgpr21
	s_clause 0x3
	global_store_b128 v[16:17], v[12:15], off
	global_store_b128 v[16:17], v[8:11], off offset:16
	global_store_b128 v[16:17], v[4:7], off offset:32
	;; [unrolled: 1-line block ×3, first 2 shown]
                                        ; implicit-def: $vgpr16_vgpr17
                                        ; implicit-def: $vgpr12_vgpr13
                                        ; implicit-def: $vgpr8_vgpr9
                                        ; implicit-def: $vgpr4_vgpr5
                                        ; implicit-def: $vgpr0_vgpr1
.LBB179_44:
	s_and_not1_saveexec_b32 s0, s0
	s_cbranch_execz .LBB179_12
; %bb.45:
	s_waitcnt lgkmcnt(0)
	v_add_co_u32 v36, vcc_lo, s2, v20
	v_add_co_ci_u32_e32 v37, vcc_lo, s3, v21, vcc_lo
	s_clause 0x3
	global_load_b128 v[20:23], v[36:37], off
	global_load_b128 v[24:27], v[36:37], off offset:16
	global_load_b128 v[28:31], v[36:37], off offset:32
	;; [unrolled: 1-line block ×3, first 2 shown]
	s_waitcnt vmcnt(3)
	v_fma_f64 v[12:13], v[16:17], v[20:21], v[12:13]
	v_fma_f64 v[14:15], v[18:19], v[20:21], v[14:15]
	s_waitcnt vmcnt(2)
	v_fma_f64 v[8:9], v[16:17], v[24:25], v[8:9]
	v_fma_f64 v[10:11], v[18:19], v[24:25], v[10:11]
	s_waitcnt vmcnt(1)
	v_fma_f64 v[20:21], v[16:17], v[28:29], v[4:5]
	v_fma_f64 v[24:25], v[18:19], v[28:29], v[6:7]
	s_waitcnt vmcnt(0)
	v_fma_f64 v[28:29], v[16:17], v[32:33], v[0:1]
	v_fma_f64 v[32:33], v[18:19], v[32:33], v[2:3]
	v_fma_f64 v[0:1], -v[18:19], v[22:23], v[12:13]
	v_fma_f64 v[2:3], v[16:17], v[22:23], v[14:15]
	v_fma_f64 v[4:5], -v[18:19], v[26:27], v[8:9]
	v_fma_f64 v[6:7], v[16:17], v[26:27], v[10:11]
	;; [unrolled: 2-line block ×4, first 2 shown]
	s_clause 0x3
	global_store_b128 v[36:37], v[0:3], off
	global_store_b128 v[36:37], v[4:7], off offset:16
	global_store_b128 v[36:37], v[8:11], off offset:32
	global_store_b128 v[36:37], v[12:15], off offset:48
	s_nop 0
	s_sendmsg sendmsg(MSG_DEALLOC_VGPRS)
	s_endpgm
	.section	.rodata,"a",@progbits
	.p2align	6, 0x0
	.amdhsa_kernel _ZN9rocsparseL18bsrxmvn_4x4_kernelILj128ELj64E21rocsparse_complex_numIdEllS1_IfES2_S2_EEvT3_20rocsparse_direction_NS_24const_host_device_scalarIT1_EES4_PKS4_PKT2_SD_SA_PKT4_PKT5_S8_PT6_21rocsparse_index_base_b
		.amdhsa_group_segment_fixed_size 2048
		.amdhsa_private_segment_fixed_size 0
		.amdhsa_kernarg_size 120
		.amdhsa_user_sgpr_count 15
		.amdhsa_user_sgpr_dispatch_ptr 1
		.amdhsa_user_sgpr_queue_ptr 0
		.amdhsa_user_sgpr_kernarg_segment_ptr 1
		.amdhsa_user_sgpr_dispatch_id 0
		.amdhsa_user_sgpr_private_segment_size 0
		.amdhsa_wavefront_size32 1
		.amdhsa_uses_dynamic_stack 0
		.amdhsa_enable_private_segment 0
		.amdhsa_system_sgpr_workgroup_id_x 1
		.amdhsa_system_sgpr_workgroup_id_y 0
		.amdhsa_system_sgpr_workgroup_id_z 0
		.amdhsa_system_sgpr_workgroup_info 0
		.amdhsa_system_vgpr_workitem_id 2
		.amdhsa_next_free_vgpr 137
		.amdhsa_next_free_sgpr 18
		.amdhsa_reserve_vcc 1
		.amdhsa_float_round_mode_32 0
		.amdhsa_float_round_mode_16_64 0
		.amdhsa_float_denorm_mode_32 3
		.amdhsa_float_denorm_mode_16_64 3
		.amdhsa_dx10_clamp 1
		.amdhsa_ieee_mode 1
		.amdhsa_fp16_overflow 0
		.amdhsa_workgroup_processor_mode 1
		.amdhsa_memory_ordered 1
		.amdhsa_forward_progress 0
		.amdhsa_shared_vgpr_count 0
		.amdhsa_exception_fp_ieee_invalid_op 0
		.amdhsa_exception_fp_denorm_src 0
		.amdhsa_exception_fp_ieee_div_zero 0
		.amdhsa_exception_fp_ieee_overflow 0
		.amdhsa_exception_fp_ieee_underflow 0
		.amdhsa_exception_fp_ieee_inexact 0
		.amdhsa_exception_int_div_zero 0
	.end_amdhsa_kernel
	.section	.text._ZN9rocsparseL18bsrxmvn_4x4_kernelILj128ELj64E21rocsparse_complex_numIdEllS1_IfES2_S2_EEvT3_20rocsparse_direction_NS_24const_host_device_scalarIT1_EES4_PKS4_PKT2_SD_SA_PKT4_PKT5_S8_PT6_21rocsparse_index_base_b,"axG",@progbits,_ZN9rocsparseL18bsrxmvn_4x4_kernelILj128ELj64E21rocsparse_complex_numIdEllS1_IfES2_S2_EEvT3_20rocsparse_direction_NS_24const_host_device_scalarIT1_EES4_PKS4_PKT2_SD_SA_PKT4_PKT5_S8_PT6_21rocsparse_index_base_b,comdat
.Lfunc_end179:
	.size	_ZN9rocsparseL18bsrxmvn_4x4_kernelILj128ELj64E21rocsparse_complex_numIdEllS1_IfES2_S2_EEvT3_20rocsparse_direction_NS_24const_host_device_scalarIT1_EES4_PKS4_PKT2_SD_SA_PKT4_PKT5_S8_PT6_21rocsparse_index_base_b, .Lfunc_end179-_ZN9rocsparseL18bsrxmvn_4x4_kernelILj128ELj64E21rocsparse_complex_numIdEllS1_IfES2_S2_EEvT3_20rocsparse_direction_NS_24const_host_device_scalarIT1_EES4_PKS4_PKT2_SD_SA_PKT4_PKT5_S8_PT6_21rocsparse_index_base_b
                                        ; -- End function
	.section	.AMDGPU.csdata,"",@progbits
; Kernel info:
; codeLenInByte = 12504
; NumSgprs: 20
; NumVgprs: 137
; ScratchSize: 0
; MemoryBound: 0
; FloatMode: 240
; IeeeMode: 1
; LDSByteSize: 2048 bytes/workgroup (compile time only)
; SGPRBlocks: 2
; VGPRBlocks: 17
; NumSGPRsForWavesPerEU: 20
; NumVGPRsForWavesPerEU: 137
; Occupancy: 10
; WaveLimiterHint : 1
; COMPUTE_PGM_RSRC2:SCRATCH_EN: 0
; COMPUTE_PGM_RSRC2:USER_SGPR: 15
; COMPUTE_PGM_RSRC2:TRAP_HANDLER: 0
; COMPUTE_PGM_RSRC2:TGID_X_EN: 1
; COMPUTE_PGM_RSRC2:TGID_Y_EN: 0
; COMPUTE_PGM_RSRC2:TGID_Z_EN: 0
; COMPUTE_PGM_RSRC2:TIDIG_COMP_CNT: 2
	.text
	.p2alignl 7, 3214868480
	.fill 96, 4, 3214868480
	.type	__hip_cuid_8eab459dda03ac33,@object ; @__hip_cuid_8eab459dda03ac33
	.section	.bss,"aw",@nobits
	.globl	__hip_cuid_8eab459dda03ac33
__hip_cuid_8eab459dda03ac33:
	.byte	0                               ; 0x0
	.size	__hip_cuid_8eab459dda03ac33, 1

	.ident	"AMD clang version 19.0.0git (https://github.com/RadeonOpenCompute/llvm-project roc-6.4.0 25133 c7fe45cf4b819c5991fe208aaa96edf142730f1d)"
	.section	".note.GNU-stack","",@progbits
	.addrsig
	.addrsig_sym __hip_cuid_8eab459dda03ac33
	.amdgpu_metadata
---
amdhsa.kernels:
  - .args:
      - .offset:         0
        .size:           4
        .value_kind:     by_value
      - .offset:         4
        .size:           4
        .value_kind:     by_value
      - .offset:         8
        .size:           8
        .value_kind:     by_value
      - .offset:         16
        .size:           4
        .value_kind:     by_value
      - .actual_access:  read_only
        .address_space:  global
        .offset:         24
        .size:           8
        .value_kind:     global_buffer
      - .actual_access:  read_only
        .address_space:  global
        .offset:         32
        .size:           8
        .value_kind:     global_buffer
      - .actual_access:  read_only
        .address_space:  global
        .offset:         40
        .size:           8
        .value_kind:     global_buffer
      - .actual_access:  read_only
        .address_space:  global
        .offset:         48
        .size:           8
        .value_kind:     global_buffer
      - .actual_access:  read_only
        .address_space:  global
        .offset:         56
        .size:           8
        .value_kind:     global_buffer
      - .actual_access:  read_only
        .address_space:  global
        .offset:         64
        .size:           8
        .value_kind:     global_buffer
      - .offset:         72
        .size:           8
        .value_kind:     by_value
      - .address_space:  global
        .offset:         80
        .size:           8
        .value_kind:     global_buffer
      - .offset:         88
        .size:           4
        .value_kind:     by_value
      - .offset:         92
        .size:           1
        .value_kind:     by_value
    .group_segment_fixed_size: 0
    .kernarg_segment_align: 8
    .kernarg_segment_size: 96
    .language:       OpenCL C
    .language_version:
      - 2
      - 0
    .max_flat_workgroup_size: 128
    .name:           _ZN9rocsparseL18bsrxmvn_4x4_kernelILj128ELj4EfiifffEEvT3_20rocsparse_direction_NS_24const_host_device_scalarIT1_EES1_PKS1_PKT2_SA_S7_PKT4_PKT5_S5_PT6_21rocsparse_index_base_b
    .private_segment_fixed_size: 0
    .sgpr_count:     22
    .sgpr_spill_count: 0
    .symbol:         _ZN9rocsparseL18bsrxmvn_4x4_kernelILj128ELj4EfiifffEEvT3_20rocsparse_direction_NS_24const_host_device_scalarIT1_EES1_PKS1_PKT2_SA_S7_PKT4_PKT5_S5_PT6_21rocsparse_index_base_b.kd
    .uniform_work_group_size: 1
    .uses_dynamic_stack: false
    .vgpr_count:     96
    .vgpr_spill_count: 0
    .wavefront_size: 32
    .workgroup_processor_mode: 1
  - .args:
      - .offset:         0
        .size:           4
        .value_kind:     by_value
      - .offset:         4
        .size:           4
        .value_kind:     by_value
      - .offset:         8
        .size:           8
        .value_kind:     by_value
      - .offset:         16
        .size:           4
        .value_kind:     by_value
      - .actual_access:  read_only
        .address_space:  global
        .offset:         24
        .size:           8
        .value_kind:     global_buffer
      - .actual_access:  read_only
        .address_space:  global
        .offset:         32
        .size:           8
        .value_kind:     global_buffer
      - .actual_access:  read_only
        .address_space:  global
        .offset:         40
        .size:           8
        .value_kind:     global_buffer
      - .actual_access:  read_only
        .address_space:  global
        .offset:         48
        .size:           8
        .value_kind:     global_buffer
      - .actual_access:  read_only
        .address_space:  global
        .offset:         56
        .size:           8
        .value_kind:     global_buffer
      - .actual_access:  read_only
        .address_space:  global
        .offset:         64
        .size:           8
        .value_kind:     global_buffer
      - .offset:         72
        .size:           8
        .value_kind:     by_value
      - .address_space:  global
        .offset:         80
        .size:           8
        .value_kind:     global_buffer
      - .offset:         88
        .size:           4
        .value_kind:     by_value
      - .offset:         92
        .size:           1
        .value_kind:     by_value
    .group_segment_fixed_size: 0
    .kernarg_segment_align: 8
    .kernarg_segment_size: 96
    .language:       OpenCL C
    .language_version:
      - 2
      - 0
    .max_flat_workgroup_size: 128
    .name:           _ZN9rocsparseL18bsrxmvn_4x4_kernelILj128ELj8EfiifffEEvT3_20rocsparse_direction_NS_24const_host_device_scalarIT1_EES1_PKS1_PKT2_SA_S7_PKT4_PKT5_S5_PT6_21rocsparse_index_base_b
    .private_segment_fixed_size: 0
    .sgpr_count:     22
    .sgpr_spill_count: 0
    .symbol:         _ZN9rocsparseL18bsrxmvn_4x4_kernelILj128ELj8EfiifffEEvT3_20rocsparse_direction_NS_24const_host_device_scalarIT1_EES1_PKS1_PKT2_SA_S7_PKT4_PKT5_S5_PT6_21rocsparse_index_base_b.kd
    .uniform_work_group_size: 1
    .uses_dynamic_stack: false
    .vgpr_count:     96
    .vgpr_spill_count: 0
    .wavefront_size: 32
    .workgroup_processor_mode: 1
  - .args:
      - .offset:         0
        .size:           4
        .value_kind:     by_value
      - .offset:         4
        .size:           4
        .value_kind:     by_value
      - .offset:         8
        .size:           8
        .value_kind:     by_value
      - .offset:         16
        .size:           4
        .value_kind:     by_value
      - .actual_access:  read_only
        .address_space:  global
        .offset:         24
        .size:           8
        .value_kind:     global_buffer
      - .actual_access:  read_only
        .address_space:  global
        .offset:         32
        .size:           8
        .value_kind:     global_buffer
      - .actual_access:  read_only
        .address_space:  global
        .offset:         40
        .size:           8
        .value_kind:     global_buffer
      - .actual_access:  read_only
        .address_space:  global
        .offset:         48
        .size:           8
        .value_kind:     global_buffer
      - .actual_access:  read_only
        .address_space:  global
        .offset:         56
        .size:           8
        .value_kind:     global_buffer
      - .actual_access:  read_only
        .address_space:  global
        .offset:         64
        .size:           8
        .value_kind:     global_buffer
      - .offset:         72
        .size:           8
        .value_kind:     by_value
      - .address_space:  global
        .offset:         80
        .size:           8
        .value_kind:     global_buffer
      - .offset:         88
        .size:           4
        .value_kind:     by_value
      - .offset:         92
        .size:           1
        .value_kind:     by_value
    .group_segment_fixed_size: 0
    .kernarg_segment_align: 8
    .kernarg_segment_size: 96
    .language:       OpenCL C
    .language_version:
      - 2
      - 0
    .max_flat_workgroup_size: 128
    .name:           _ZN9rocsparseL18bsrxmvn_4x4_kernelILj128ELj16EfiifffEEvT3_20rocsparse_direction_NS_24const_host_device_scalarIT1_EES1_PKS1_PKT2_SA_S7_PKT4_PKT5_S5_PT6_21rocsparse_index_base_b
    .private_segment_fixed_size: 0
    .sgpr_count:     22
    .sgpr_spill_count: 0
    .symbol:         _ZN9rocsparseL18bsrxmvn_4x4_kernelILj128ELj16EfiifffEEvT3_20rocsparse_direction_NS_24const_host_device_scalarIT1_EES1_PKS1_PKT2_SA_S7_PKT4_PKT5_S5_PT6_21rocsparse_index_base_b.kd
    .uniform_work_group_size: 1
    .uses_dynamic_stack: false
    .vgpr_count:     96
    .vgpr_spill_count: 0
    .wavefront_size: 32
    .workgroup_processor_mode: 1
  - .args:
      - .offset:         0
        .size:           4
        .value_kind:     by_value
      - .offset:         4
        .size:           4
        .value_kind:     by_value
      - .offset:         8
        .size:           8
        .value_kind:     by_value
      - .offset:         16
        .size:           4
        .value_kind:     by_value
      - .actual_access:  read_only
        .address_space:  global
        .offset:         24
        .size:           8
        .value_kind:     global_buffer
      - .actual_access:  read_only
        .address_space:  global
        .offset:         32
        .size:           8
        .value_kind:     global_buffer
      - .actual_access:  read_only
        .address_space:  global
        .offset:         40
        .size:           8
        .value_kind:     global_buffer
      - .actual_access:  read_only
        .address_space:  global
        .offset:         48
        .size:           8
        .value_kind:     global_buffer
      - .actual_access:  read_only
        .address_space:  global
        .offset:         56
        .size:           8
        .value_kind:     global_buffer
      - .actual_access:  read_only
        .address_space:  global
        .offset:         64
        .size:           8
        .value_kind:     global_buffer
      - .offset:         72
        .size:           8
        .value_kind:     by_value
      - .address_space:  global
        .offset:         80
        .size:           8
        .value_kind:     global_buffer
      - .offset:         88
        .size:           4
        .value_kind:     by_value
      - .offset:         92
        .size:           1
        .value_kind:     by_value
    .group_segment_fixed_size: 0
    .kernarg_segment_align: 8
    .kernarg_segment_size: 96
    .language:       OpenCL C
    .language_version:
      - 2
      - 0
    .max_flat_workgroup_size: 128
    .name:           _ZN9rocsparseL18bsrxmvn_4x4_kernelILj128ELj32EfiifffEEvT3_20rocsparse_direction_NS_24const_host_device_scalarIT1_EES1_PKS1_PKT2_SA_S7_PKT4_PKT5_S5_PT6_21rocsparse_index_base_b
    .private_segment_fixed_size: 0
    .sgpr_count:     22
    .sgpr_spill_count: 0
    .symbol:         _ZN9rocsparseL18bsrxmvn_4x4_kernelILj128ELj32EfiifffEEvT3_20rocsparse_direction_NS_24const_host_device_scalarIT1_EES1_PKS1_PKT2_SA_S7_PKT4_PKT5_S5_PT6_21rocsparse_index_base_b.kd
    .uniform_work_group_size: 1
    .uses_dynamic_stack: false
    .vgpr_count:     96
    .vgpr_spill_count: 0
    .wavefront_size: 32
    .workgroup_processor_mode: 1
  - .args:
      - .offset:         0
        .size:           4
        .value_kind:     by_value
      - .offset:         4
        .size:           4
        .value_kind:     by_value
      - .offset:         8
        .size:           8
        .value_kind:     by_value
      - .offset:         16
        .size:           4
        .value_kind:     by_value
      - .actual_access:  read_only
        .address_space:  global
        .offset:         24
        .size:           8
        .value_kind:     global_buffer
      - .actual_access:  read_only
        .address_space:  global
        .offset:         32
        .size:           8
        .value_kind:     global_buffer
      - .actual_access:  read_only
        .address_space:  global
        .offset:         40
        .size:           8
        .value_kind:     global_buffer
      - .actual_access:  read_only
        .address_space:  global
        .offset:         48
        .size:           8
        .value_kind:     global_buffer
      - .actual_access:  read_only
        .address_space:  global
        .offset:         56
        .size:           8
        .value_kind:     global_buffer
      - .actual_access:  read_only
        .address_space:  global
        .offset:         64
        .size:           8
        .value_kind:     global_buffer
      - .offset:         72
        .size:           8
        .value_kind:     by_value
      - .address_space:  global
        .offset:         80
        .size:           8
        .value_kind:     global_buffer
      - .offset:         88
        .size:           4
        .value_kind:     by_value
      - .offset:         92
        .size:           1
        .value_kind:     by_value
    .group_segment_fixed_size: 0
    .kernarg_segment_align: 8
    .kernarg_segment_size: 96
    .language:       OpenCL C
    .language_version:
      - 2
      - 0
    .max_flat_workgroup_size: 128
    .name:           _ZN9rocsparseL18bsrxmvn_4x4_kernelILj128ELj64EfiifffEEvT3_20rocsparse_direction_NS_24const_host_device_scalarIT1_EES1_PKS1_PKT2_SA_S7_PKT4_PKT5_S5_PT6_21rocsparse_index_base_b
    .private_segment_fixed_size: 0
    .sgpr_count:     22
    .sgpr_spill_count: 0
    .symbol:         _ZN9rocsparseL18bsrxmvn_4x4_kernelILj128ELj64EfiifffEEvT3_20rocsparse_direction_NS_24const_host_device_scalarIT1_EES1_PKS1_PKT2_SA_S7_PKT4_PKT5_S5_PT6_21rocsparse_index_base_b.kd
    .uniform_work_group_size: 1
    .uses_dynamic_stack: false
    .vgpr_count:     96
    .vgpr_spill_count: 0
    .wavefront_size: 32
    .workgroup_processor_mode: 1
  - .args:
      - .offset:         0
        .size:           4
        .value_kind:     by_value
      - .offset:         4
        .size:           4
        .value_kind:     by_value
      - .offset:         8
        .size:           8
        .value_kind:     by_value
      - .offset:         16
        .size:           4
        .value_kind:     by_value
      - .actual_access:  read_only
        .address_space:  global
        .offset:         24
        .size:           8
        .value_kind:     global_buffer
      - .actual_access:  read_only
        .address_space:  global
        .offset:         32
        .size:           8
        .value_kind:     global_buffer
      - .actual_access:  read_only
        .address_space:  global
        .offset:         40
        .size:           8
        .value_kind:     global_buffer
      - .actual_access:  read_only
        .address_space:  global
        .offset:         48
        .size:           8
        .value_kind:     global_buffer
      - .actual_access:  read_only
        .address_space:  global
        .offset:         56
        .size:           8
        .value_kind:     global_buffer
      - .actual_access:  read_only
        .address_space:  global
        .offset:         64
        .size:           8
        .value_kind:     global_buffer
      - .offset:         72
        .size:           8
        .value_kind:     by_value
      - .address_space:  global
        .offset:         80
        .size:           8
        .value_kind:     global_buffer
      - .offset:         88
        .size:           4
        .value_kind:     by_value
      - .offset:         92
        .size:           1
        .value_kind:     by_value
    .group_segment_fixed_size: 0
    .kernarg_segment_align: 8
    .kernarg_segment_size: 96
    .language:       OpenCL C
    .language_version:
      - 2
      - 0
    .max_flat_workgroup_size: 128
    .name:           _ZN9rocsparseL18bsrxmvn_4x4_kernelILj128ELj4EdiidddEEvT3_20rocsparse_direction_NS_24const_host_device_scalarIT1_EES1_PKS1_PKT2_SA_S7_PKT4_PKT5_S5_PT6_21rocsparse_index_base_b
    .private_segment_fixed_size: 0
    .sgpr_count:     18
    .sgpr_spill_count: 0
    .symbol:         _ZN9rocsparseL18bsrxmvn_4x4_kernelILj128ELj4EdiidddEEvT3_20rocsparse_direction_NS_24const_host_device_scalarIT1_EES1_PKS1_PKT2_SA_S7_PKT4_PKT5_S5_PT6_21rocsparse_index_base_b.kd
    .uniform_work_group_size: 1
    .uses_dynamic_stack: false
    .vgpr_count:     129
    .vgpr_spill_count: 0
    .wavefront_size: 32
    .workgroup_processor_mode: 1
  - .args:
      - .offset:         0
        .size:           4
        .value_kind:     by_value
      - .offset:         4
        .size:           4
        .value_kind:     by_value
      - .offset:         8
        .size:           8
        .value_kind:     by_value
      - .offset:         16
        .size:           4
        .value_kind:     by_value
      - .actual_access:  read_only
        .address_space:  global
        .offset:         24
        .size:           8
        .value_kind:     global_buffer
      - .actual_access:  read_only
        .address_space:  global
        .offset:         32
        .size:           8
        .value_kind:     global_buffer
      - .actual_access:  read_only
        .address_space:  global
        .offset:         40
        .size:           8
        .value_kind:     global_buffer
      - .actual_access:  read_only
        .address_space:  global
        .offset:         48
        .size:           8
        .value_kind:     global_buffer
      - .actual_access:  read_only
        .address_space:  global
        .offset:         56
        .size:           8
        .value_kind:     global_buffer
      - .actual_access:  read_only
        .address_space:  global
        .offset:         64
        .size:           8
        .value_kind:     global_buffer
      - .offset:         72
        .size:           8
        .value_kind:     by_value
      - .address_space:  global
        .offset:         80
        .size:           8
        .value_kind:     global_buffer
      - .offset:         88
        .size:           4
        .value_kind:     by_value
      - .offset:         92
        .size:           1
        .value_kind:     by_value
    .group_segment_fixed_size: 0
    .kernarg_segment_align: 8
    .kernarg_segment_size: 96
    .language:       OpenCL C
    .language_version:
      - 2
      - 0
    .max_flat_workgroup_size: 128
    .name:           _ZN9rocsparseL18bsrxmvn_4x4_kernelILj128ELj8EdiidddEEvT3_20rocsparse_direction_NS_24const_host_device_scalarIT1_EES1_PKS1_PKT2_SA_S7_PKT4_PKT5_S5_PT6_21rocsparse_index_base_b
    .private_segment_fixed_size: 0
    .sgpr_count:     18
    .sgpr_spill_count: 0
    .symbol:         _ZN9rocsparseL18bsrxmvn_4x4_kernelILj128ELj8EdiidddEEvT3_20rocsparse_direction_NS_24const_host_device_scalarIT1_EES1_PKS1_PKT2_SA_S7_PKT4_PKT5_S5_PT6_21rocsparse_index_base_b.kd
    .uniform_work_group_size: 1
    .uses_dynamic_stack: false
    .vgpr_count:     129
    .vgpr_spill_count: 0
    .wavefront_size: 32
    .workgroup_processor_mode: 1
  - .args:
      - .offset:         0
        .size:           4
        .value_kind:     by_value
      - .offset:         4
        .size:           4
        .value_kind:     by_value
      - .offset:         8
        .size:           8
        .value_kind:     by_value
      - .offset:         16
        .size:           4
        .value_kind:     by_value
      - .actual_access:  read_only
        .address_space:  global
        .offset:         24
        .size:           8
        .value_kind:     global_buffer
      - .actual_access:  read_only
        .address_space:  global
        .offset:         32
        .size:           8
        .value_kind:     global_buffer
      - .actual_access:  read_only
        .address_space:  global
        .offset:         40
        .size:           8
        .value_kind:     global_buffer
      - .actual_access:  read_only
        .address_space:  global
        .offset:         48
        .size:           8
        .value_kind:     global_buffer
      - .actual_access:  read_only
        .address_space:  global
        .offset:         56
        .size:           8
        .value_kind:     global_buffer
      - .actual_access:  read_only
        .address_space:  global
        .offset:         64
        .size:           8
        .value_kind:     global_buffer
      - .offset:         72
        .size:           8
        .value_kind:     by_value
      - .address_space:  global
        .offset:         80
        .size:           8
        .value_kind:     global_buffer
      - .offset:         88
        .size:           4
        .value_kind:     by_value
      - .offset:         92
        .size:           1
        .value_kind:     by_value
    .group_segment_fixed_size: 0
    .kernarg_segment_align: 8
    .kernarg_segment_size: 96
    .language:       OpenCL C
    .language_version:
      - 2
      - 0
    .max_flat_workgroup_size: 128
    .name:           _ZN9rocsparseL18bsrxmvn_4x4_kernelILj128ELj16EdiidddEEvT3_20rocsparse_direction_NS_24const_host_device_scalarIT1_EES1_PKS1_PKT2_SA_S7_PKT4_PKT5_S5_PT6_21rocsparse_index_base_b
    .private_segment_fixed_size: 0
    .sgpr_count:     18
    .sgpr_spill_count: 0
    .symbol:         _ZN9rocsparseL18bsrxmvn_4x4_kernelILj128ELj16EdiidddEEvT3_20rocsparse_direction_NS_24const_host_device_scalarIT1_EES1_PKS1_PKT2_SA_S7_PKT4_PKT5_S5_PT6_21rocsparse_index_base_b.kd
    .uniform_work_group_size: 1
    .uses_dynamic_stack: false
    .vgpr_count:     130
    .vgpr_spill_count: 0
    .wavefront_size: 32
    .workgroup_processor_mode: 1
  - .args:
      - .offset:         0
        .size:           4
        .value_kind:     by_value
      - .offset:         4
        .size:           4
        .value_kind:     by_value
      - .offset:         8
        .size:           8
        .value_kind:     by_value
      - .offset:         16
        .size:           4
        .value_kind:     by_value
      - .actual_access:  read_only
        .address_space:  global
        .offset:         24
        .size:           8
        .value_kind:     global_buffer
      - .actual_access:  read_only
        .address_space:  global
        .offset:         32
        .size:           8
        .value_kind:     global_buffer
      - .actual_access:  read_only
        .address_space:  global
        .offset:         40
        .size:           8
        .value_kind:     global_buffer
      - .actual_access:  read_only
        .address_space:  global
        .offset:         48
        .size:           8
        .value_kind:     global_buffer
      - .actual_access:  read_only
        .address_space:  global
        .offset:         56
        .size:           8
        .value_kind:     global_buffer
      - .actual_access:  read_only
        .address_space:  global
        .offset:         64
        .size:           8
        .value_kind:     global_buffer
      - .offset:         72
        .size:           8
        .value_kind:     by_value
      - .address_space:  global
        .offset:         80
        .size:           8
        .value_kind:     global_buffer
      - .offset:         88
        .size:           4
        .value_kind:     by_value
      - .offset:         92
        .size:           1
        .value_kind:     by_value
    .group_segment_fixed_size: 0
    .kernarg_segment_align: 8
    .kernarg_segment_size: 96
    .language:       OpenCL C
    .language_version:
      - 2
      - 0
    .max_flat_workgroup_size: 128
    .name:           _ZN9rocsparseL18bsrxmvn_4x4_kernelILj128ELj32EdiidddEEvT3_20rocsparse_direction_NS_24const_host_device_scalarIT1_EES1_PKS1_PKT2_SA_S7_PKT4_PKT5_S5_PT6_21rocsparse_index_base_b
    .private_segment_fixed_size: 0
    .sgpr_count:     18
    .sgpr_spill_count: 0
    .symbol:         _ZN9rocsparseL18bsrxmvn_4x4_kernelILj128ELj32EdiidddEEvT3_20rocsparse_direction_NS_24const_host_device_scalarIT1_EES1_PKS1_PKT2_SA_S7_PKT4_PKT5_S5_PT6_21rocsparse_index_base_b.kd
    .uniform_work_group_size: 1
    .uses_dynamic_stack: false
    .vgpr_count:     136
    .vgpr_spill_count: 0
    .wavefront_size: 32
    .workgroup_processor_mode: 1
  - .args:
      - .offset:         0
        .size:           4
        .value_kind:     by_value
      - .offset:         4
        .size:           4
        .value_kind:     by_value
      - .offset:         8
        .size:           8
        .value_kind:     by_value
      - .offset:         16
        .size:           4
        .value_kind:     by_value
      - .actual_access:  read_only
        .address_space:  global
        .offset:         24
        .size:           8
        .value_kind:     global_buffer
      - .actual_access:  read_only
        .address_space:  global
        .offset:         32
        .size:           8
        .value_kind:     global_buffer
      - .actual_access:  read_only
        .address_space:  global
        .offset:         40
        .size:           8
        .value_kind:     global_buffer
      - .actual_access:  read_only
        .address_space:  global
        .offset:         48
        .size:           8
        .value_kind:     global_buffer
      - .actual_access:  read_only
        .address_space:  global
        .offset:         56
        .size:           8
        .value_kind:     global_buffer
      - .actual_access:  read_only
        .address_space:  global
        .offset:         64
        .size:           8
        .value_kind:     global_buffer
      - .offset:         72
        .size:           8
        .value_kind:     by_value
      - .address_space:  global
        .offset:         80
        .size:           8
        .value_kind:     global_buffer
      - .offset:         88
        .size:           4
        .value_kind:     by_value
      - .offset:         92
        .size:           1
        .value_kind:     by_value
    .group_segment_fixed_size: 0
    .kernarg_segment_align: 8
    .kernarg_segment_size: 96
    .language:       OpenCL C
    .language_version:
      - 2
      - 0
    .max_flat_workgroup_size: 128
    .name:           _ZN9rocsparseL18bsrxmvn_4x4_kernelILj128ELj64EdiidddEEvT3_20rocsparse_direction_NS_24const_host_device_scalarIT1_EES1_PKS1_PKT2_SA_S7_PKT4_PKT5_S5_PT6_21rocsparse_index_base_b
    .private_segment_fixed_size: 0
    .sgpr_count:     18
    .sgpr_spill_count: 0
    .symbol:         _ZN9rocsparseL18bsrxmvn_4x4_kernelILj128ELj64EdiidddEEvT3_20rocsparse_direction_NS_24const_host_device_scalarIT1_EES1_PKS1_PKT2_SA_S7_PKT4_PKT5_S5_PT6_21rocsparse_index_base_b.kd
    .uniform_work_group_size: 1
    .uses_dynamic_stack: false
    .vgpr_count:     132
    .vgpr_spill_count: 0
    .wavefront_size: 32
    .workgroup_processor_mode: 1
  - .args:
      - .offset:         0
        .size:           4
        .value_kind:     by_value
      - .offset:         4
        .size:           4
        .value_kind:     by_value
      - .offset:         8
        .size:           8
        .value_kind:     by_value
      - .offset:         16
        .size:           4
        .value_kind:     by_value
      - .actual_access:  read_only
        .address_space:  global
        .offset:         24
        .size:           8
        .value_kind:     global_buffer
      - .actual_access:  read_only
        .address_space:  global
        .offset:         32
        .size:           8
        .value_kind:     global_buffer
      - .actual_access:  read_only
        .address_space:  global
        .offset:         40
        .size:           8
        .value_kind:     global_buffer
      - .actual_access:  read_only
        .address_space:  global
        .offset:         48
        .size:           8
        .value_kind:     global_buffer
      - .actual_access:  read_only
        .address_space:  global
        .offset:         56
        .size:           8
        .value_kind:     global_buffer
      - .actual_access:  read_only
        .address_space:  global
        .offset:         64
        .size:           8
        .value_kind:     global_buffer
      - .offset:         72
        .size:           8
        .value_kind:     by_value
      - .address_space:  global
        .offset:         80
        .size:           8
        .value_kind:     global_buffer
      - .offset:         88
        .size:           4
        .value_kind:     by_value
      - .offset:         92
        .size:           1
        .value_kind:     by_value
    .group_segment_fixed_size: 0
    .kernarg_segment_align: 8
    .kernarg_segment_size: 96
    .language:       OpenCL C
    .language_version:
      - 2
      - 0
    .max_flat_workgroup_size: 128
    .name:           _ZN9rocsparseL18bsrxmvn_4x4_kernelILj128ELj4E21rocsparse_complex_numIfEiiS2_S2_S2_EEvT3_20rocsparse_direction_NS_24const_host_device_scalarIT1_EES3_PKS3_PKT2_SC_S9_PKT4_PKT5_S7_PT6_21rocsparse_index_base_b
    .private_segment_fixed_size: 0
    .sgpr_count:     18
    .sgpr_spill_count: 0
    .symbol:         _ZN9rocsparseL18bsrxmvn_4x4_kernelILj128ELj4E21rocsparse_complex_numIfEiiS2_S2_S2_EEvT3_20rocsparse_direction_NS_24const_host_device_scalarIT1_EES3_PKS3_PKT2_SC_S9_PKT4_PKT5_S7_PT6_21rocsparse_index_base_b.kd
    .uniform_work_group_size: 1
    .uses_dynamic_stack: false
    .vgpr_count:     152
    .vgpr_spill_count: 0
    .wavefront_size: 32
    .workgroup_processor_mode: 1
  - .args:
      - .offset:         0
        .size:           4
        .value_kind:     by_value
      - .offset:         4
        .size:           4
        .value_kind:     by_value
      - .offset:         8
        .size:           8
        .value_kind:     by_value
      - .offset:         16
        .size:           4
        .value_kind:     by_value
      - .actual_access:  read_only
        .address_space:  global
        .offset:         24
        .size:           8
        .value_kind:     global_buffer
      - .actual_access:  read_only
        .address_space:  global
        .offset:         32
        .size:           8
        .value_kind:     global_buffer
      - .actual_access:  read_only
        .address_space:  global
        .offset:         40
        .size:           8
        .value_kind:     global_buffer
      - .actual_access:  read_only
        .address_space:  global
        .offset:         48
        .size:           8
        .value_kind:     global_buffer
      - .actual_access:  read_only
        .address_space:  global
        .offset:         56
        .size:           8
        .value_kind:     global_buffer
      - .actual_access:  read_only
        .address_space:  global
        .offset:         64
        .size:           8
        .value_kind:     global_buffer
      - .offset:         72
        .size:           8
        .value_kind:     by_value
      - .address_space:  global
        .offset:         80
        .size:           8
        .value_kind:     global_buffer
      - .offset:         88
        .size:           4
        .value_kind:     by_value
      - .offset:         92
        .size:           1
        .value_kind:     by_value
    .group_segment_fixed_size: 0
    .kernarg_segment_align: 8
    .kernarg_segment_size: 96
    .language:       OpenCL C
    .language_version:
      - 2
      - 0
    .max_flat_workgroup_size: 128
    .name:           _ZN9rocsparseL18bsrxmvn_4x4_kernelILj128ELj8E21rocsparse_complex_numIfEiiS2_S2_S2_EEvT3_20rocsparse_direction_NS_24const_host_device_scalarIT1_EES3_PKS3_PKT2_SC_S9_PKT4_PKT5_S7_PT6_21rocsparse_index_base_b
    .private_segment_fixed_size: 0
    .sgpr_count:     18
    .sgpr_spill_count: 0
    .symbol:         _ZN9rocsparseL18bsrxmvn_4x4_kernelILj128ELj8E21rocsparse_complex_numIfEiiS2_S2_S2_EEvT3_20rocsparse_direction_NS_24const_host_device_scalarIT1_EES3_PKS3_PKT2_SC_S9_PKT4_PKT5_S7_PT6_21rocsparse_index_base_b.kd
    .uniform_work_group_size: 1
    .uses_dynamic_stack: false
    .vgpr_count:     152
    .vgpr_spill_count: 0
    .wavefront_size: 32
    .workgroup_processor_mode: 1
  - .args:
      - .offset:         0
        .size:           4
        .value_kind:     by_value
      - .offset:         4
        .size:           4
        .value_kind:     by_value
      - .offset:         8
        .size:           8
        .value_kind:     by_value
      - .offset:         16
        .size:           4
        .value_kind:     by_value
      - .actual_access:  read_only
        .address_space:  global
        .offset:         24
        .size:           8
        .value_kind:     global_buffer
      - .actual_access:  read_only
        .address_space:  global
        .offset:         32
        .size:           8
        .value_kind:     global_buffer
      - .actual_access:  read_only
        .address_space:  global
        .offset:         40
        .size:           8
        .value_kind:     global_buffer
      - .actual_access:  read_only
        .address_space:  global
        .offset:         48
        .size:           8
        .value_kind:     global_buffer
      - .actual_access:  read_only
        .address_space:  global
        .offset:         56
        .size:           8
        .value_kind:     global_buffer
      - .actual_access:  read_only
        .address_space:  global
        .offset:         64
        .size:           8
        .value_kind:     global_buffer
      - .offset:         72
        .size:           8
        .value_kind:     by_value
      - .address_space:  global
        .offset:         80
        .size:           8
        .value_kind:     global_buffer
      - .offset:         88
        .size:           4
        .value_kind:     by_value
      - .offset:         92
        .size:           1
        .value_kind:     by_value
    .group_segment_fixed_size: 0
    .kernarg_segment_align: 8
    .kernarg_segment_size: 96
    .language:       OpenCL C
    .language_version:
      - 2
      - 0
    .max_flat_workgroup_size: 128
    .name:           _ZN9rocsparseL18bsrxmvn_4x4_kernelILj128ELj16E21rocsparse_complex_numIfEiiS2_S2_S2_EEvT3_20rocsparse_direction_NS_24const_host_device_scalarIT1_EES3_PKS3_PKT2_SC_S9_PKT4_PKT5_S7_PT6_21rocsparse_index_base_b
    .private_segment_fixed_size: 0
    .sgpr_count:     18
    .sgpr_spill_count: 0
    .symbol:         _ZN9rocsparseL18bsrxmvn_4x4_kernelILj128ELj16E21rocsparse_complex_numIfEiiS2_S2_S2_EEvT3_20rocsparse_direction_NS_24const_host_device_scalarIT1_EES3_PKS3_PKT2_SC_S9_PKT4_PKT5_S7_PT6_21rocsparse_index_base_b.kd
    .uniform_work_group_size: 1
    .uses_dynamic_stack: false
    .vgpr_count:     154
    .vgpr_spill_count: 0
    .wavefront_size: 32
    .workgroup_processor_mode: 1
  - .args:
      - .offset:         0
        .size:           4
        .value_kind:     by_value
      - .offset:         4
        .size:           4
        .value_kind:     by_value
      - .offset:         8
        .size:           8
        .value_kind:     by_value
      - .offset:         16
        .size:           4
        .value_kind:     by_value
      - .actual_access:  read_only
        .address_space:  global
        .offset:         24
        .size:           8
        .value_kind:     global_buffer
      - .actual_access:  read_only
        .address_space:  global
        .offset:         32
        .size:           8
        .value_kind:     global_buffer
      - .actual_access:  read_only
        .address_space:  global
        .offset:         40
        .size:           8
        .value_kind:     global_buffer
      - .actual_access:  read_only
        .address_space:  global
        .offset:         48
        .size:           8
        .value_kind:     global_buffer
      - .actual_access:  read_only
        .address_space:  global
        .offset:         56
        .size:           8
        .value_kind:     global_buffer
      - .actual_access:  read_only
        .address_space:  global
        .offset:         64
        .size:           8
        .value_kind:     global_buffer
      - .offset:         72
        .size:           8
        .value_kind:     by_value
      - .address_space:  global
        .offset:         80
        .size:           8
        .value_kind:     global_buffer
      - .offset:         88
        .size:           4
        .value_kind:     by_value
      - .offset:         92
        .size:           1
        .value_kind:     by_value
    .group_segment_fixed_size: 0
    .kernarg_segment_align: 8
    .kernarg_segment_size: 96
    .language:       OpenCL C
    .language_version:
      - 2
      - 0
    .max_flat_workgroup_size: 128
    .name:           _ZN9rocsparseL18bsrxmvn_4x4_kernelILj128ELj32E21rocsparse_complex_numIfEiiS2_S2_S2_EEvT3_20rocsparse_direction_NS_24const_host_device_scalarIT1_EES3_PKS3_PKT2_SC_S9_PKT4_PKT5_S7_PT6_21rocsparse_index_base_b
    .private_segment_fixed_size: 0
    .sgpr_count:     18
    .sgpr_spill_count: 0
    .symbol:         _ZN9rocsparseL18bsrxmvn_4x4_kernelILj128ELj32E21rocsparse_complex_numIfEiiS2_S2_S2_EEvT3_20rocsparse_direction_NS_24const_host_device_scalarIT1_EES3_PKS3_PKT2_SC_S9_PKT4_PKT5_S7_PT6_21rocsparse_index_base_b.kd
    .uniform_work_group_size: 1
    .uses_dynamic_stack: false
    .vgpr_count:     152
    .vgpr_spill_count: 0
    .wavefront_size: 32
    .workgroup_processor_mode: 1
  - .args:
      - .offset:         0
        .size:           4
        .value_kind:     by_value
      - .offset:         4
        .size:           4
        .value_kind:     by_value
      - .offset:         8
        .size:           8
        .value_kind:     by_value
      - .offset:         16
        .size:           4
        .value_kind:     by_value
      - .actual_access:  read_only
        .address_space:  global
        .offset:         24
        .size:           8
        .value_kind:     global_buffer
      - .actual_access:  read_only
        .address_space:  global
        .offset:         32
        .size:           8
        .value_kind:     global_buffer
      - .actual_access:  read_only
        .address_space:  global
        .offset:         40
        .size:           8
        .value_kind:     global_buffer
      - .actual_access:  read_only
        .address_space:  global
        .offset:         48
        .size:           8
        .value_kind:     global_buffer
      - .actual_access:  read_only
        .address_space:  global
        .offset:         56
        .size:           8
        .value_kind:     global_buffer
      - .actual_access:  read_only
        .address_space:  global
        .offset:         64
        .size:           8
        .value_kind:     global_buffer
      - .offset:         72
        .size:           8
        .value_kind:     by_value
      - .address_space:  global
        .offset:         80
        .size:           8
        .value_kind:     global_buffer
      - .offset:         88
        .size:           4
        .value_kind:     by_value
      - .offset:         92
        .size:           1
        .value_kind:     by_value
    .group_segment_fixed_size: 0
    .kernarg_segment_align: 8
    .kernarg_segment_size: 96
    .language:       OpenCL C
    .language_version:
      - 2
      - 0
    .max_flat_workgroup_size: 128
    .name:           _ZN9rocsparseL18bsrxmvn_4x4_kernelILj128ELj64E21rocsparse_complex_numIfEiiS2_S2_S2_EEvT3_20rocsparse_direction_NS_24const_host_device_scalarIT1_EES3_PKS3_PKT2_SC_S9_PKT4_PKT5_S7_PT6_21rocsparse_index_base_b
    .private_segment_fixed_size: 0
    .sgpr_count:     18
    .sgpr_spill_count: 0
    .symbol:         _ZN9rocsparseL18bsrxmvn_4x4_kernelILj128ELj64E21rocsparse_complex_numIfEiiS2_S2_S2_EEvT3_20rocsparse_direction_NS_24const_host_device_scalarIT1_EES3_PKS3_PKT2_SC_S9_PKT4_PKT5_S7_PT6_21rocsparse_index_base_b.kd
    .uniform_work_group_size: 1
    .uses_dynamic_stack: false
    .vgpr_count:     152
    .vgpr_spill_count: 0
    .wavefront_size: 32
    .workgroup_processor_mode: 1
  - .args:
      - .offset:         0
        .size:           4
        .value_kind:     by_value
      - .offset:         4
        .size:           4
        .value_kind:     by_value
      - .offset:         8
        .size:           16
        .value_kind:     by_value
      - .offset:         24
        .size:           4
        .value_kind:     by_value
      - .actual_access:  read_only
        .address_space:  global
        .offset:         32
        .size:           8
        .value_kind:     global_buffer
      - .actual_access:  read_only
        .address_space:  global
        .offset:         40
        .size:           8
        .value_kind:     global_buffer
      - .actual_access:  read_only
        .address_space:  global
        .offset:         48
        .size:           8
        .value_kind:     global_buffer
      - .actual_access:  read_only
        .address_space:  global
        .offset:         56
        .size:           8
        .value_kind:     global_buffer
      - .actual_access:  read_only
        .address_space:  global
        .offset:         64
        .size:           8
        .value_kind:     global_buffer
      - .actual_access:  read_only
        .address_space:  global
        .offset:         72
        .size:           8
        .value_kind:     global_buffer
      - .offset:         80
        .size:           16
        .value_kind:     by_value
      - .address_space:  global
        .offset:         96
        .size:           8
        .value_kind:     global_buffer
      - .offset:         104
        .size:           4
        .value_kind:     by_value
      - .offset:         108
        .size:           1
        .value_kind:     by_value
    .group_segment_fixed_size: 2048
    .kernarg_segment_align: 8
    .kernarg_segment_size: 112
    .language:       OpenCL C
    .language_version:
      - 2
      - 0
    .max_flat_workgroup_size: 128
    .name:           _ZN9rocsparseL18bsrxmvn_4x4_kernelILj128ELj4E21rocsparse_complex_numIdEiiS2_S2_S2_EEvT3_20rocsparse_direction_NS_24const_host_device_scalarIT1_EES3_PKS3_PKT2_SC_S9_PKT4_PKT5_S7_PT6_21rocsparse_index_base_b
    .private_segment_fixed_size: 0
    .sgpr_count:     20
    .sgpr_spill_count: 0
    .symbol:         _ZN9rocsparseL18bsrxmvn_4x4_kernelILj128ELj4E21rocsparse_complex_numIdEiiS2_S2_S2_EEvT3_20rocsparse_direction_NS_24const_host_device_scalarIT1_EES3_PKS3_PKT2_SC_S9_PKT4_PKT5_S7_PT6_21rocsparse_index_base_b.kd
    .uniform_work_group_size: 1
    .uses_dynamic_stack: false
    .vgpr_count:     152
    .vgpr_spill_count: 0
    .wavefront_size: 32
    .workgroup_processor_mode: 1
  - .args:
      - .offset:         0
        .size:           4
        .value_kind:     by_value
      - .offset:         4
        .size:           4
        .value_kind:     by_value
      - .offset:         8
        .size:           16
        .value_kind:     by_value
      - .offset:         24
        .size:           4
        .value_kind:     by_value
      - .actual_access:  read_only
        .address_space:  global
        .offset:         32
        .size:           8
        .value_kind:     global_buffer
      - .actual_access:  read_only
        .address_space:  global
        .offset:         40
        .size:           8
        .value_kind:     global_buffer
      - .actual_access:  read_only
        .address_space:  global
        .offset:         48
        .size:           8
        .value_kind:     global_buffer
      - .actual_access:  read_only
        .address_space:  global
        .offset:         56
        .size:           8
        .value_kind:     global_buffer
      - .actual_access:  read_only
        .address_space:  global
        .offset:         64
        .size:           8
        .value_kind:     global_buffer
      - .actual_access:  read_only
        .address_space:  global
        .offset:         72
        .size:           8
        .value_kind:     global_buffer
      - .offset:         80
        .size:           16
        .value_kind:     by_value
      - .address_space:  global
        .offset:         96
        .size:           8
        .value_kind:     global_buffer
      - .offset:         104
        .size:           4
        .value_kind:     by_value
      - .offset:         108
        .size:           1
        .value_kind:     by_value
    .group_segment_fixed_size: 2048
    .kernarg_segment_align: 8
    .kernarg_segment_size: 112
    .language:       OpenCL C
    .language_version:
      - 2
      - 0
    .max_flat_workgroup_size: 128
    .name:           _ZN9rocsparseL18bsrxmvn_4x4_kernelILj128ELj8E21rocsparse_complex_numIdEiiS2_S2_S2_EEvT3_20rocsparse_direction_NS_24const_host_device_scalarIT1_EES3_PKS3_PKT2_SC_S9_PKT4_PKT5_S7_PT6_21rocsparse_index_base_b
    .private_segment_fixed_size: 0
    .sgpr_count:     20
    .sgpr_spill_count: 0
    .symbol:         _ZN9rocsparseL18bsrxmvn_4x4_kernelILj128ELj8E21rocsparse_complex_numIdEiiS2_S2_S2_EEvT3_20rocsparse_direction_NS_24const_host_device_scalarIT1_EES3_PKS3_PKT2_SC_S9_PKT4_PKT5_S7_PT6_21rocsparse_index_base_b.kd
    .uniform_work_group_size: 1
    .uses_dynamic_stack: false
    .vgpr_count:     154
    .vgpr_spill_count: 0
    .wavefront_size: 32
    .workgroup_processor_mode: 1
  - .args:
      - .offset:         0
        .size:           4
        .value_kind:     by_value
      - .offset:         4
        .size:           4
        .value_kind:     by_value
      - .offset:         8
        .size:           16
        .value_kind:     by_value
      - .offset:         24
        .size:           4
        .value_kind:     by_value
      - .actual_access:  read_only
        .address_space:  global
        .offset:         32
        .size:           8
        .value_kind:     global_buffer
      - .actual_access:  read_only
        .address_space:  global
        .offset:         40
        .size:           8
        .value_kind:     global_buffer
      - .actual_access:  read_only
        .address_space:  global
        .offset:         48
        .size:           8
        .value_kind:     global_buffer
      - .actual_access:  read_only
        .address_space:  global
        .offset:         56
        .size:           8
        .value_kind:     global_buffer
      - .actual_access:  read_only
        .address_space:  global
        .offset:         64
        .size:           8
        .value_kind:     global_buffer
      - .actual_access:  read_only
        .address_space:  global
        .offset:         72
        .size:           8
        .value_kind:     global_buffer
      - .offset:         80
        .size:           16
        .value_kind:     by_value
      - .address_space:  global
        .offset:         96
        .size:           8
        .value_kind:     global_buffer
      - .offset:         104
        .size:           4
        .value_kind:     by_value
      - .offset:         108
        .size:           1
        .value_kind:     by_value
    .group_segment_fixed_size: 2048
    .kernarg_segment_align: 8
    .kernarg_segment_size: 112
    .language:       OpenCL C
    .language_version:
      - 2
      - 0
    .max_flat_workgroup_size: 128
    .name:           _ZN9rocsparseL18bsrxmvn_4x4_kernelILj128ELj16E21rocsparse_complex_numIdEiiS2_S2_S2_EEvT3_20rocsparse_direction_NS_24const_host_device_scalarIT1_EES3_PKS3_PKT2_SC_S9_PKT4_PKT5_S7_PT6_21rocsparse_index_base_b
    .private_segment_fixed_size: 0
    .sgpr_count:     20
    .sgpr_spill_count: 0
    .symbol:         _ZN9rocsparseL18bsrxmvn_4x4_kernelILj128ELj16E21rocsparse_complex_numIdEiiS2_S2_S2_EEvT3_20rocsparse_direction_NS_24const_host_device_scalarIT1_EES3_PKS3_PKT2_SC_S9_PKT4_PKT5_S7_PT6_21rocsparse_index_base_b.kd
    .uniform_work_group_size: 1
    .uses_dynamic_stack: false
    .vgpr_count:     156
    .vgpr_spill_count: 0
    .wavefront_size: 32
    .workgroup_processor_mode: 1
  - .args:
      - .offset:         0
        .size:           4
        .value_kind:     by_value
      - .offset:         4
        .size:           4
        .value_kind:     by_value
      - .offset:         8
        .size:           16
        .value_kind:     by_value
      - .offset:         24
        .size:           4
        .value_kind:     by_value
      - .actual_access:  read_only
        .address_space:  global
        .offset:         32
        .size:           8
        .value_kind:     global_buffer
      - .actual_access:  read_only
        .address_space:  global
        .offset:         40
        .size:           8
        .value_kind:     global_buffer
      - .actual_access:  read_only
        .address_space:  global
        .offset:         48
        .size:           8
        .value_kind:     global_buffer
      - .actual_access:  read_only
        .address_space:  global
        .offset:         56
        .size:           8
        .value_kind:     global_buffer
      - .actual_access:  read_only
        .address_space:  global
        .offset:         64
        .size:           8
        .value_kind:     global_buffer
      - .actual_access:  read_only
        .address_space:  global
        .offset:         72
        .size:           8
        .value_kind:     global_buffer
      - .offset:         80
        .size:           16
        .value_kind:     by_value
      - .address_space:  global
        .offset:         96
        .size:           8
        .value_kind:     global_buffer
      - .offset:         104
        .size:           4
        .value_kind:     by_value
      - .offset:         108
        .size:           1
        .value_kind:     by_value
    .group_segment_fixed_size: 2048
    .kernarg_segment_align: 8
    .kernarg_segment_size: 112
    .language:       OpenCL C
    .language_version:
      - 2
      - 0
    .max_flat_workgroup_size: 128
    .name:           _ZN9rocsparseL18bsrxmvn_4x4_kernelILj128ELj32E21rocsparse_complex_numIdEiiS2_S2_S2_EEvT3_20rocsparse_direction_NS_24const_host_device_scalarIT1_EES3_PKS3_PKT2_SC_S9_PKT4_PKT5_S7_PT6_21rocsparse_index_base_b
    .private_segment_fixed_size: 0
    .sgpr_count:     20
    .sgpr_spill_count: 0
    .symbol:         _ZN9rocsparseL18bsrxmvn_4x4_kernelILj128ELj32E21rocsparse_complex_numIdEiiS2_S2_S2_EEvT3_20rocsparse_direction_NS_24const_host_device_scalarIT1_EES3_PKS3_PKT2_SC_S9_PKT4_PKT5_S7_PT6_21rocsparse_index_base_b.kd
    .uniform_work_group_size: 1
    .uses_dynamic_stack: false
    .vgpr_count:     155
    .vgpr_spill_count: 0
    .wavefront_size: 32
    .workgroup_processor_mode: 1
  - .args:
      - .offset:         0
        .size:           4
        .value_kind:     by_value
      - .offset:         4
        .size:           4
        .value_kind:     by_value
      - .offset:         8
        .size:           16
        .value_kind:     by_value
      - .offset:         24
        .size:           4
        .value_kind:     by_value
      - .actual_access:  read_only
        .address_space:  global
        .offset:         32
        .size:           8
        .value_kind:     global_buffer
      - .actual_access:  read_only
        .address_space:  global
        .offset:         40
        .size:           8
        .value_kind:     global_buffer
      - .actual_access:  read_only
        .address_space:  global
        .offset:         48
        .size:           8
        .value_kind:     global_buffer
      - .actual_access:  read_only
        .address_space:  global
        .offset:         56
        .size:           8
        .value_kind:     global_buffer
      - .actual_access:  read_only
        .address_space:  global
        .offset:         64
        .size:           8
        .value_kind:     global_buffer
      - .actual_access:  read_only
        .address_space:  global
        .offset:         72
        .size:           8
        .value_kind:     global_buffer
      - .offset:         80
        .size:           16
        .value_kind:     by_value
      - .address_space:  global
        .offset:         96
        .size:           8
        .value_kind:     global_buffer
      - .offset:         104
        .size:           4
        .value_kind:     by_value
      - .offset:         108
        .size:           1
        .value_kind:     by_value
    .group_segment_fixed_size: 2048
    .kernarg_segment_align: 8
    .kernarg_segment_size: 112
    .language:       OpenCL C
    .language_version:
      - 2
      - 0
    .max_flat_workgroup_size: 128
    .name:           _ZN9rocsparseL18bsrxmvn_4x4_kernelILj128ELj64E21rocsparse_complex_numIdEiiS2_S2_S2_EEvT3_20rocsparse_direction_NS_24const_host_device_scalarIT1_EES3_PKS3_PKT2_SC_S9_PKT4_PKT5_S7_PT6_21rocsparse_index_base_b
    .private_segment_fixed_size: 0
    .sgpr_count:     20
    .sgpr_spill_count: 0
    .symbol:         _ZN9rocsparseL18bsrxmvn_4x4_kernelILj128ELj64E21rocsparse_complex_numIdEiiS2_S2_S2_EEvT3_20rocsparse_direction_NS_24const_host_device_scalarIT1_EES3_PKS3_PKT2_SC_S9_PKT4_PKT5_S7_PT6_21rocsparse_index_base_b.kd
    .uniform_work_group_size: 1
    .uses_dynamic_stack: false
    .vgpr_count:     155
    .vgpr_spill_count: 0
    .wavefront_size: 32
    .workgroup_processor_mode: 1
  - .args:
      - .offset:         0
        .size:           4
        .value_kind:     by_value
      - .offset:         4
        .size:           4
        .value_kind:     by_value
      - .offset:         8
        .size:           8
        .value_kind:     by_value
      - .offset:         16
        .size:           4
        .value_kind:     by_value
      - .actual_access:  read_only
        .address_space:  global
        .offset:         24
        .size:           8
        .value_kind:     global_buffer
      - .actual_access:  read_only
        .address_space:  global
        .offset:         32
        .size:           8
        .value_kind:     global_buffer
      - .actual_access:  read_only
        .address_space:  global
        .offset:         40
        .size:           8
        .value_kind:     global_buffer
      - .actual_access:  read_only
        .address_space:  global
        .offset:         48
        .size:           8
        .value_kind:     global_buffer
      - .actual_access:  read_only
        .address_space:  global
        .offset:         56
        .size:           8
        .value_kind:     global_buffer
      - .actual_access:  read_only
        .address_space:  global
        .offset:         64
        .size:           8
        .value_kind:     global_buffer
      - .offset:         72
        .size:           8
        .value_kind:     by_value
      - .address_space:  global
        .offset:         80
        .size:           8
        .value_kind:     global_buffer
      - .offset:         88
        .size:           4
        .value_kind:     by_value
      - .offset:         92
        .size:           1
        .value_kind:     by_value
    .group_segment_fixed_size: 0
    .kernarg_segment_align: 8
    .kernarg_segment_size: 96
    .language:       OpenCL C
    .language_version:
      - 2
      - 0
    .max_flat_workgroup_size: 128
    .name:           _ZN9rocsparseL18bsrxmvn_4x4_kernelILj128ELj4EflifffEEvT3_20rocsparse_direction_NS_24const_host_device_scalarIT1_EES1_PKS1_PKT2_SA_S7_PKT4_PKT5_S5_PT6_21rocsparse_index_base_b
    .private_segment_fixed_size: 0
    .sgpr_count:     22
    .sgpr_spill_count: 0
    .symbol:         _ZN9rocsparseL18bsrxmvn_4x4_kernelILj128ELj4EflifffEEvT3_20rocsparse_direction_NS_24const_host_device_scalarIT1_EES1_PKS1_PKT2_SA_S7_PKT4_PKT5_S5_PT6_21rocsparse_index_base_b.kd
    .uniform_work_group_size: 1
    .uses_dynamic_stack: false
    .vgpr_count:     100
    .vgpr_spill_count: 0
    .wavefront_size: 32
    .workgroup_processor_mode: 1
  - .args:
      - .offset:         0
        .size:           4
        .value_kind:     by_value
      - .offset:         4
        .size:           4
        .value_kind:     by_value
      - .offset:         8
        .size:           8
        .value_kind:     by_value
      - .offset:         16
        .size:           4
        .value_kind:     by_value
      - .actual_access:  read_only
        .address_space:  global
        .offset:         24
        .size:           8
        .value_kind:     global_buffer
      - .actual_access:  read_only
        .address_space:  global
        .offset:         32
        .size:           8
        .value_kind:     global_buffer
      - .actual_access:  read_only
        .address_space:  global
        .offset:         40
        .size:           8
        .value_kind:     global_buffer
      - .actual_access:  read_only
        .address_space:  global
        .offset:         48
        .size:           8
        .value_kind:     global_buffer
      - .actual_access:  read_only
        .address_space:  global
        .offset:         56
        .size:           8
        .value_kind:     global_buffer
      - .actual_access:  read_only
        .address_space:  global
        .offset:         64
        .size:           8
        .value_kind:     global_buffer
      - .offset:         72
        .size:           8
        .value_kind:     by_value
      - .address_space:  global
        .offset:         80
        .size:           8
        .value_kind:     global_buffer
      - .offset:         88
        .size:           4
        .value_kind:     by_value
      - .offset:         92
        .size:           1
        .value_kind:     by_value
    .group_segment_fixed_size: 0
    .kernarg_segment_align: 8
    .kernarg_segment_size: 96
    .language:       OpenCL C
    .language_version:
      - 2
      - 0
    .max_flat_workgroup_size: 128
    .name:           _ZN9rocsparseL18bsrxmvn_4x4_kernelILj128ELj8EflifffEEvT3_20rocsparse_direction_NS_24const_host_device_scalarIT1_EES1_PKS1_PKT2_SA_S7_PKT4_PKT5_S5_PT6_21rocsparse_index_base_b
    .private_segment_fixed_size: 0
    .sgpr_count:     22
    .sgpr_spill_count: 0
    .symbol:         _ZN9rocsparseL18bsrxmvn_4x4_kernelILj128ELj8EflifffEEvT3_20rocsparse_direction_NS_24const_host_device_scalarIT1_EES1_PKS1_PKT2_SA_S7_PKT4_PKT5_S5_PT6_21rocsparse_index_base_b.kd
    .uniform_work_group_size: 1
    .uses_dynamic_stack: false
    .vgpr_count:     100
    .vgpr_spill_count: 0
    .wavefront_size: 32
    .workgroup_processor_mode: 1
  - .args:
      - .offset:         0
        .size:           4
        .value_kind:     by_value
      - .offset:         4
        .size:           4
        .value_kind:     by_value
      - .offset:         8
        .size:           8
        .value_kind:     by_value
      - .offset:         16
        .size:           4
        .value_kind:     by_value
      - .actual_access:  read_only
        .address_space:  global
        .offset:         24
        .size:           8
        .value_kind:     global_buffer
      - .actual_access:  read_only
        .address_space:  global
        .offset:         32
        .size:           8
        .value_kind:     global_buffer
      - .actual_access:  read_only
        .address_space:  global
        .offset:         40
        .size:           8
        .value_kind:     global_buffer
      - .actual_access:  read_only
        .address_space:  global
        .offset:         48
        .size:           8
        .value_kind:     global_buffer
      - .actual_access:  read_only
        .address_space:  global
        .offset:         56
        .size:           8
        .value_kind:     global_buffer
      - .actual_access:  read_only
        .address_space:  global
        .offset:         64
        .size:           8
        .value_kind:     global_buffer
      - .offset:         72
        .size:           8
        .value_kind:     by_value
      - .address_space:  global
        .offset:         80
        .size:           8
        .value_kind:     global_buffer
      - .offset:         88
        .size:           4
        .value_kind:     by_value
      - .offset:         92
        .size:           1
        .value_kind:     by_value
    .group_segment_fixed_size: 0
    .kernarg_segment_align: 8
    .kernarg_segment_size: 96
    .language:       OpenCL C
    .language_version:
      - 2
      - 0
    .max_flat_workgroup_size: 128
    .name:           _ZN9rocsparseL18bsrxmvn_4x4_kernelILj128ELj16EflifffEEvT3_20rocsparse_direction_NS_24const_host_device_scalarIT1_EES1_PKS1_PKT2_SA_S7_PKT4_PKT5_S5_PT6_21rocsparse_index_base_b
    .private_segment_fixed_size: 0
    .sgpr_count:     22
    .sgpr_spill_count: 0
    .symbol:         _ZN9rocsparseL18bsrxmvn_4x4_kernelILj128ELj16EflifffEEvT3_20rocsparse_direction_NS_24const_host_device_scalarIT1_EES1_PKS1_PKT2_SA_S7_PKT4_PKT5_S5_PT6_21rocsparse_index_base_b.kd
    .uniform_work_group_size: 1
    .uses_dynamic_stack: false
    .vgpr_count:     100
    .vgpr_spill_count: 0
    .wavefront_size: 32
    .workgroup_processor_mode: 1
  - .args:
      - .offset:         0
        .size:           4
        .value_kind:     by_value
      - .offset:         4
        .size:           4
        .value_kind:     by_value
      - .offset:         8
        .size:           8
        .value_kind:     by_value
      - .offset:         16
        .size:           4
        .value_kind:     by_value
      - .actual_access:  read_only
        .address_space:  global
        .offset:         24
        .size:           8
        .value_kind:     global_buffer
      - .actual_access:  read_only
        .address_space:  global
        .offset:         32
        .size:           8
        .value_kind:     global_buffer
      - .actual_access:  read_only
        .address_space:  global
        .offset:         40
        .size:           8
        .value_kind:     global_buffer
      - .actual_access:  read_only
        .address_space:  global
        .offset:         48
        .size:           8
        .value_kind:     global_buffer
      - .actual_access:  read_only
        .address_space:  global
        .offset:         56
        .size:           8
        .value_kind:     global_buffer
      - .actual_access:  read_only
        .address_space:  global
        .offset:         64
        .size:           8
        .value_kind:     global_buffer
      - .offset:         72
        .size:           8
        .value_kind:     by_value
      - .address_space:  global
        .offset:         80
        .size:           8
        .value_kind:     global_buffer
      - .offset:         88
        .size:           4
        .value_kind:     by_value
      - .offset:         92
        .size:           1
        .value_kind:     by_value
    .group_segment_fixed_size: 0
    .kernarg_segment_align: 8
    .kernarg_segment_size: 96
    .language:       OpenCL C
    .language_version:
      - 2
      - 0
    .max_flat_workgroup_size: 128
    .name:           _ZN9rocsparseL18bsrxmvn_4x4_kernelILj128ELj32EflifffEEvT3_20rocsparse_direction_NS_24const_host_device_scalarIT1_EES1_PKS1_PKT2_SA_S7_PKT4_PKT5_S5_PT6_21rocsparse_index_base_b
    .private_segment_fixed_size: 0
    .sgpr_count:     22
    .sgpr_spill_count: 0
    .symbol:         _ZN9rocsparseL18bsrxmvn_4x4_kernelILj128ELj32EflifffEEvT3_20rocsparse_direction_NS_24const_host_device_scalarIT1_EES1_PKS1_PKT2_SA_S7_PKT4_PKT5_S5_PT6_21rocsparse_index_base_b.kd
    .uniform_work_group_size: 1
    .uses_dynamic_stack: false
    .vgpr_count:     100
    .vgpr_spill_count: 0
    .wavefront_size: 32
    .workgroup_processor_mode: 1
  - .args:
      - .offset:         0
        .size:           4
        .value_kind:     by_value
      - .offset:         4
        .size:           4
        .value_kind:     by_value
      - .offset:         8
        .size:           8
        .value_kind:     by_value
      - .offset:         16
        .size:           4
        .value_kind:     by_value
      - .actual_access:  read_only
        .address_space:  global
        .offset:         24
        .size:           8
        .value_kind:     global_buffer
      - .actual_access:  read_only
        .address_space:  global
        .offset:         32
        .size:           8
        .value_kind:     global_buffer
      - .actual_access:  read_only
        .address_space:  global
        .offset:         40
        .size:           8
        .value_kind:     global_buffer
      - .actual_access:  read_only
        .address_space:  global
        .offset:         48
        .size:           8
        .value_kind:     global_buffer
      - .actual_access:  read_only
        .address_space:  global
        .offset:         56
        .size:           8
        .value_kind:     global_buffer
      - .actual_access:  read_only
        .address_space:  global
        .offset:         64
        .size:           8
        .value_kind:     global_buffer
      - .offset:         72
        .size:           8
        .value_kind:     by_value
      - .address_space:  global
        .offset:         80
        .size:           8
        .value_kind:     global_buffer
      - .offset:         88
        .size:           4
        .value_kind:     by_value
      - .offset:         92
        .size:           1
        .value_kind:     by_value
    .group_segment_fixed_size: 0
    .kernarg_segment_align: 8
    .kernarg_segment_size: 96
    .language:       OpenCL C
    .language_version:
      - 2
      - 0
    .max_flat_workgroup_size: 128
    .name:           _ZN9rocsparseL18bsrxmvn_4x4_kernelILj128ELj64EflifffEEvT3_20rocsparse_direction_NS_24const_host_device_scalarIT1_EES1_PKS1_PKT2_SA_S7_PKT4_PKT5_S5_PT6_21rocsparse_index_base_b
    .private_segment_fixed_size: 0
    .sgpr_count:     22
    .sgpr_spill_count: 0
    .symbol:         _ZN9rocsparseL18bsrxmvn_4x4_kernelILj128ELj64EflifffEEvT3_20rocsparse_direction_NS_24const_host_device_scalarIT1_EES1_PKS1_PKT2_SA_S7_PKT4_PKT5_S5_PT6_21rocsparse_index_base_b.kd
    .uniform_work_group_size: 1
    .uses_dynamic_stack: false
    .vgpr_count:     100
    .vgpr_spill_count: 0
    .wavefront_size: 32
    .workgroup_processor_mode: 1
  - .args:
      - .offset:         0
        .size:           4
        .value_kind:     by_value
      - .offset:         4
        .size:           4
        .value_kind:     by_value
      - .offset:         8
        .size:           8
        .value_kind:     by_value
      - .offset:         16
        .size:           4
        .value_kind:     by_value
      - .actual_access:  read_only
        .address_space:  global
        .offset:         24
        .size:           8
        .value_kind:     global_buffer
      - .actual_access:  read_only
        .address_space:  global
        .offset:         32
        .size:           8
        .value_kind:     global_buffer
      - .actual_access:  read_only
        .address_space:  global
        .offset:         40
        .size:           8
        .value_kind:     global_buffer
      - .actual_access:  read_only
        .address_space:  global
        .offset:         48
        .size:           8
        .value_kind:     global_buffer
      - .actual_access:  read_only
        .address_space:  global
        .offset:         56
        .size:           8
        .value_kind:     global_buffer
      - .actual_access:  read_only
        .address_space:  global
        .offset:         64
        .size:           8
        .value_kind:     global_buffer
      - .offset:         72
        .size:           8
        .value_kind:     by_value
      - .address_space:  global
        .offset:         80
        .size:           8
        .value_kind:     global_buffer
      - .offset:         88
        .size:           4
        .value_kind:     by_value
      - .offset:         92
        .size:           1
        .value_kind:     by_value
    .group_segment_fixed_size: 0
    .kernarg_segment_align: 8
    .kernarg_segment_size: 96
    .language:       OpenCL C
    .language_version:
      - 2
      - 0
    .max_flat_workgroup_size: 128
    .name:           _ZN9rocsparseL18bsrxmvn_4x4_kernelILj128ELj4EdlidddEEvT3_20rocsparse_direction_NS_24const_host_device_scalarIT1_EES1_PKS1_PKT2_SA_S7_PKT4_PKT5_S5_PT6_21rocsparse_index_base_b
    .private_segment_fixed_size: 0
    .sgpr_count:     18
    .sgpr_spill_count: 0
    .symbol:         _ZN9rocsparseL18bsrxmvn_4x4_kernelILj128ELj4EdlidddEEvT3_20rocsparse_direction_NS_24const_host_device_scalarIT1_EES1_PKS1_PKT2_SA_S7_PKT4_PKT5_S5_PT6_21rocsparse_index_base_b.kd
    .uniform_work_group_size: 1
    .uses_dynamic_stack: false
    .vgpr_count:     147
    .vgpr_spill_count: 0
    .wavefront_size: 32
    .workgroup_processor_mode: 1
  - .args:
      - .offset:         0
        .size:           4
        .value_kind:     by_value
      - .offset:         4
        .size:           4
        .value_kind:     by_value
      - .offset:         8
        .size:           8
        .value_kind:     by_value
      - .offset:         16
        .size:           4
        .value_kind:     by_value
      - .actual_access:  read_only
        .address_space:  global
        .offset:         24
        .size:           8
        .value_kind:     global_buffer
      - .actual_access:  read_only
        .address_space:  global
        .offset:         32
        .size:           8
        .value_kind:     global_buffer
      - .actual_access:  read_only
        .address_space:  global
        .offset:         40
        .size:           8
        .value_kind:     global_buffer
      - .actual_access:  read_only
        .address_space:  global
        .offset:         48
        .size:           8
        .value_kind:     global_buffer
      - .actual_access:  read_only
        .address_space:  global
        .offset:         56
        .size:           8
        .value_kind:     global_buffer
      - .actual_access:  read_only
        .address_space:  global
        .offset:         64
        .size:           8
        .value_kind:     global_buffer
      - .offset:         72
        .size:           8
        .value_kind:     by_value
      - .address_space:  global
        .offset:         80
        .size:           8
        .value_kind:     global_buffer
      - .offset:         88
        .size:           4
        .value_kind:     by_value
      - .offset:         92
        .size:           1
        .value_kind:     by_value
    .group_segment_fixed_size: 0
    .kernarg_segment_align: 8
    .kernarg_segment_size: 96
    .language:       OpenCL C
    .language_version:
      - 2
      - 0
    .max_flat_workgroup_size: 128
    .name:           _ZN9rocsparseL18bsrxmvn_4x4_kernelILj128ELj8EdlidddEEvT3_20rocsparse_direction_NS_24const_host_device_scalarIT1_EES1_PKS1_PKT2_SA_S7_PKT4_PKT5_S5_PT6_21rocsparse_index_base_b
    .private_segment_fixed_size: 0
    .sgpr_count:     18
    .sgpr_spill_count: 0
    .symbol:         _ZN9rocsparseL18bsrxmvn_4x4_kernelILj128ELj8EdlidddEEvT3_20rocsparse_direction_NS_24const_host_device_scalarIT1_EES1_PKS1_PKT2_SA_S7_PKT4_PKT5_S5_PT6_21rocsparse_index_base_b.kd
    .uniform_work_group_size: 1
    .uses_dynamic_stack: false
    .vgpr_count:     147
    .vgpr_spill_count: 0
    .wavefront_size: 32
    .workgroup_processor_mode: 1
  - .args:
      - .offset:         0
        .size:           4
        .value_kind:     by_value
      - .offset:         4
        .size:           4
        .value_kind:     by_value
      - .offset:         8
        .size:           8
        .value_kind:     by_value
      - .offset:         16
        .size:           4
        .value_kind:     by_value
      - .actual_access:  read_only
        .address_space:  global
        .offset:         24
        .size:           8
        .value_kind:     global_buffer
      - .actual_access:  read_only
        .address_space:  global
        .offset:         32
        .size:           8
        .value_kind:     global_buffer
      - .actual_access:  read_only
        .address_space:  global
        .offset:         40
        .size:           8
        .value_kind:     global_buffer
      - .actual_access:  read_only
        .address_space:  global
        .offset:         48
        .size:           8
        .value_kind:     global_buffer
      - .actual_access:  read_only
        .address_space:  global
        .offset:         56
        .size:           8
        .value_kind:     global_buffer
      - .actual_access:  read_only
        .address_space:  global
        .offset:         64
        .size:           8
        .value_kind:     global_buffer
      - .offset:         72
        .size:           8
        .value_kind:     by_value
      - .address_space:  global
        .offset:         80
        .size:           8
        .value_kind:     global_buffer
      - .offset:         88
        .size:           4
        .value_kind:     by_value
      - .offset:         92
        .size:           1
        .value_kind:     by_value
    .group_segment_fixed_size: 0
    .kernarg_segment_align: 8
    .kernarg_segment_size: 96
    .language:       OpenCL C
    .language_version:
      - 2
      - 0
    .max_flat_workgroup_size: 128
    .name:           _ZN9rocsparseL18bsrxmvn_4x4_kernelILj128ELj16EdlidddEEvT3_20rocsparse_direction_NS_24const_host_device_scalarIT1_EES1_PKS1_PKT2_SA_S7_PKT4_PKT5_S5_PT6_21rocsparse_index_base_b
    .private_segment_fixed_size: 0
    .sgpr_count:     18
    .sgpr_spill_count: 0
    .symbol:         _ZN9rocsparseL18bsrxmvn_4x4_kernelILj128ELj16EdlidddEEvT3_20rocsparse_direction_NS_24const_host_device_scalarIT1_EES1_PKS1_PKT2_SA_S7_PKT4_PKT5_S5_PT6_21rocsparse_index_base_b.kd
    .uniform_work_group_size: 1
    .uses_dynamic_stack: false
    .vgpr_count:     146
    .vgpr_spill_count: 0
    .wavefront_size: 32
    .workgroup_processor_mode: 1
  - .args:
      - .offset:         0
        .size:           4
        .value_kind:     by_value
      - .offset:         4
        .size:           4
        .value_kind:     by_value
      - .offset:         8
        .size:           8
        .value_kind:     by_value
      - .offset:         16
        .size:           4
        .value_kind:     by_value
      - .actual_access:  read_only
        .address_space:  global
        .offset:         24
        .size:           8
        .value_kind:     global_buffer
      - .actual_access:  read_only
        .address_space:  global
        .offset:         32
        .size:           8
        .value_kind:     global_buffer
      - .actual_access:  read_only
        .address_space:  global
        .offset:         40
        .size:           8
        .value_kind:     global_buffer
      - .actual_access:  read_only
        .address_space:  global
        .offset:         48
        .size:           8
        .value_kind:     global_buffer
      - .actual_access:  read_only
        .address_space:  global
        .offset:         56
        .size:           8
        .value_kind:     global_buffer
      - .actual_access:  read_only
        .address_space:  global
        .offset:         64
        .size:           8
        .value_kind:     global_buffer
      - .offset:         72
        .size:           8
        .value_kind:     by_value
      - .address_space:  global
        .offset:         80
        .size:           8
        .value_kind:     global_buffer
      - .offset:         88
        .size:           4
        .value_kind:     by_value
      - .offset:         92
        .size:           1
        .value_kind:     by_value
    .group_segment_fixed_size: 0
    .kernarg_segment_align: 8
    .kernarg_segment_size: 96
    .language:       OpenCL C
    .language_version:
      - 2
      - 0
    .max_flat_workgroup_size: 128
    .name:           _ZN9rocsparseL18bsrxmvn_4x4_kernelILj128ELj32EdlidddEEvT3_20rocsparse_direction_NS_24const_host_device_scalarIT1_EES1_PKS1_PKT2_SA_S7_PKT4_PKT5_S5_PT6_21rocsparse_index_base_b
    .private_segment_fixed_size: 0
    .sgpr_count:     18
    .sgpr_spill_count: 0
    .symbol:         _ZN9rocsparseL18bsrxmvn_4x4_kernelILj128ELj32EdlidddEEvT3_20rocsparse_direction_NS_24const_host_device_scalarIT1_EES1_PKS1_PKT2_SA_S7_PKT4_PKT5_S5_PT6_21rocsparse_index_base_b.kd
    .uniform_work_group_size: 1
    .uses_dynamic_stack: false
    .vgpr_count:     146
    .vgpr_spill_count: 0
    .wavefront_size: 32
    .workgroup_processor_mode: 1
  - .args:
      - .offset:         0
        .size:           4
        .value_kind:     by_value
      - .offset:         4
        .size:           4
        .value_kind:     by_value
      - .offset:         8
        .size:           8
        .value_kind:     by_value
      - .offset:         16
        .size:           4
        .value_kind:     by_value
      - .actual_access:  read_only
        .address_space:  global
        .offset:         24
        .size:           8
        .value_kind:     global_buffer
      - .actual_access:  read_only
        .address_space:  global
        .offset:         32
        .size:           8
        .value_kind:     global_buffer
      - .actual_access:  read_only
        .address_space:  global
        .offset:         40
        .size:           8
        .value_kind:     global_buffer
      - .actual_access:  read_only
        .address_space:  global
        .offset:         48
        .size:           8
        .value_kind:     global_buffer
      - .actual_access:  read_only
        .address_space:  global
        .offset:         56
        .size:           8
        .value_kind:     global_buffer
      - .actual_access:  read_only
        .address_space:  global
        .offset:         64
        .size:           8
        .value_kind:     global_buffer
      - .offset:         72
        .size:           8
        .value_kind:     by_value
      - .address_space:  global
        .offset:         80
        .size:           8
        .value_kind:     global_buffer
      - .offset:         88
        .size:           4
        .value_kind:     by_value
      - .offset:         92
        .size:           1
        .value_kind:     by_value
    .group_segment_fixed_size: 0
    .kernarg_segment_align: 8
    .kernarg_segment_size: 96
    .language:       OpenCL C
    .language_version:
      - 2
      - 0
    .max_flat_workgroup_size: 128
    .name:           _ZN9rocsparseL18bsrxmvn_4x4_kernelILj128ELj64EdlidddEEvT3_20rocsparse_direction_NS_24const_host_device_scalarIT1_EES1_PKS1_PKT2_SA_S7_PKT4_PKT5_S5_PT6_21rocsparse_index_base_b
    .private_segment_fixed_size: 0
    .sgpr_count:     18
    .sgpr_spill_count: 0
    .symbol:         _ZN9rocsparseL18bsrxmvn_4x4_kernelILj128ELj64EdlidddEEvT3_20rocsparse_direction_NS_24const_host_device_scalarIT1_EES1_PKS1_PKT2_SA_S7_PKT4_PKT5_S5_PT6_21rocsparse_index_base_b.kd
    .uniform_work_group_size: 1
    .uses_dynamic_stack: false
    .vgpr_count:     146
    .vgpr_spill_count: 0
    .wavefront_size: 32
    .workgroup_processor_mode: 1
  - .args:
      - .offset:         0
        .size:           4
        .value_kind:     by_value
      - .offset:         4
        .size:           4
        .value_kind:     by_value
      - .offset:         8
        .size:           8
        .value_kind:     by_value
      - .offset:         16
        .size:           4
        .value_kind:     by_value
      - .actual_access:  read_only
        .address_space:  global
        .offset:         24
        .size:           8
        .value_kind:     global_buffer
      - .actual_access:  read_only
        .address_space:  global
        .offset:         32
        .size:           8
        .value_kind:     global_buffer
      - .actual_access:  read_only
        .address_space:  global
        .offset:         40
        .size:           8
        .value_kind:     global_buffer
      - .actual_access:  read_only
        .address_space:  global
        .offset:         48
        .size:           8
        .value_kind:     global_buffer
      - .actual_access:  read_only
        .address_space:  global
        .offset:         56
        .size:           8
        .value_kind:     global_buffer
      - .actual_access:  read_only
        .address_space:  global
        .offset:         64
        .size:           8
        .value_kind:     global_buffer
      - .offset:         72
        .size:           8
        .value_kind:     by_value
      - .address_space:  global
        .offset:         80
        .size:           8
        .value_kind:     global_buffer
      - .offset:         88
        .size:           4
        .value_kind:     by_value
      - .offset:         92
        .size:           1
        .value_kind:     by_value
    .group_segment_fixed_size: 0
    .kernarg_segment_align: 8
    .kernarg_segment_size: 96
    .language:       OpenCL C
    .language_version:
      - 2
      - 0
    .max_flat_workgroup_size: 128
    .name:           _ZN9rocsparseL18bsrxmvn_4x4_kernelILj128ELj4E21rocsparse_complex_numIfEliS2_S2_S2_EEvT3_20rocsparse_direction_NS_24const_host_device_scalarIT1_EES3_PKS3_PKT2_SC_S9_PKT4_PKT5_S7_PT6_21rocsparse_index_base_b
    .private_segment_fixed_size: 0
    .sgpr_count:     18
    .sgpr_spill_count: 0
    .symbol:         _ZN9rocsparseL18bsrxmvn_4x4_kernelILj128ELj4E21rocsparse_complex_numIfEliS2_S2_S2_EEvT3_20rocsparse_direction_NS_24const_host_device_scalarIT1_EES3_PKS3_PKT2_SC_S9_PKT4_PKT5_S7_PT6_21rocsparse_index_base_b.kd
    .uniform_work_group_size: 1
    .uses_dynamic_stack: false
    .vgpr_count:     182
    .vgpr_spill_count: 0
    .wavefront_size: 32
    .workgroup_processor_mode: 1
  - .args:
      - .offset:         0
        .size:           4
        .value_kind:     by_value
      - .offset:         4
        .size:           4
        .value_kind:     by_value
      - .offset:         8
        .size:           8
        .value_kind:     by_value
      - .offset:         16
        .size:           4
        .value_kind:     by_value
      - .actual_access:  read_only
        .address_space:  global
        .offset:         24
        .size:           8
        .value_kind:     global_buffer
      - .actual_access:  read_only
        .address_space:  global
        .offset:         32
        .size:           8
        .value_kind:     global_buffer
      - .actual_access:  read_only
        .address_space:  global
        .offset:         40
        .size:           8
        .value_kind:     global_buffer
      - .actual_access:  read_only
        .address_space:  global
        .offset:         48
        .size:           8
        .value_kind:     global_buffer
      - .actual_access:  read_only
        .address_space:  global
        .offset:         56
        .size:           8
        .value_kind:     global_buffer
      - .actual_access:  read_only
        .address_space:  global
        .offset:         64
        .size:           8
        .value_kind:     global_buffer
      - .offset:         72
        .size:           8
        .value_kind:     by_value
      - .address_space:  global
        .offset:         80
        .size:           8
        .value_kind:     global_buffer
      - .offset:         88
        .size:           4
        .value_kind:     by_value
      - .offset:         92
        .size:           1
        .value_kind:     by_value
    .group_segment_fixed_size: 0
    .kernarg_segment_align: 8
    .kernarg_segment_size: 96
    .language:       OpenCL C
    .language_version:
      - 2
      - 0
    .max_flat_workgroup_size: 128
    .name:           _ZN9rocsparseL18bsrxmvn_4x4_kernelILj128ELj8E21rocsparse_complex_numIfEliS2_S2_S2_EEvT3_20rocsparse_direction_NS_24const_host_device_scalarIT1_EES3_PKS3_PKT2_SC_S9_PKT4_PKT5_S7_PT6_21rocsparse_index_base_b
    .private_segment_fixed_size: 0
    .sgpr_count:     18
    .sgpr_spill_count: 0
    .symbol:         _ZN9rocsparseL18bsrxmvn_4x4_kernelILj128ELj8E21rocsparse_complex_numIfEliS2_S2_S2_EEvT3_20rocsparse_direction_NS_24const_host_device_scalarIT1_EES3_PKS3_PKT2_SC_S9_PKT4_PKT5_S7_PT6_21rocsparse_index_base_b.kd
    .uniform_work_group_size: 1
    .uses_dynamic_stack: false
    .vgpr_count:     182
    .vgpr_spill_count: 0
    .wavefront_size: 32
    .workgroup_processor_mode: 1
  - .args:
      - .offset:         0
        .size:           4
        .value_kind:     by_value
      - .offset:         4
        .size:           4
        .value_kind:     by_value
      - .offset:         8
        .size:           8
        .value_kind:     by_value
      - .offset:         16
        .size:           4
        .value_kind:     by_value
      - .actual_access:  read_only
        .address_space:  global
        .offset:         24
        .size:           8
        .value_kind:     global_buffer
      - .actual_access:  read_only
        .address_space:  global
        .offset:         32
        .size:           8
        .value_kind:     global_buffer
      - .actual_access:  read_only
        .address_space:  global
        .offset:         40
        .size:           8
        .value_kind:     global_buffer
      - .actual_access:  read_only
        .address_space:  global
        .offset:         48
        .size:           8
        .value_kind:     global_buffer
      - .actual_access:  read_only
        .address_space:  global
        .offset:         56
        .size:           8
        .value_kind:     global_buffer
      - .actual_access:  read_only
        .address_space:  global
        .offset:         64
        .size:           8
        .value_kind:     global_buffer
      - .offset:         72
        .size:           8
        .value_kind:     by_value
      - .address_space:  global
        .offset:         80
        .size:           8
        .value_kind:     global_buffer
      - .offset:         88
        .size:           4
        .value_kind:     by_value
      - .offset:         92
        .size:           1
        .value_kind:     by_value
    .group_segment_fixed_size: 0
    .kernarg_segment_align: 8
    .kernarg_segment_size: 96
    .language:       OpenCL C
    .language_version:
      - 2
      - 0
    .max_flat_workgroup_size: 128
    .name:           _ZN9rocsparseL18bsrxmvn_4x4_kernelILj128ELj16E21rocsparse_complex_numIfEliS2_S2_S2_EEvT3_20rocsparse_direction_NS_24const_host_device_scalarIT1_EES3_PKS3_PKT2_SC_S9_PKT4_PKT5_S7_PT6_21rocsparse_index_base_b
    .private_segment_fixed_size: 0
    .sgpr_count:     18
    .sgpr_spill_count: 0
    .symbol:         _ZN9rocsparseL18bsrxmvn_4x4_kernelILj128ELj16E21rocsparse_complex_numIfEliS2_S2_S2_EEvT3_20rocsparse_direction_NS_24const_host_device_scalarIT1_EES3_PKS3_PKT2_SC_S9_PKT4_PKT5_S7_PT6_21rocsparse_index_base_b.kd
    .uniform_work_group_size: 1
    .uses_dynamic_stack: false
    .vgpr_count:     180
    .vgpr_spill_count: 0
    .wavefront_size: 32
    .workgroup_processor_mode: 1
  - .args:
      - .offset:         0
        .size:           4
        .value_kind:     by_value
      - .offset:         4
        .size:           4
        .value_kind:     by_value
      - .offset:         8
        .size:           8
        .value_kind:     by_value
      - .offset:         16
        .size:           4
        .value_kind:     by_value
      - .actual_access:  read_only
        .address_space:  global
        .offset:         24
        .size:           8
        .value_kind:     global_buffer
      - .actual_access:  read_only
        .address_space:  global
        .offset:         32
        .size:           8
        .value_kind:     global_buffer
      - .actual_access:  read_only
        .address_space:  global
        .offset:         40
        .size:           8
        .value_kind:     global_buffer
      - .actual_access:  read_only
        .address_space:  global
        .offset:         48
        .size:           8
        .value_kind:     global_buffer
      - .actual_access:  read_only
        .address_space:  global
        .offset:         56
        .size:           8
        .value_kind:     global_buffer
      - .actual_access:  read_only
        .address_space:  global
        .offset:         64
        .size:           8
        .value_kind:     global_buffer
      - .offset:         72
        .size:           8
        .value_kind:     by_value
      - .address_space:  global
        .offset:         80
        .size:           8
        .value_kind:     global_buffer
      - .offset:         88
        .size:           4
        .value_kind:     by_value
      - .offset:         92
        .size:           1
        .value_kind:     by_value
    .group_segment_fixed_size: 0
    .kernarg_segment_align: 8
    .kernarg_segment_size: 96
    .language:       OpenCL C
    .language_version:
      - 2
      - 0
    .max_flat_workgroup_size: 128
    .name:           _ZN9rocsparseL18bsrxmvn_4x4_kernelILj128ELj32E21rocsparse_complex_numIfEliS2_S2_S2_EEvT3_20rocsparse_direction_NS_24const_host_device_scalarIT1_EES3_PKS3_PKT2_SC_S9_PKT4_PKT5_S7_PT6_21rocsparse_index_base_b
    .private_segment_fixed_size: 0
    .sgpr_count:     18
    .sgpr_spill_count: 0
    .symbol:         _ZN9rocsparseL18bsrxmvn_4x4_kernelILj128ELj32E21rocsparse_complex_numIfEliS2_S2_S2_EEvT3_20rocsparse_direction_NS_24const_host_device_scalarIT1_EES3_PKS3_PKT2_SC_S9_PKT4_PKT5_S7_PT6_21rocsparse_index_base_b.kd
    .uniform_work_group_size: 1
    .uses_dynamic_stack: false
    .vgpr_count:     180
    .vgpr_spill_count: 0
    .wavefront_size: 32
    .workgroup_processor_mode: 1
  - .args:
      - .offset:         0
        .size:           4
        .value_kind:     by_value
      - .offset:         4
        .size:           4
        .value_kind:     by_value
      - .offset:         8
        .size:           8
        .value_kind:     by_value
      - .offset:         16
        .size:           4
        .value_kind:     by_value
      - .actual_access:  read_only
        .address_space:  global
        .offset:         24
        .size:           8
        .value_kind:     global_buffer
      - .actual_access:  read_only
        .address_space:  global
        .offset:         32
        .size:           8
        .value_kind:     global_buffer
      - .actual_access:  read_only
        .address_space:  global
        .offset:         40
        .size:           8
        .value_kind:     global_buffer
      - .actual_access:  read_only
        .address_space:  global
        .offset:         48
        .size:           8
        .value_kind:     global_buffer
      - .actual_access:  read_only
        .address_space:  global
        .offset:         56
        .size:           8
        .value_kind:     global_buffer
      - .actual_access:  read_only
        .address_space:  global
        .offset:         64
        .size:           8
        .value_kind:     global_buffer
      - .offset:         72
        .size:           8
        .value_kind:     by_value
      - .address_space:  global
        .offset:         80
        .size:           8
        .value_kind:     global_buffer
      - .offset:         88
        .size:           4
        .value_kind:     by_value
      - .offset:         92
        .size:           1
        .value_kind:     by_value
    .group_segment_fixed_size: 0
    .kernarg_segment_align: 8
    .kernarg_segment_size: 96
    .language:       OpenCL C
    .language_version:
      - 2
      - 0
    .max_flat_workgroup_size: 128
    .name:           _ZN9rocsparseL18bsrxmvn_4x4_kernelILj128ELj64E21rocsparse_complex_numIfEliS2_S2_S2_EEvT3_20rocsparse_direction_NS_24const_host_device_scalarIT1_EES3_PKS3_PKT2_SC_S9_PKT4_PKT5_S7_PT6_21rocsparse_index_base_b
    .private_segment_fixed_size: 0
    .sgpr_count:     18
    .sgpr_spill_count: 0
    .symbol:         _ZN9rocsparseL18bsrxmvn_4x4_kernelILj128ELj64E21rocsparse_complex_numIfEliS2_S2_S2_EEvT3_20rocsparse_direction_NS_24const_host_device_scalarIT1_EES3_PKS3_PKT2_SC_S9_PKT4_PKT5_S7_PT6_21rocsparse_index_base_b.kd
    .uniform_work_group_size: 1
    .uses_dynamic_stack: false
    .vgpr_count:     180
    .vgpr_spill_count: 0
    .wavefront_size: 32
    .workgroup_processor_mode: 1
  - .args:
      - .offset:         0
        .size:           4
        .value_kind:     by_value
      - .offset:         4
        .size:           4
        .value_kind:     by_value
      - .offset:         8
        .size:           16
        .value_kind:     by_value
      - .offset:         24
        .size:           4
        .value_kind:     by_value
      - .actual_access:  read_only
        .address_space:  global
        .offset:         32
        .size:           8
        .value_kind:     global_buffer
      - .actual_access:  read_only
        .address_space:  global
        .offset:         40
        .size:           8
        .value_kind:     global_buffer
      - .actual_access:  read_only
        .address_space:  global
        .offset:         48
        .size:           8
        .value_kind:     global_buffer
      - .actual_access:  read_only
        .address_space:  global
        .offset:         56
        .size:           8
        .value_kind:     global_buffer
      - .actual_access:  read_only
        .address_space:  global
        .offset:         64
        .size:           8
        .value_kind:     global_buffer
      - .actual_access:  read_only
        .address_space:  global
        .offset:         72
        .size:           8
        .value_kind:     global_buffer
      - .offset:         80
        .size:           16
        .value_kind:     by_value
      - .address_space:  global
        .offset:         96
        .size:           8
        .value_kind:     global_buffer
      - .offset:         104
        .size:           4
        .value_kind:     by_value
      - .offset:         108
        .size:           1
        .value_kind:     by_value
    .group_segment_fixed_size: 2048
    .kernarg_segment_align: 8
    .kernarg_segment_size: 112
    .language:       OpenCL C
    .language_version:
      - 2
      - 0
    .max_flat_workgroup_size: 128
    .name:           _ZN9rocsparseL18bsrxmvn_4x4_kernelILj128ELj4E21rocsparse_complex_numIdEliS2_S2_S2_EEvT3_20rocsparse_direction_NS_24const_host_device_scalarIT1_EES3_PKS3_PKT2_SC_S9_PKT4_PKT5_S7_PT6_21rocsparse_index_base_b
    .private_segment_fixed_size: 0
    .sgpr_count:     20
    .sgpr_spill_count: 0
    .symbol:         _ZN9rocsparseL18bsrxmvn_4x4_kernelILj128ELj4E21rocsparse_complex_numIdEliS2_S2_S2_EEvT3_20rocsparse_direction_NS_24const_host_device_scalarIT1_EES3_PKS3_PKT2_SC_S9_PKT4_PKT5_S7_PT6_21rocsparse_index_base_b.kd
    .uniform_work_group_size: 1
    .uses_dynamic_stack: false
    .vgpr_count:     157
    .vgpr_spill_count: 0
    .wavefront_size: 32
    .workgroup_processor_mode: 1
  - .args:
      - .offset:         0
        .size:           4
        .value_kind:     by_value
      - .offset:         4
        .size:           4
        .value_kind:     by_value
      - .offset:         8
        .size:           16
        .value_kind:     by_value
      - .offset:         24
        .size:           4
        .value_kind:     by_value
      - .actual_access:  read_only
        .address_space:  global
        .offset:         32
        .size:           8
        .value_kind:     global_buffer
      - .actual_access:  read_only
        .address_space:  global
        .offset:         40
        .size:           8
        .value_kind:     global_buffer
      - .actual_access:  read_only
        .address_space:  global
        .offset:         48
        .size:           8
        .value_kind:     global_buffer
      - .actual_access:  read_only
        .address_space:  global
        .offset:         56
        .size:           8
        .value_kind:     global_buffer
      - .actual_access:  read_only
        .address_space:  global
        .offset:         64
        .size:           8
        .value_kind:     global_buffer
      - .actual_access:  read_only
        .address_space:  global
        .offset:         72
        .size:           8
        .value_kind:     global_buffer
      - .offset:         80
        .size:           16
        .value_kind:     by_value
      - .address_space:  global
        .offset:         96
        .size:           8
        .value_kind:     global_buffer
      - .offset:         104
        .size:           4
        .value_kind:     by_value
      - .offset:         108
        .size:           1
        .value_kind:     by_value
    .group_segment_fixed_size: 2048
    .kernarg_segment_align: 8
    .kernarg_segment_size: 112
    .language:       OpenCL C
    .language_version:
      - 2
      - 0
    .max_flat_workgroup_size: 128
    .name:           _ZN9rocsparseL18bsrxmvn_4x4_kernelILj128ELj8E21rocsparse_complex_numIdEliS2_S2_S2_EEvT3_20rocsparse_direction_NS_24const_host_device_scalarIT1_EES3_PKS3_PKT2_SC_S9_PKT4_PKT5_S7_PT6_21rocsparse_index_base_b
    .private_segment_fixed_size: 0
    .sgpr_count:     20
    .sgpr_spill_count: 0
    .symbol:         _ZN9rocsparseL18bsrxmvn_4x4_kernelILj128ELj8E21rocsparse_complex_numIdEliS2_S2_S2_EEvT3_20rocsparse_direction_NS_24const_host_device_scalarIT1_EES3_PKS3_PKT2_SC_S9_PKT4_PKT5_S7_PT6_21rocsparse_index_base_b.kd
    .uniform_work_group_size: 1
    .uses_dynamic_stack: false
    .vgpr_count:     159
    .vgpr_spill_count: 0
    .wavefront_size: 32
    .workgroup_processor_mode: 1
  - .args:
      - .offset:         0
        .size:           4
        .value_kind:     by_value
      - .offset:         4
        .size:           4
        .value_kind:     by_value
      - .offset:         8
        .size:           16
        .value_kind:     by_value
      - .offset:         24
        .size:           4
        .value_kind:     by_value
      - .actual_access:  read_only
        .address_space:  global
        .offset:         32
        .size:           8
        .value_kind:     global_buffer
      - .actual_access:  read_only
        .address_space:  global
        .offset:         40
        .size:           8
        .value_kind:     global_buffer
      - .actual_access:  read_only
        .address_space:  global
        .offset:         48
        .size:           8
        .value_kind:     global_buffer
      - .actual_access:  read_only
        .address_space:  global
        .offset:         56
        .size:           8
        .value_kind:     global_buffer
      - .actual_access:  read_only
        .address_space:  global
        .offset:         64
        .size:           8
        .value_kind:     global_buffer
      - .actual_access:  read_only
        .address_space:  global
        .offset:         72
        .size:           8
        .value_kind:     global_buffer
      - .offset:         80
        .size:           16
        .value_kind:     by_value
      - .address_space:  global
        .offset:         96
        .size:           8
        .value_kind:     global_buffer
      - .offset:         104
        .size:           4
        .value_kind:     by_value
      - .offset:         108
        .size:           1
        .value_kind:     by_value
    .group_segment_fixed_size: 2048
    .kernarg_segment_align: 8
    .kernarg_segment_size: 112
    .language:       OpenCL C
    .language_version:
      - 2
      - 0
    .max_flat_workgroup_size: 128
    .name:           _ZN9rocsparseL18bsrxmvn_4x4_kernelILj128ELj16E21rocsparse_complex_numIdEliS2_S2_S2_EEvT3_20rocsparse_direction_NS_24const_host_device_scalarIT1_EES3_PKS3_PKT2_SC_S9_PKT4_PKT5_S7_PT6_21rocsparse_index_base_b
    .private_segment_fixed_size: 0
    .sgpr_count:     20
    .sgpr_spill_count: 0
    .symbol:         _ZN9rocsparseL18bsrxmvn_4x4_kernelILj128ELj16E21rocsparse_complex_numIdEliS2_S2_S2_EEvT3_20rocsparse_direction_NS_24const_host_device_scalarIT1_EES3_PKS3_PKT2_SC_S9_PKT4_PKT5_S7_PT6_21rocsparse_index_base_b.kd
    .uniform_work_group_size: 1
    .uses_dynamic_stack: false
    .vgpr_count:     160
    .vgpr_spill_count: 0
    .wavefront_size: 32
    .workgroup_processor_mode: 1
  - .args:
      - .offset:         0
        .size:           4
        .value_kind:     by_value
      - .offset:         4
        .size:           4
        .value_kind:     by_value
      - .offset:         8
        .size:           16
        .value_kind:     by_value
      - .offset:         24
        .size:           4
        .value_kind:     by_value
      - .actual_access:  read_only
        .address_space:  global
        .offset:         32
        .size:           8
        .value_kind:     global_buffer
      - .actual_access:  read_only
        .address_space:  global
        .offset:         40
        .size:           8
        .value_kind:     global_buffer
      - .actual_access:  read_only
        .address_space:  global
        .offset:         48
        .size:           8
        .value_kind:     global_buffer
      - .actual_access:  read_only
        .address_space:  global
        .offset:         56
        .size:           8
        .value_kind:     global_buffer
      - .actual_access:  read_only
        .address_space:  global
        .offset:         64
        .size:           8
        .value_kind:     global_buffer
      - .actual_access:  read_only
        .address_space:  global
        .offset:         72
        .size:           8
        .value_kind:     global_buffer
      - .offset:         80
        .size:           16
        .value_kind:     by_value
      - .address_space:  global
        .offset:         96
        .size:           8
        .value_kind:     global_buffer
      - .offset:         104
        .size:           4
        .value_kind:     by_value
      - .offset:         108
        .size:           1
        .value_kind:     by_value
    .group_segment_fixed_size: 2048
    .kernarg_segment_align: 8
    .kernarg_segment_size: 112
    .language:       OpenCL C
    .language_version:
      - 2
      - 0
    .max_flat_workgroup_size: 128
    .name:           _ZN9rocsparseL18bsrxmvn_4x4_kernelILj128ELj32E21rocsparse_complex_numIdEliS2_S2_S2_EEvT3_20rocsparse_direction_NS_24const_host_device_scalarIT1_EES3_PKS3_PKT2_SC_S9_PKT4_PKT5_S7_PT6_21rocsparse_index_base_b
    .private_segment_fixed_size: 0
    .sgpr_count:     20
    .sgpr_spill_count: 0
    .symbol:         _ZN9rocsparseL18bsrxmvn_4x4_kernelILj128ELj32E21rocsparse_complex_numIdEliS2_S2_S2_EEvT3_20rocsparse_direction_NS_24const_host_device_scalarIT1_EES3_PKS3_PKT2_SC_S9_PKT4_PKT5_S7_PT6_21rocsparse_index_base_b.kd
    .uniform_work_group_size: 1
    .uses_dynamic_stack: false
    .vgpr_count:     159
    .vgpr_spill_count: 0
    .wavefront_size: 32
    .workgroup_processor_mode: 1
  - .args:
      - .offset:         0
        .size:           4
        .value_kind:     by_value
      - .offset:         4
        .size:           4
        .value_kind:     by_value
      - .offset:         8
        .size:           16
        .value_kind:     by_value
      - .offset:         24
        .size:           4
        .value_kind:     by_value
      - .actual_access:  read_only
        .address_space:  global
        .offset:         32
        .size:           8
        .value_kind:     global_buffer
      - .actual_access:  read_only
        .address_space:  global
        .offset:         40
        .size:           8
        .value_kind:     global_buffer
      - .actual_access:  read_only
        .address_space:  global
        .offset:         48
        .size:           8
        .value_kind:     global_buffer
      - .actual_access:  read_only
        .address_space:  global
        .offset:         56
        .size:           8
        .value_kind:     global_buffer
      - .actual_access:  read_only
        .address_space:  global
        .offset:         64
        .size:           8
        .value_kind:     global_buffer
      - .actual_access:  read_only
        .address_space:  global
        .offset:         72
        .size:           8
        .value_kind:     global_buffer
      - .offset:         80
        .size:           16
        .value_kind:     by_value
      - .address_space:  global
        .offset:         96
        .size:           8
        .value_kind:     global_buffer
      - .offset:         104
        .size:           4
        .value_kind:     by_value
      - .offset:         108
        .size:           1
        .value_kind:     by_value
    .group_segment_fixed_size: 2048
    .kernarg_segment_align: 8
    .kernarg_segment_size: 112
    .language:       OpenCL C
    .language_version:
      - 2
      - 0
    .max_flat_workgroup_size: 128
    .name:           _ZN9rocsparseL18bsrxmvn_4x4_kernelILj128ELj64E21rocsparse_complex_numIdEliS2_S2_S2_EEvT3_20rocsparse_direction_NS_24const_host_device_scalarIT1_EES3_PKS3_PKT2_SC_S9_PKT4_PKT5_S7_PT6_21rocsparse_index_base_b
    .private_segment_fixed_size: 0
    .sgpr_count:     20
    .sgpr_spill_count: 0
    .symbol:         _ZN9rocsparseL18bsrxmvn_4x4_kernelILj128ELj64E21rocsparse_complex_numIdEliS2_S2_S2_EEvT3_20rocsparse_direction_NS_24const_host_device_scalarIT1_EES3_PKS3_PKT2_SC_S9_PKT4_PKT5_S7_PT6_21rocsparse_index_base_b.kd
    .uniform_work_group_size: 1
    .uses_dynamic_stack: false
    .vgpr_count:     159
    .vgpr_spill_count: 0
    .wavefront_size: 32
    .workgroup_processor_mode: 1
  - .args:
      - .offset:         0
        .size:           8
        .value_kind:     by_value
      - .offset:         8
        .size:           4
        .value_kind:     by_value
      - .offset:         16
        .size:           8
        .value_kind:     by_value
      - .offset:         24
        .size:           8
        .value_kind:     by_value
      - .actual_access:  read_only
        .address_space:  global
        .offset:         32
        .size:           8
        .value_kind:     global_buffer
      - .actual_access:  read_only
        .address_space:  global
        .offset:         40
        .size:           8
        .value_kind:     global_buffer
      - .actual_access:  read_only
        .address_space:  global
        .offset:         48
        .size:           8
        .value_kind:     global_buffer
      - .actual_access:  read_only
        .address_space:  global
        .offset:         56
        .size:           8
        .value_kind:     global_buffer
      - .actual_access:  read_only
        .address_space:  global
        .offset:         64
        .size:           8
        .value_kind:     global_buffer
      - .actual_access:  read_only
        .address_space:  global
        .offset:         72
        .size:           8
        .value_kind:     global_buffer
      - .offset:         80
        .size:           8
        .value_kind:     by_value
      - .address_space:  global
        .offset:         88
        .size:           8
        .value_kind:     global_buffer
      - .offset:         96
        .size:           4
        .value_kind:     by_value
      - .offset:         100
        .size:           1
        .value_kind:     by_value
    .group_segment_fixed_size: 0
    .kernarg_segment_align: 8
    .kernarg_segment_size: 104
    .language:       OpenCL C
    .language_version:
      - 2
      - 0
    .max_flat_workgroup_size: 128
    .name:           _ZN9rocsparseL18bsrxmvn_4x4_kernelILj128ELj4EfllfffEEvT3_20rocsparse_direction_NS_24const_host_device_scalarIT1_EES1_PKS1_PKT2_SA_S7_PKT4_PKT5_S5_PT6_21rocsparse_index_base_b
    .private_segment_fixed_size: 0
    .sgpr_count:     24
    .sgpr_spill_count: 0
    .symbol:         _ZN9rocsparseL18bsrxmvn_4x4_kernelILj128ELj4EfllfffEEvT3_20rocsparse_direction_NS_24const_host_device_scalarIT1_EES1_PKS1_PKT2_SA_S7_PKT4_PKT5_S5_PT6_21rocsparse_index_base_b.kd
    .uniform_work_group_size: 1
    .uses_dynamic_stack: false
    .vgpr_count:     101
    .vgpr_spill_count: 0
    .wavefront_size: 32
    .workgroup_processor_mode: 1
  - .args:
      - .offset:         0
        .size:           8
        .value_kind:     by_value
      - .offset:         8
        .size:           4
        .value_kind:     by_value
      - .offset:         16
        .size:           8
        .value_kind:     by_value
      - .offset:         24
        .size:           8
        .value_kind:     by_value
      - .actual_access:  read_only
        .address_space:  global
        .offset:         32
        .size:           8
        .value_kind:     global_buffer
      - .actual_access:  read_only
        .address_space:  global
        .offset:         40
        .size:           8
        .value_kind:     global_buffer
      - .actual_access:  read_only
        .address_space:  global
        .offset:         48
        .size:           8
        .value_kind:     global_buffer
      - .actual_access:  read_only
        .address_space:  global
        .offset:         56
        .size:           8
        .value_kind:     global_buffer
      - .actual_access:  read_only
        .address_space:  global
        .offset:         64
        .size:           8
        .value_kind:     global_buffer
      - .actual_access:  read_only
        .address_space:  global
        .offset:         72
        .size:           8
        .value_kind:     global_buffer
      - .offset:         80
        .size:           8
        .value_kind:     by_value
      - .address_space:  global
        .offset:         88
        .size:           8
        .value_kind:     global_buffer
      - .offset:         96
        .size:           4
        .value_kind:     by_value
      - .offset:         100
        .size:           1
        .value_kind:     by_value
    .group_segment_fixed_size: 0
    .kernarg_segment_align: 8
    .kernarg_segment_size: 104
    .language:       OpenCL C
    .language_version:
      - 2
      - 0
    .max_flat_workgroup_size: 128
    .name:           _ZN9rocsparseL18bsrxmvn_4x4_kernelILj128ELj8EfllfffEEvT3_20rocsparse_direction_NS_24const_host_device_scalarIT1_EES1_PKS1_PKT2_SA_S7_PKT4_PKT5_S5_PT6_21rocsparse_index_base_b
    .private_segment_fixed_size: 0
    .sgpr_count:     24
    .sgpr_spill_count: 0
    .symbol:         _ZN9rocsparseL18bsrxmvn_4x4_kernelILj128ELj8EfllfffEEvT3_20rocsparse_direction_NS_24const_host_device_scalarIT1_EES1_PKS1_PKT2_SA_S7_PKT4_PKT5_S5_PT6_21rocsparse_index_base_b.kd
    .uniform_work_group_size: 1
    .uses_dynamic_stack: false
    .vgpr_count:     101
    .vgpr_spill_count: 0
    .wavefront_size: 32
    .workgroup_processor_mode: 1
  - .args:
      - .offset:         0
        .size:           8
        .value_kind:     by_value
      - .offset:         8
        .size:           4
        .value_kind:     by_value
      - .offset:         16
        .size:           8
        .value_kind:     by_value
      - .offset:         24
        .size:           8
        .value_kind:     by_value
      - .actual_access:  read_only
        .address_space:  global
        .offset:         32
        .size:           8
        .value_kind:     global_buffer
      - .actual_access:  read_only
        .address_space:  global
        .offset:         40
        .size:           8
        .value_kind:     global_buffer
      - .actual_access:  read_only
        .address_space:  global
        .offset:         48
        .size:           8
        .value_kind:     global_buffer
      - .actual_access:  read_only
        .address_space:  global
        .offset:         56
        .size:           8
        .value_kind:     global_buffer
      - .actual_access:  read_only
        .address_space:  global
        .offset:         64
        .size:           8
        .value_kind:     global_buffer
      - .actual_access:  read_only
        .address_space:  global
        .offset:         72
        .size:           8
        .value_kind:     global_buffer
      - .offset:         80
        .size:           8
        .value_kind:     by_value
      - .address_space:  global
        .offset:         88
        .size:           8
        .value_kind:     global_buffer
      - .offset:         96
        .size:           4
        .value_kind:     by_value
      - .offset:         100
        .size:           1
        .value_kind:     by_value
    .group_segment_fixed_size: 0
    .kernarg_segment_align: 8
    .kernarg_segment_size: 104
    .language:       OpenCL C
    .language_version:
      - 2
      - 0
    .max_flat_workgroup_size: 128
    .name:           _ZN9rocsparseL18bsrxmvn_4x4_kernelILj128ELj16EfllfffEEvT3_20rocsparse_direction_NS_24const_host_device_scalarIT1_EES1_PKS1_PKT2_SA_S7_PKT4_PKT5_S5_PT6_21rocsparse_index_base_b
    .private_segment_fixed_size: 0
    .sgpr_count:     24
    .sgpr_spill_count: 0
    .symbol:         _ZN9rocsparseL18bsrxmvn_4x4_kernelILj128ELj16EfllfffEEvT3_20rocsparse_direction_NS_24const_host_device_scalarIT1_EES1_PKS1_PKT2_SA_S7_PKT4_PKT5_S5_PT6_21rocsparse_index_base_b.kd
    .uniform_work_group_size: 1
    .uses_dynamic_stack: false
    .vgpr_count:     101
    .vgpr_spill_count: 0
    .wavefront_size: 32
    .workgroup_processor_mode: 1
  - .args:
      - .offset:         0
        .size:           8
        .value_kind:     by_value
      - .offset:         8
        .size:           4
        .value_kind:     by_value
      - .offset:         16
        .size:           8
        .value_kind:     by_value
      - .offset:         24
        .size:           8
        .value_kind:     by_value
      - .actual_access:  read_only
        .address_space:  global
        .offset:         32
        .size:           8
        .value_kind:     global_buffer
      - .actual_access:  read_only
        .address_space:  global
        .offset:         40
        .size:           8
        .value_kind:     global_buffer
      - .actual_access:  read_only
        .address_space:  global
        .offset:         48
        .size:           8
        .value_kind:     global_buffer
      - .actual_access:  read_only
        .address_space:  global
        .offset:         56
        .size:           8
        .value_kind:     global_buffer
      - .actual_access:  read_only
        .address_space:  global
        .offset:         64
        .size:           8
        .value_kind:     global_buffer
      - .actual_access:  read_only
        .address_space:  global
        .offset:         72
        .size:           8
        .value_kind:     global_buffer
      - .offset:         80
        .size:           8
        .value_kind:     by_value
      - .address_space:  global
        .offset:         88
        .size:           8
        .value_kind:     global_buffer
      - .offset:         96
        .size:           4
        .value_kind:     by_value
      - .offset:         100
        .size:           1
        .value_kind:     by_value
    .group_segment_fixed_size: 0
    .kernarg_segment_align: 8
    .kernarg_segment_size: 104
    .language:       OpenCL C
    .language_version:
      - 2
      - 0
    .max_flat_workgroup_size: 128
    .name:           _ZN9rocsparseL18bsrxmvn_4x4_kernelILj128ELj32EfllfffEEvT3_20rocsparse_direction_NS_24const_host_device_scalarIT1_EES1_PKS1_PKT2_SA_S7_PKT4_PKT5_S5_PT6_21rocsparse_index_base_b
    .private_segment_fixed_size: 0
    .sgpr_count:     24
    .sgpr_spill_count: 0
    .symbol:         _ZN9rocsparseL18bsrxmvn_4x4_kernelILj128ELj32EfllfffEEvT3_20rocsparse_direction_NS_24const_host_device_scalarIT1_EES1_PKS1_PKT2_SA_S7_PKT4_PKT5_S5_PT6_21rocsparse_index_base_b.kd
    .uniform_work_group_size: 1
    .uses_dynamic_stack: false
    .vgpr_count:     101
    .vgpr_spill_count: 0
    .wavefront_size: 32
    .workgroup_processor_mode: 1
  - .args:
      - .offset:         0
        .size:           8
        .value_kind:     by_value
      - .offset:         8
        .size:           4
        .value_kind:     by_value
      - .offset:         16
        .size:           8
        .value_kind:     by_value
      - .offset:         24
        .size:           8
        .value_kind:     by_value
      - .actual_access:  read_only
        .address_space:  global
        .offset:         32
        .size:           8
        .value_kind:     global_buffer
      - .actual_access:  read_only
        .address_space:  global
        .offset:         40
        .size:           8
        .value_kind:     global_buffer
      - .actual_access:  read_only
        .address_space:  global
        .offset:         48
        .size:           8
        .value_kind:     global_buffer
      - .actual_access:  read_only
        .address_space:  global
        .offset:         56
        .size:           8
        .value_kind:     global_buffer
      - .actual_access:  read_only
        .address_space:  global
        .offset:         64
        .size:           8
        .value_kind:     global_buffer
      - .actual_access:  read_only
        .address_space:  global
        .offset:         72
        .size:           8
        .value_kind:     global_buffer
      - .offset:         80
        .size:           8
        .value_kind:     by_value
      - .address_space:  global
        .offset:         88
        .size:           8
        .value_kind:     global_buffer
      - .offset:         96
        .size:           4
        .value_kind:     by_value
      - .offset:         100
        .size:           1
        .value_kind:     by_value
    .group_segment_fixed_size: 0
    .kernarg_segment_align: 8
    .kernarg_segment_size: 104
    .language:       OpenCL C
    .language_version:
      - 2
      - 0
    .max_flat_workgroup_size: 128
    .name:           _ZN9rocsparseL18bsrxmvn_4x4_kernelILj128ELj64EfllfffEEvT3_20rocsparse_direction_NS_24const_host_device_scalarIT1_EES1_PKS1_PKT2_SA_S7_PKT4_PKT5_S5_PT6_21rocsparse_index_base_b
    .private_segment_fixed_size: 0
    .sgpr_count:     24
    .sgpr_spill_count: 0
    .symbol:         _ZN9rocsparseL18bsrxmvn_4x4_kernelILj128ELj64EfllfffEEvT3_20rocsparse_direction_NS_24const_host_device_scalarIT1_EES1_PKS1_PKT2_SA_S7_PKT4_PKT5_S5_PT6_21rocsparse_index_base_b.kd
    .uniform_work_group_size: 1
    .uses_dynamic_stack: false
    .vgpr_count:     101
    .vgpr_spill_count: 0
    .wavefront_size: 32
    .workgroup_processor_mode: 1
  - .args:
      - .offset:         0
        .size:           8
        .value_kind:     by_value
      - .offset:         8
        .size:           4
        .value_kind:     by_value
      - .offset:         16
        .size:           8
        .value_kind:     by_value
      - .offset:         24
        .size:           8
        .value_kind:     by_value
      - .actual_access:  read_only
        .address_space:  global
        .offset:         32
        .size:           8
        .value_kind:     global_buffer
      - .actual_access:  read_only
        .address_space:  global
        .offset:         40
        .size:           8
        .value_kind:     global_buffer
      - .actual_access:  read_only
        .address_space:  global
        .offset:         48
        .size:           8
        .value_kind:     global_buffer
      - .actual_access:  read_only
        .address_space:  global
        .offset:         56
        .size:           8
        .value_kind:     global_buffer
      - .actual_access:  read_only
        .address_space:  global
        .offset:         64
        .size:           8
        .value_kind:     global_buffer
      - .actual_access:  read_only
        .address_space:  global
        .offset:         72
        .size:           8
        .value_kind:     global_buffer
      - .offset:         80
        .size:           8
        .value_kind:     by_value
      - .address_space:  global
        .offset:         88
        .size:           8
        .value_kind:     global_buffer
      - .offset:         96
        .size:           4
        .value_kind:     by_value
      - .offset:         100
        .size:           1
        .value_kind:     by_value
    .group_segment_fixed_size: 0
    .kernarg_segment_align: 8
    .kernarg_segment_size: 104
    .language:       OpenCL C
    .language_version:
      - 2
      - 0
    .max_flat_workgroup_size: 128
    .name:           _ZN9rocsparseL18bsrxmvn_4x4_kernelILj128ELj4EdlldddEEvT3_20rocsparse_direction_NS_24const_host_device_scalarIT1_EES1_PKS1_PKT2_SA_S7_PKT4_PKT5_S5_PT6_21rocsparse_index_base_b
    .private_segment_fixed_size: 0
    .sgpr_count:     18
    .sgpr_spill_count: 0
    .symbol:         _ZN9rocsparseL18bsrxmvn_4x4_kernelILj128ELj4EdlldddEEvT3_20rocsparse_direction_NS_24const_host_device_scalarIT1_EES1_PKS1_PKT2_SA_S7_PKT4_PKT5_S5_PT6_21rocsparse_index_base_b.kd
    .uniform_work_group_size: 1
    .uses_dynamic_stack: false
    .vgpr_count:     149
    .vgpr_spill_count: 0
    .wavefront_size: 32
    .workgroup_processor_mode: 1
  - .args:
      - .offset:         0
        .size:           8
        .value_kind:     by_value
      - .offset:         8
        .size:           4
        .value_kind:     by_value
      - .offset:         16
        .size:           8
        .value_kind:     by_value
      - .offset:         24
        .size:           8
        .value_kind:     by_value
      - .actual_access:  read_only
        .address_space:  global
        .offset:         32
        .size:           8
        .value_kind:     global_buffer
      - .actual_access:  read_only
        .address_space:  global
        .offset:         40
        .size:           8
        .value_kind:     global_buffer
      - .actual_access:  read_only
        .address_space:  global
        .offset:         48
        .size:           8
        .value_kind:     global_buffer
      - .actual_access:  read_only
        .address_space:  global
        .offset:         56
        .size:           8
        .value_kind:     global_buffer
      - .actual_access:  read_only
        .address_space:  global
        .offset:         64
        .size:           8
        .value_kind:     global_buffer
      - .actual_access:  read_only
        .address_space:  global
        .offset:         72
        .size:           8
        .value_kind:     global_buffer
      - .offset:         80
        .size:           8
        .value_kind:     by_value
      - .address_space:  global
        .offset:         88
        .size:           8
        .value_kind:     global_buffer
      - .offset:         96
        .size:           4
        .value_kind:     by_value
      - .offset:         100
        .size:           1
        .value_kind:     by_value
    .group_segment_fixed_size: 0
    .kernarg_segment_align: 8
    .kernarg_segment_size: 104
    .language:       OpenCL C
    .language_version:
      - 2
      - 0
    .max_flat_workgroup_size: 128
    .name:           _ZN9rocsparseL18bsrxmvn_4x4_kernelILj128ELj8EdlldddEEvT3_20rocsparse_direction_NS_24const_host_device_scalarIT1_EES1_PKS1_PKT2_SA_S7_PKT4_PKT5_S5_PT6_21rocsparse_index_base_b
    .private_segment_fixed_size: 0
    .sgpr_count:     18
    .sgpr_spill_count: 0
    .symbol:         _ZN9rocsparseL18bsrxmvn_4x4_kernelILj128ELj8EdlldddEEvT3_20rocsparse_direction_NS_24const_host_device_scalarIT1_EES1_PKS1_PKT2_SA_S7_PKT4_PKT5_S5_PT6_21rocsparse_index_base_b.kd
    .uniform_work_group_size: 1
    .uses_dynamic_stack: false
    .vgpr_count:     149
    .vgpr_spill_count: 0
    .wavefront_size: 32
    .workgroup_processor_mode: 1
  - .args:
      - .offset:         0
        .size:           8
        .value_kind:     by_value
      - .offset:         8
        .size:           4
        .value_kind:     by_value
      - .offset:         16
        .size:           8
        .value_kind:     by_value
      - .offset:         24
        .size:           8
        .value_kind:     by_value
      - .actual_access:  read_only
        .address_space:  global
        .offset:         32
        .size:           8
        .value_kind:     global_buffer
      - .actual_access:  read_only
        .address_space:  global
        .offset:         40
        .size:           8
        .value_kind:     global_buffer
      - .actual_access:  read_only
        .address_space:  global
        .offset:         48
        .size:           8
        .value_kind:     global_buffer
      - .actual_access:  read_only
        .address_space:  global
        .offset:         56
        .size:           8
        .value_kind:     global_buffer
      - .actual_access:  read_only
        .address_space:  global
        .offset:         64
        .size:           8
        .value_kind:     global_buffer
      - .actual_access:  read_only
        .address_space:  global
        .offset:         72
        .size:           8
        .value_kind:     global_buffer
      - .offset:         80
        .size:           8
        .value_kind:     by_value
      - .address_space:  global
        .offset:         88
        .size:           8
        .value_kind:     global_buffer
      - .offset:         96
        .size:           4
        .value_kind:     by_value
      - .offset:         100
        .size:           1
        .value_kind:     by_value
    .group_segment_fixed_size: 0
    .kernarg_segment_align: 8
    .kernarg_segment_size: 104
    .language:       OpenCL C
    .language_version:
      - 2
      - 0
    .max_flat_workgroup_size: 128
    .name:           _ZN9rocsparseL18bsrxmvn_4x4_kernelILj128ELj16EdlldddEEvT3_20rocsparse_direction_NS_24const_host_device_scalarIT1_EES1_PKS1_PKT2_SA_S7_PKT4_PKT5_S5_PT6_21rocsparse_index_base_b
    .private_segment_fixed_size: 0
    .sgpr_count:     18
    .sgpr_spill_count: 0
    .symbol:         _ZN9rocsparseL18bsrxmvn_4x4_kernelILj128ELj16EdlldddEEvT3_20rocsparse_direction_NS_24const_host_device_scalarIT1_EES1_PKS1_PKT2_SA_S7_PKT4_PKT5_S5_PT6_21rocsparse_index_base_b.kd
    .uniform_work_group_size: 1
    .uses_dynamic_stack: false
    .vgpr_count:     147
    .vgpr_spill_count: 0
    .wavefront_size: 32
    .workgroup_processor_mode: 1
  - .args:
      - .offset:         0
        .size:           8
        .value_kind:     by_value
      - .offset:         8
        .size:           4
        .value_kind:     by_value
      - .offset:         16
        .size:           8
        .value_kind:     by_value
      - .offset:         24
        .size:           8
        .value_kind:     by_value
      - .actual_access:  read_only
        .address_space:  global
        .offset:         32
        .size:           8
        .value_kind:     global_buffer
      - .actual_access:  read_only
        .address_space:  global
        .offset:         40
        .size:           8
        .value_kind:     global_buffer
      - .actual_access:  read_only
        .address_space:  global
        .offset:         48
        .size:           8
        .value_kind:     global_buffer
      - .actual_access:  read_only
        .address_space:  global
        .offset:         56
        .size:           8
        .value_kind:     global_buffer
      - .actual_access:  read_only
        .address_space:  global
        .offset:         64
        .size:           8
        .value_kind:     global_buffer
      - .actual_access:  read_only
        .address_space:  global
        .offset:         72
        .size:           8
        .value_kind:     global_buffer
      - .offset:         80
        .size:           8
        .value_kind:     by_value
      - .address_space:  global
        .offset:         88
        .size:           8
        .value_kind:     global_buffer
      - .offset:         96
        .size:           4
        .value_kind:     by_value
      - .offset:         100
        .size:           1
        .value_kind:     by_value
    .group_segment_fixed_size: 0
    .kernarg_segment_align: 8
    .kernarg_segment_size: 104
    .language:       OpenCL C
    .language_version:
      - 2
      - 0
    .max_flat_workgroup_size: 128
    .name:           _ZN9rocsparseL18bsrxmvn_4x4_kernelILj128ELj32EdlldddEEvT3_20rocsparse_direction_NS_24const_host_device_scalarIT1_EES1_PKS1_PKT2_SA_S7_PKT4_PKT5_S5_PT6_21rocsparse_index_base_b
    .private_segment_fixed_size: 0
    .sgpr_count:     18
    .sgpr_spill_count: 0
    .symbol:         _ZN9rocsparseL18bsrxmvn_4x4_kernelILj128ELj32EdlldddEEvT3_20rocsparse_direction_NS_24const_host_device_scalarIT1_EES1_PKS1_PKT2_SA_S7_PKT4_PKT5_S5_PT6_21rocsparse_index_base_b.kd
    .uniform_work_group_size: 1
    .uses_dynamic_stack: false
    .vgpr_count:     147
    .vgpr_spill_count: 0
    .wavefront_size: 32
    .workgroup_processor_mode: 1
  - .args:
      - .offset:         0
        .size:           8
        .value_kind:     by_value
      - .offset:         8
        .size:           4
        .value_kind:     by_value
      - .offset:         16
        .size:           8
        .value_kind:     by_value
      - .offset:         24
        .size:           8
        .value_kind:     by_value
      - .actual_access:  read_only
        .address_space:  global
        .offset:         32
        .size:           8
        .value_kind:     global_buffer
      - .actual_access:  read_only
        .address_space:  global
        .offset:         40
        .size:           8
        .value_kind:     global_buffer
      - .actual_access:  read_only
        .address_space:  global
        .offset:         48
        .size:           8
        .value_kind:     global_buffer
      - .actual_access:  read_only
        .address_space:  global
        .offset:         56
        .size:           8
        .value_kind:     global_buffer
      - .actual_access:  read_only
        .address_space:  global
        .offset:         64
        .size:           8
        .value_kind:     global_buffer
      - .actual_access:  read_only
        .address_space:  global
        .offset:         72
        .size:           8
        .value_kind:     global_buffer
      - .offset:         80
        .size:           8
        .value_kind:     by_value
      - .address_space:  global
        .offset:         88
        .size:           8
        .value_kind:     global_buffer
      - .offset:         96
        .size:           4
        .value_kind:     by_value
      - .offset:         100
        .size:           1
        .value_kind:     by_value
    .group_segment_fixed_size: 0
    .kernarg_segment_align: 8
    .kernarg_segment_size: 104
    .language:       OpenCL C
    .language_version:
      - 2
      - 0
    .max_flat_workgroup_size: 128
    .name:           _ZN9rocsparseL18bsrxmvn_4x4_kernelILj128ELj64EdlldddEEvT3_20rocsparse_direction_NS_24const_host_device_scalarIT1_EES1_PKS1_PKT2_SA_S7_PKT4_PKT5_S5_PT6_21rocsparse_index_base_b
    .private_segment_fixed_size: 0
    .sgpr_count:     18
    .sgpr_spill_count: 0
    .symbol:         _ZN9rocsparseL18bsrxmvn_4x4_kernelILj128ELj64EdlldddEEvT3_20rocsparse_direction_NS_24const_host_device_scalarIT1_EES1_PKS1_PKT2_SA_S7_PKT4_PKT5_S5_PT6_21rocsparse_index_base_b.kd
    .uniform_work_group_size: 1
    .uses_dynamic_stack: false
    .vgpr_count:     147
    .vgpr_spill_count: 0
    .wavefront_size: 32
    .workgroup_processor_mode: 1
  - .args:
      - .offset:         0
        .size:           8
        .value_kind:     by_value
      - .offset:         8
        .size:           4
        .value_kind:     by_value
      - .offset:         16
        .size:           8
        .value_kind:     by_value
      - .offset:         24
        .size:           8
        .value_kind:     by_value
      - .actual_access:  read_only
        .address_space:  global
        .offset:         32
        .size:           8
        .value_kind:     global_buffer
      - .actual_access:  read_only
        .address_space:  global
        .offset:         40
        .size:           8
        .value_kind:     global_buffer
      - .actual_access:  read_only
        .address_space:  global
        .offset:         48
        .size:           8
        .value_kind:     global_buffer
      - .actual_access:  read_only
        .address_space:  global
        .offset:         56
        .size:           8
        .value_kind:     global_buffer
      - .actual_access:  read_only
        .address_space:  global
        .offset:         64
        .size:           8
        .value_kind:     global_buffer
      - .actual_access:  read_only
        .address_space:  global
        .offset:         72
        .size:           8
        .value_kind:     global_buffer
      - .offset:         80
        .size:           8
        .value_kind:     by_value
      - .address_space:  global
        .offset:         88
        .size:           8
        .value_kind:     global_buffer
      - .offset:         96
        .size:           4
        .value_kind:     by_value
      - .offset:         100
        .size:           1
        .value_kind:     by_value
    .group_segment_fixed_size: 0
    .kernarg_segment_align: 8
    .kernarg_segment_size: 104
    .language:       OpenCL C
    .language_version:
      - 2
      - 0
    .max_flat_workgroup_size: 128
    .name:           _ZN9rocsparseL18bsrxmvn_4x4_kernelILj128ELj4E21rocsparse_complex_numIfEllS2_S2_S2_EEvT3_20rocsparse_direction_NS_24const_host_device_scalarIT1_EES3_PKS3_PKT2_SC_S9_PKT4_PKT5_S7_PT6_21rocsparse_index_base_b
    .private_segment_fixed_size: 0
    .sgpr_count:     18
    .sgpr_spill_count: 0
    .symbol:         _ZN9rocsparseL18bsrxmvn_4x4_kernelILj128ELj4E21rocsparse_complex_numIfEllS2_S2_S2_EEvT3_20rocsparse_direction_NS_24const_host_device_scalarIT1_EES3_PKS3_PKT2_SC_S9_PKT4_PKT5_S7_PT6_21rocsparse_index_base_b.kd
    .uniform_work_group_size: 1
    .uses_dynamic_stack: false
    .vgpr_count:     181
    .vgpr_spill_count: 0
    .wavefront_size: 32
    .workgroup_processor_mode: 1
  - .args:
      - .offset:         0
        .size:           8
        .value_kind:     by_value
      - .offset:         8
        .size:           4
        .value_kind:     by_value
      - .offset:         16
        .size:           8
        .value_kind:     by_value
      - .offset:         24
        .size:           8
        .value_kind:     by_value
      - .actual_access:  read_only
        .address_space:  global
        .offset:         32
        .size:           8
        .value_kind:     global_buffer
      - .actual_access:  read_only
        .address_space:  global
        .offset:         40
        .size:           8
        .value_kind:     global_buffer
      - .actual_access:  read_only
        .address_space:  global
        .offset:         48
        .size:           8
        .value_kind:     global_buffer
      - .actual_access:  read_only
        .address_space:  global
        .offset:         56
        .size:           8
        .value_kind:     global_buffer
      - .actual_access:  read_only
        .address_space:  global
        .offset:         64
        .size:           8
        .value_kind:     global_buffer
      - .actual_access:  read_only
        .address_space:  global
        .offset:         72
        .size:           8
        .value_kind:     global_buffer
      - .offset:         80
        .size:           8
        .value_kind:     by_value
      - .address_space:  global
        .offset:         88
        .size:           8
        .value_kind:     global_buffer
      - .offset:         96
        .size:           4
        .value_kind:     by_value
      - .offset:         100
        .size:           1
        .value_kind:     by_value
    .group_segment_fixed_size: 0
    .kernarg_segment_align: 8
    .kernarg_segment_size: 104
    .language:       OpenCL C
    .language_version:
      - 2
      - 0
    .max_flat_workgroup_size: 128
    .name:           _ZN9rocsparseL18bsrxmvn_4x4_kernelILj128ELj8E21rocsparse_complex_numIfEllS2_S2_S2_EEvT3_20rocsparse_direction_NS_24const_host_device_scalarIT1_EES3_PKS3_PKT2_SC_S9_PKT4_PKT5_S7_PT6_21rocsparse_index_base_b
    .private_segment_fixed_size: 0
    .sgpr_count:     18
    .sgpr_spill_count: 0
    .symbol:         _ZN9rocsparseL18bsrxmvn_4x4_kernelILj128ELj8E21rocsparse_complex_numIfEllS2_S2_S2_EEvT3_20rocsparse_direction_NS_24const_host_device_scalarIT1_EES3_PKS3_PKT2_SC_S9_PKT4_PKT5_S7_PT6_21rocsparse_index_base_b.kd
    .uniform_work_group_size: 1
    .uses_dynamic_stack: false
    .vgpr_count:     181
    .vgpr_spill_count: 0
    .wavefront_size: 32
    .workgroup_processor_mode: 1
  - .args:
      - .offset:         0
        .size:           8
        .value_kind:     by_value
      - .offset:         8
        .size:           4
        .value_kind:     by_value
      - .offset:         16
        .size:           8
        .value_kind:     by_value
      - .offset:         24
        .size:           8
        .value_kind:     by_value
      - .actual_access:  read_only
        .address_space:  global
        .offset:         32
        .size:           8
        .value_kind:     global_buffer
      - .actual_access:  read_only
        .address_space:  global
        .offset:         40
        .size:           8
        .value_kind:     global_buffer
      - .actual_access:  read_only
        .address_space:  global
        .offset:         48
        .size:           8
        .value_kind:     global_buffer
      - .actual_access:  read_only
        .address_space:  global
        .offset:         56
        .size:           8
        .value_kind:     global_buffer
      - .actual_access:  read_only
        .address_space:  global
        .offset:         64
        .size:           8
        .value_kind:     global_buffer
      - .actual_access:  read_only
        .address_space:  global
        .offset:         72
        .size:           8
        .value_kind:     global_buffer
      - .offset:         80
        .size:           8
        .value_kind:     by_value
      - .address_space:  global
        .offset:         88
        .size:           8
        .value_kind:     global_buffer
      - .offset:         96
        .size:           4
        .value_kind:     by_value
      - .offset:         100
        .size:           1
        .value_kind:     by_value
    .group_segment_fixed_size: 0
    .kernarg_segment_align: 8
    .kernarg_segment_size: 104
    .language:       OpenCL C
    .language_version:
      - 2
      - 0
    .max_flat_workgroup_size: 128
    .name:           _ZN9rocsparseL18bsrxmvn_4x4_kernelILj128ELj16E21rocsparse_complex_numIfEllS2_S2_S2_EEvT3_20rocsparse_direction_NS_24const_host_device_scalarIT1_EES3_PKS3_PKT2_SC_S9_PKT4_PKT5_S7_PT6_21rocsparse_index_base_b
    .private_segment_fixed_size: 0
    .sgpr_count:     18
    .sgpr_spill_count: 0
    .symbol:         _ZN9rocsparseL18bsrxmvn_4x4_kernelILj128ELj16E21rocsparse_complex_numIfEllS2_S2_S2_EEvT3_20rocsparse_direction_NS_24const_host_device_scalarIT1_EES3_PKS3_PKT2_SC_S9_PKT4_PKT5_S7_PT6_21rocsparse_index_base_b.kd
    .uniform_work_group_size: 1
    .uses_dynamic_stack: false
    .vgpr_count:     179
    .vgpr_spill_count: 0
    .wavefront_size: 32
    .workgroup_processor_mode: 1
  - .args:
      - .offset:         0
        .size:           8
        .value_kind:     by_value
      - .offset:         8
        .size:           4
        .value_kind:     by_value
      - .offset:         16
        .size:           8
        .value_kind:     by_value
      - .offset:         24
        .size:           8
        .value_kind:     by_value
      - .actual_access:  read_only
        .address_space:  global
        .offset:         32
        .size:           8
        .value_kind:     global_buffer
      - .actual_access:  read_only
        .address_space:  global
        .offset:         40
        .size:           8
        .value_kind:     global_buffer
      - .actual_access:  read_only
        .address_space:  global
        .offset:         48
        .size:           8
        .value_kind:     global_buffer
      - .actual_access:  read_only
        .address_space:  global
        .offset:         56
        .size:           8
        .value_kind:     global_buffer
      - .actual_access:  read_only
        .address_space:  global
        .offset:         64
        .size:           8
        .value_kind:     global_buffer
      - .actual_access:  read_only
        .address_space:  global
        .offset:         72
        .size:           8
        .value_kind:     global_buffer
      - .offset:         80
        .size:           8
        .value_kind:     by_value
      - .address_space:  global
        .offset:         88
        .size:           8
        .value_kind:     global_buffer
      - .offset:         96
        .size:           4
        .value_kind:     by_value
      - .offset:         100
        .size:           1
        .value_kind:     by_value
    .group_segment_fixed_size: 0
    .kernarg_segment_align: 8
    .kernarg_segment_size: 104
    .language:       OpenCL C
    .language_version:
      - 2
      - 0
    .max_flat_workgroup_size: 128
    .name:           _ZN9rocsparseL18bsrxmvn_4x4_kernelILj128ELj32E21rocsparse_complex_numIfEllS2_S2_S2_EEvT3_20rocsparse_direction_NS_24const_host_device_scalarIT1_EES3_PKS3_PKT2_SC_S9_PKT4_PKT5_S7_PT6_21rocsparse_index_base_b
    .private_segment_fixed_size: 0
    .sgpr_count:     18
    .sgpr_spill_count: 0
    .symbol:         _ZN9rocsparseL18bsrxmvn_4x4_kernelILj128ELj32E21rocsparse_complex_numIfEllS2_S2_S2_EEvT3_20rocsparse_direction_NS_24const_host_device_scalarIT1_EES3_PKS3_PKT2_SC_S9_PKT4_PKT5_S7_PT6_21rocsparse_index_base_b.kd
    .uniform_work_group_size: 1
    .uses_dynamic_stack: false
    .vgpr_count:     179
    .vgpr_spill_count: 0
    .wavefront_size: 32
    .workgroup_processor_mode: 1
  - .args:
      - .offset:         0
        .size:           8
        .value_kind:     by_value
      - .offset:         8
        .size:           4
        .value_kind:     by_value
      - .offset:         16
        .size:           8
        .value_kind:     by_value
      - .offset:         24
        .size:           8
        .value_kind:     by_value
      - .actual_access:  read_only
        .address_space:  global
        .offset:         32
        .size:           8
        .value_kind:     global_buffer
      - .actual_access:  read_only
        .address_space:  global
        .offset:         40
        .size:           8
        .value_kind:     global_buffer
      - .actual_access:  read_only
        .address_space:  global
        .offset:         48
        .size:           8
        .value_kind:     global_buffer
      - .actual_access:  read_only
        .address_space:  global
        .offset:         56
        .size:           8
        .value_kind:     global_buffer
      - .actual_access:  read_only
        .address_space:  global
        .offset:         64
        .size:           8
        .value_kind:     global_buffer
      - .actual_access:  read_only
        .address_space:  global
        .offset:         72
        .size:           8
        .value_kind:     global_buffer
      - .offset:         80
        .size:           8
        .value_kind:     by_value
      - .address_space:  global
        .offset:         88
        .size:           8
        .value_kind:     global_buffer
      - .offset:         96
        .size:           4
        .value_kind:     by_value
      - .offset:         100
        .size:           1
        .value_kind:     by_value
    .group_segment_fixed_size: 0
    .kernarg_segment_align: 8
    .kernarg_segment_size: 104
    .language:       OpenCL C
    .language_version:
      - 2
      - 0
    .max_flat_workgroup_size: 128
    .name:           _ZN9rocsparseL18bsrxmvn_4x4_kernelILj128ELj64E21rocsparse_complex_numIfEllS2_S2_S2_EEvT3_20rocsparse_direction_NS_24const_host_device_scalarIT1_EES3_PKS3_PKT2_SC_S9_PKT4_PKT5_S7_PT6_21rocsparse_index_base_b
    .private_segment_fixed_size: 0
    .sgpr_count:     18
    .sgpr_spill_count: 0
    .symbol:         _ZN9rocsparseL18bsrxmvn_4x4_kernelILj128ELj64E21rocsparse_complex_numIfEllS2_S2_S2_EEvT3_20rocsparse_direction_NS_24const_host_device_scalarIT1_EES3_PKS3_PKT2_SC_S9_PKT4_PKT5_S7_PT6_21rocsparse_index_base_b.kd
    .uniform_work_group_size: 1
    .uses_dynamic_stack: false
    .vgpr_count:     179
    .vgpr_spill_count: 0
    .wavefront_size: 32
    .workgroup_processor_mode: 1
  - .args:
      - .offset:         0
        .size:           8
        .value_kind:     by_value
      - .offset:         8
        .size:           4
        .value_kind:     by_value
      - .offset:         16
        .size:           16
        .value_kind:     by_value
      - .offset:         32
        .size:           8
        .value_kind:     by_value
      - .actual_access:  read_only
        .address_space:  global
        .offset:         40
        .size:           8
        .value_kind:     global_buffer
      - .actual_access:  read_only
        .address_space:  global
        .offset:         48
        .size:           8
        .value_kind:     global_buffer
      - .actual_access:  read_only
        .address_space:  global
        .offset:         56
        .size:           8
        .value_kind:     global_buffer
      - .actual_access:  read_only
        .address_space:  global
        .offset:         64
        .size:           8
        .value_kind:     global_buffer
      - .actual_access:  read_only
        .address_space:  global
        .offset:         72
        .size:           8
        .value_kind:     global_buffer
      - .actual_access:  read_only
        .address_space:  global
        .offset:         80
        .size:           8
        .value_kind:     global_buffer
      - .offset:         88
        .size:           16
        .value_kind:     by_value
      - .address_space:  global
        .offset:         104
        .size:           8
        .value_kind:     global_buffer
      - .offset:         112
        .size:           4
        .value_kind:     by_value
      - .offset:         116
        .size:           1
        .value_kind:     by_value
    .group_segment_fixed_size: 2048
    .kernarg_segment_align: 8
    .kernarg_segment_size: 120
    .language:       OpenCL C
    .language_version:
      - 2
      - 0
    .max_flat_workgroup_size: 128
    .name:           _ZN9rocsparseL18bsrxmvn_4x4_kernelILj128ELj4E21rocsparse_complex_numIdEllS2_S2_S2_EEvT3_20rocsparse_direction_NS_24const_host_device_scalarIT1_EES3_PKS3_PKT2_SC_S9_PKT4_PKT5_S7_PT6_21rocsparse_index_base_b
    .private_segment_fixed_size: 0
    .sgpr_count:     20
    .sgpr_spill_count: 0
    .symbol:         _ZN9rocsparseL18bsrxmvn_4x4_kernelILj128ELj4E21rocsparse_complex_numIdEllS2_S2_S2_EEvT3_20rocsparse_direction_NS_24const_host_device_scalarIT1_EES3_PKS3_PKT2_SC_S9_PKT4_PKT5_S7_PT6_21rocsparse_index_base_b.kd
    .uniform_work_group_size: 1
    .uses_dynamic_stack: false
    .vgpr_count:     159
    .vgpr_spill_count: 0
    .wavefront_size: 32
    .workgroup_processor_mode: 1
  - .args:
      - .offset:         0
        .size:           8
        .value_kind:     by_value
      - .offset:         8
        .size:           4
        .value_kind:     by_value
      - .offset:         16
        .size:           16
        .value_kind:     by_value
      - .offset:         32
        .size:           8
        .value_kind:     by_value
      - .actual_access:  read_only
        .address_space:  global
        .offset:         40
        .size:           8
        .value_kind:     global_buffer
      - .actual_access:  read_only
        .address_space:  global
        .offset:         48
        .size:           8
        .value_kind:     global_buffer
      - .actual_access:  read_only
        .address_space:  global
        .offset:         56
        .size:           8
        .value_kind:     global_buffer
      - .actual_access:  read_only
        .address_space:  global
        .offset:         64
        .size:           8
        .value_kind:     global_buffer
      - .actual_access:  read_only
        .address_space:  global
        .offset:         72
        .size:           8
        .value_kind:     global_buffer
      - .actual_access:  read_only
        .address_space:  global
        .offset:         80
        .size:           8
        .value_kind:     global_buffer
      - .offset:         88
        .size:           16
        .value_kind:     by_value
      - .address_space:  global
        .offset:         104
        .size:           8
        .value_kind:     global_buffer
      - .offset:         112
        .size:           4
        .value_kind:     by_value
      - .offset:         116
        .size:           1
        .value_kind:     by_value
    .group_segment_fixed_size: 2048
    .kernarg_segment_align: 8
    .kernarg_segment_size: 120
    .language:       OpenCL C
    .language_version:
      - 2
      - 0
    .max_flat_workgroup_size: 128
    .name:           _ZN9rocsparseL18bsrxmvn_4x4_kernelILj128ELj8E21rocsparse_complex_numIdEllS2_S2_S2_EEvT3_20rocsparse_direction_NS_24const_host_device_scalarIT1_EES3_PKS3_PKT2_SC_S9_PKT4_PKT5_S7_PT6_21rocsparse_index_base_b
    .private_segment_fixed_size: 0
    .sgpr_count:     20
    .sgpr_spill_count: 0
    .symbol:         _ZN9rocsparseL18bsrxmvn_4x4_kernelILj128ELj8E21rocsparse_complex_numIdEllS2_S2_S2_EEvT3_20rocsparse_direction_NS_24const_host_device_scalarIT1_EES3_PKS3_PKT2_SC_S9_PKT4_PKT5_S7_PT6_21rocsparse_index_base_b.kd
    .uniform_work_group_size: 1
    .uses_dynamic_stack: false
    .vgpr_count:     161
    .vgpr_spill_count: 0
    .wavefront_size: 32
    .workgroup_processor_mode: 1
  - .args:
      - .offset:         0
        .size:           8
        .value_kind:     by_value
      - .offset:         8
        .size:           4
        .value_kind:     by_value
      - .offset:         16
        .size:           16
        .value_kind:     by_value
      - .offset:         32
        .size:           8
        .value_kind:     by_value
      - .actual_access:  read_only
        .address_space:  global
        .offset:         40
        .size:           8
        .value_kind:     global_buffer
      - .actual_access:  read_only
        .address_space:  global
        .offset:         48
        .size:           8
        .value_kind:     global_buffer
      - .actual_access:  read_only
        .address_space:  global
        .offset:         56
        .size:           8
        .value_kind:     global_buffer
      - .actual_access:  read_only
        .address_space:  global
        .offset:         64
        .size:           8
        .value_kind:     global_buffer
      - .actual_access:  read_only
        .address_space:  global
        .offset:         72
        .size:           8
        .value_kind:     global_buffer
      - .actual_access:  read_only
        .address_space:  global
        .offset:         80
        .size:           8
        .value_kind:     global_buffer
      - .offset:         88
        .size:           16
        .value_kind:     by_value
      - .address_space:  global
        .offset:         104
        .size:           8
        .value_kind:     global_buffer
      - .offset:         112
        .size:           4
        .value_kind:     by_value
      - .offset:         116
        .size:           1
        .value_kind:     by_value
    .group_segment_fixed_size: 2048
    .kernarg_segment_align: 8
    .kernarg_segment_size: 120
    .language:       OpenCL C
    .language_version:
      - 2
      - 0
    .max_flat_workgroup_size: 128
    .name:           _ZN9rocsparseL18bsrxmvn_4x4_kernelILj128ELj16E21rocsparse_complex_numIdEllS2_S2_S2_EEvT3_20rocsparse_direction_NS_24const_host_device_scalarIT1_EES3_PKS3_PKT2_SC_S9_PKT4_PKT5_S7_PT6_21rocsparse_index_base_b
    .private_segment_fixed_size: 0
    .sgpr_count:     20
    .sgpr_spill_count: 0
    .symbol:         _ZN9rocsparseL18bsrxmvn_4x4_kernelILj128ELj16E21rocsparse_complex_numIdEllS2_S2_S2_EEvT3_20rocsparse_direction_NS_24const_host_device_scalarIT1_EES3_PKS3_PKT2_SC_S9_PKT4_PKT5_S7_PT6_21rocsparse_index_base_b.kd
    .uniform_work_group_size: 1
    .uses_dynamic_stack: false
    .vgpr_count:     163
    .vgpr_spill_count: 0
    .wavefront_size: 32
    .workgroup_processor_mode: 1
  - .args:
      - .offset:         0
        .size:           8
        .value_kind:     by_value
      - .offset:         8
        .size:           4
        .value_kind:     by_value
      - .offset:         16
        .size:           16
        .value_kind:     by_value
      - .offset:         32
        .size:           8
        .value_kind:     by_value
      - .actual_access:  read_only
        .address_space:  global
        .offset:         40
        .size:           8
        .value_kind:     global_buffer
      - .actual_access:  read_only
        .address_space:  global
        .offset:         48
        .size:           8
        .value_kind:     global_buffer
      - .actual_access:  read_only
        .address_space:  global
        .offset:         56
        .size:           8
        .value_kind:     global_buffer
      - .actual_access:  read_only
        .address_space:  global
        .offset:         64
        .size:           8
        .value_kind:     global_buffer
      - .actual_access:  read_only
        .address_space:  global
        .offset:         72
        .size:           8
        .value_kind:     global_buffer
      - .actual_access:  read_only
        .address_space:  global
        .offset:         80
        .size:           8
        .value_kind:     global_buffer
      - .offset:         88
        .size:           16
        .value_kind:     by_value
      - .address_space:  global
        .offset:         104
        .size:           8
        .value_kind:     global_buffer
      - .offset:         112
        .size:           4
        .value_kind:     by_value
      - .offset:         116
        .size:           1
        .value_kind:     by_value
    .group_segment_fixed_size: 2048
    .kernarg_segment_align: 8
    .kernarg_segment_size: 120
    .language:       OpenCL C
    .language_version:
      - 2
      - 0
    .max_flat_workgroup_size: 128
    .name:           _ZN9rocsparseL18bsrxmvn_4x4_kernelILj128ELj32E21rocsparse_complex_numIdEllS2_S2_S2_EEvT3_20rocsparse_direction_NS_24const_host_device_scalarIT1_EES3_PKS3_PKT2_SC_S9_PKT4_PKT5_S7_PT6_21rocsparse_index_base_b
    .private_segment_fixed_size: 0
    .sgpr_count:     20
    .sgpr_spill_count: 0
    .symbol:         _ZN9rocsparseL18bsrxmvn_4x4_kernelILj128ELj32E21rocsparse_complex_numIdEllS2_S2_S2_EEvT3_20rocsparse_direction_NS_24const_host_device_scalarIT1_EES3_PKS3_PKT2_SC_S9_PKT4_PKT5_S7_PT6_21rocsparse_index_base_b.kd
    .uniform_work_group_size: 1
    .uses_dynamic_stack: false
    .vgpr_count:     161
    .vgpr_spill_count: 0
    .wavefront_size: 32
    .workgroup_processor_mode: 1
  - .args:
      - .offset:         0
        .size:           8
        .value_kind:     by_value
      - .offset:         8
        .size:           4
        .value_kind:     by_value
      - .offset:         16
        .size:           16
        .value_kind:     by_value
      - .offset:         32
        .size:           8
        .value_kind:     by_value
      - .actual_access:  read_only
        .address_space:  global
        .offset:         40
        .size:           8
        .value_kind:     global_buffer
      - .actual_access:  read_only
        .address_space:  global
        .offset:         48
        .size:           8
        .value_kind:     global_buffer
      - .actual_access:  read_only
        .address_space:  global
        .offset:         56
        .size:           8
        .value_kind:     global_buffer
      - .actual_access:  read_only
        .address_space:  global
        .offset:         64
        .size:           8
        .value_kind:     global_buffer
      - .actual_access:  read_only
        .address_space:  global
        .offset:         72
        .size:           8
        .value_kind:     global_buffer
      - .actual_access:  read_only
        .address_space:  global
        .offset:         80
        .size:           8
        .value_kind:     global_buffer
      - .offset:         88
        .size:           16
        .value_kind:     by_value
      - .address_space:  global
        .offset:         104
        .size:           8
        .value_kind:     global_buffer
      - .offset:         112
        .size:           4
        .value_kind:     by_value
      - .offset:         116
        .size:           1
        .value_kind:     by_value
    .group_segment_fixed_size: 2048
    .kernarg_segment_align: 8
    .kernarg_segment_size: 120
    .language:       OpenCL C
    .language_version:
      - 2
      - 0
    .max_flat_workgroup_size: 128
    .name:           _ZN9rocsparseL18bsrxmvn_4x4_kernelILj128ELj64E21rocsparse_complex_numIdEllS2_S2_S2_EEvT3_20rocsparse_direction_NS_24const_host_device_scalarIT1_EES3_PKS3_PKT2_SC_S9_PKT4_PKT5_S7_PT6_21rocsparse_index_base_b
    .private_segment_fixed_size: 0
    .sgpr_count:     20
    .sgpr_spill_count: 0
    .symbol:         _ZN9rocsparseL18bsrxmvn_4x4_kernelILj128ELj64E21rocsparse_complex_numIdEllS2_S2_S2_EEvT3_20rocsparse_direction_NS_24const_host_device_scalarIT1_EES3_PKS3_PKT2_SC_S9_PKT4_PKT5_S7_PT6_21rocsparse_index_base_b.kd
    .uniform_work_group_size: 1
    .uses_dynamic_stack: false
    .vgpr_count:     161
    .vgpr_spill_count: 0
    .wavefront_size: 32
    .workgroup_processor_mode: 1
  - .args:
      - .offset:         0
        .size:           4
        .value_kind:     by_value
      - .offset:         4
        .size:           4
        .value_kind:     by_value
      - .offset:         8
        .size:           8
        .value_kind:     by_value
      - .offset:         16
        .size:           4
        .value_kind:     by_value
      - .actual_access:  read_only
        .address_space:  global
        .offset:         24
        .size:           8
        .value_kind:     global_buffer
      - .actual_access:  read_only
        .address_space:  global
        .offset:         32
        .size:           8
        .value_kind:     global_buffer
      - .actual_access:  read_only
        .address_space:  global
        .offset:         40
        .size:           8
        .value_kind:     global_buffer
      - .actual_access:  read_only
        .address_space:  global
        .offset:         48
        .size:           8
        .value_kind:     global_buffer
      - .actual_access:  read_only
        .address_space:  global
        .offset:         56
        .size:           8
        .value_kind:     global_buffer
      - .actual_access:  read_only
        .address_space:  global
        .offset:         64
        .size:           8
        .value_kind:     global_buffer
      - .offset:         72
        .size:           8
        .value_kind:     by_value
      - .address_space:  global
        .offset:         80
        .size:           8
        .value_kind:     global_buffer
      - .offset:         88
        .size:           4
        .value_kind:     by_value
      - .offset:         92
        .size:           1
        .value_kind:     by_value
    .group_segment_fixed_size: 0
    .kernarg_segment_align: 8
    .kernarg_segment_size: 96
    .language:       OpenCL C
    .language_version:
      - 2
      - 0
    .max_flat_workgroup_size: 128
    .name:           _ZN9rocsparseL18bsrxmvn_4x4_kernelILj128ELj4EiiiaaiEEvT3_20rocsparse_direction_NS_24const_host_device_scalarIT1_EES1_PKS1_PKT2_SA_S7_PKT4_PKT5_S5_PT6_21rocsparse_index_base_b
    .private_segment_fixed_size: 0
    .sgpr_count:     19
    .sgpr_spill_count: 0
    .symbol:         _ZN9rocsparseL18bsrxmvn_4x4_kernelILj128ELj4EiiiaaiEEvT3_20rocsparse_direction_NS_24const_host_device_scalarIT1_EES1_PKS1_PKT2_SA_S7_PKT4_PKT5_S5_PT6_21rocsparse_index_base_b.kd
    .uniform_work_group_size: 1
    .uses_dynamic_stack: false
    .vgpr_count:     60
    .vgpr_spill_count: 0
    .wavefront_size: 32
    .workgroup_processor_mode: 1
  - .args:
      - .offset:         0
        .size:           4
        .value_kind:     by_value
      - .offset:         4
        .size:           4
        .value_kind:     by_value
      - .offset:         8
        .size:           8
        .value_kind:     by_value
      - .offset:         16
        .size:           4
        .value_kind:     by_value
      - .actual_access:  read_only
        .address_space:  global
        .offset:         24
        .size:           8
        .value_kind:     global_buffer
      - .actual_access:  read_only
        .address_space:  global
        .offset:         32
        .size:           8
        .value_kind:     global_buffer
      - .actual_access:  read_only
        .address_space:  global
        .offset:         40
        .size:           8
        .value_kind:     global_buffer
      - .actual_access:  read_only
        .address_space:  global
        .offset:         48
        .size:           8
        .value_kind:     global_buffer
      - .actual_access:  read_only
        .address_space:  global
        .offset:         56
        .size:           8
        .value_kind:     global_buffer
      - .actual_access:  read_only
        .address_space:  global
        .offset:         64
        .size:           8
        .value_kind:     global_buffer
      - .offset:         72
        .size:           8
        .value_kind:     by_value
      - .address_space:  global
        .offset:         80
        .size:           8
        .value_kind:     global_buffer
      - .offset:         88
        .size:           4
        .value_kind:     by_value
      - .offset:         92
        .size:           1
        .value_kind:     by_value
    .group_segment_fixed_size: 0
    .kernarg_segment_align: 8
    .kernarg_segment_size: 96
    .language:       OpenCL C
    .language_version:
      - 2
      - 0
    .max_flat_workgroup_size: 128
    .name:           _ZN9rocsparseL18bsrxmvn_4x4_kernelILj128ELj8EiiiaaiEEvT3_20rocsparse_direction_NS_24const_host_device_scalarIT1_EES1_PKS1_PKT2_SA_S7_PKT4_PKT5_S5_PT6_21rocsparse_index_base_b
    .private_segment_fixed_size: 0
    .sgpr_count:     19
    .sgpr_spill_count: 0
    .symbol:         _ZN9rocsparseL18bsrxmvn_4x4_kernelILj128ELj8EiiiaaiEEvT3_20rocsparse_direction_NS_24const_host_device_scalarIT1_EES1_PKS1_PKT2_SA_S7_PKT4_PKT5_S5_PT6_21rocsparse_index_base_b.kd
    .uniform_work_group_size: 1
    .uses_dynamic_stack: false
    .vgpr_count:     60
    .vgpr_spill_count: 0
    .wavefront_size: 32
    .workgroup_processor_mode: 1
  - .args:
      - .offset:         0
        .size:           4
        .value_kind:     by_value
      - .offset:         4
        .size:           4
        .value_kind:     by_value
      - .offset:         8
        .size:           8
        .value_kind:     by_value
      - .offset:         16
        .size:           4
        .value_kind:     by_value
      - .actual_access:  read_only
        .address_space:  global
        .offset:         24
        .size:           8
        .value_kind:     global_buffer
      - .actual_access:  read_only
        .address_space:  global
        .offset:         32
        .size:           8
        .value_kind:     global_buffer
      - .actual_access:  read_only
        .address_space:  global
        .offset:         40
        .size:           8
        .value_kind:     global_buffer
      - .actual_access:  read_only
        .address_space:  global
        .offset:         48
        .size:           8
        .value_kind:     global_buffer
      - .actual_access:  read_only
        .address_space:  global
        .offset:         56
        .size:           8
        .value_kind:     global_buffer
      - .actual_access:  read_only
        .address_space:  global
        .offset:         64
        .size:           8
        .value_kind:     global_buffer
      - .offset:         72
        .size:           8
        .value_kind:     by_value
      - .address_space:  global
        .offset:         80
        .size:           8
        .value_kind:     global_buffer
      - .offset:         88
        .size:           4
        .value_kind:     by_value
      - .offset:         92
        .size:           1
        .value_kind:     by_value
    .group_segment_fixed_size: 0
    .kernarg_segment_align: 8
    .kernarg_segment_size: 96
    .language:       OpenCL C
    .language_version:
      - 2
      - 0
    .max_flat_workgroup_size: 128
    .name:           _ZN9rocsparseL18bsrxmvn_4x4_kernelILj128ELj16EiiiaaiEEvT3_20rocsparse_direction_NS_24const_host_device_scalarIT1_EES1_PKS1_PKT2_SA_S7_PKT4_PKT5_S5_PT6_21rocsparse_index_base_b
    .private_segment_fixed_size: 0
    .sgpr_count:     19
    .sgpr_spill_count: 0
    .symbol:         _ZN9rocsparseL18bsrxmvn_4x4_kernelILj128ELj16EiiiaaiEEvT3_20rocsparse_direction_NS_24const_host_device_scalarIT1_EES1_PKS1_PKT2_SA_S7_PKT4_PKT5_S5_PT6_21rocsparse_index_base_b.kd
    .uniform_work_group_size: 1
    .uses_dynamic_stack: false
    .vgpr_count:     60
    .vgpr_spill_count: 0
    .wavefront_size: 32
    .workgroup_processor_mode: 1
  - .args:
      - .offset:         0
        .size:           4
        .value_kind:     by_value
      - .offset:         4
        .size:           4
        .value_kind:     by_value
      - .offset:         8
        .size:           8
        .value_kind:     by_value
      - .offset:         16
        .size:           4
        .value_kind:     by_value
      - .actual_access:  read_only
        .address_space:  global
        .offset:         24
        .size:           8
        .value_kind:     global_buffer
      - .actual_access:  read_only
        .address_space:  global
        .offset:         32
        .size:           8
        .value_kind:     global_buffer
      - .actual_access:  read_only
        .address_space:  global
        .offset:         40
        .size:           8
        .value_kind:     global_buffer
      - .actual_access:  read_only
        .address_space:  global
        .offset:         48
        .size:           8
        .value_kind:     global_buffer
      - .actual_access:  read_only
        .address_space:  global
        .offset:         56
        .size:           8
        .value_kind:     global_buffer
      - .actual_access:  read_only
        .address_space:  global
        .offset:         64
        .size:           8
        .value_kind:     global_buffer
      - .offset:         72
        .size:           8
        .value_kind:     by_value
      - .address_space:  global
        .offset:         80
        .size:           8
        .value_kind:     global_buffer
      - .offset:         88
        .size:           4
        .value_kind:     by_value
      - .offset:         92
        .size:           1
        .value_kind:     by_value
    .group_segment_fixed_size: 0
    .kernarg_segment_align: 8
    .kernarg_segment_size: 96
    .language:       OpenCL C
    .language_version:
      - 2
      - 0
    .max_flat_workgroup_size: 128
    .name:           _ZN9rocsparseL18bsrxmvn_4x4_kernelILj128ELj32EiiiaaiEEvT3_20rocsparse_direction_NS_24const_host_device_scalarIT1_EES1_PKS1_PKT2_SA_S7_PKT4_PKT5_S5_PT6_21rocsparse_index_base_b
    .private_segment_fixed_size: 0
    .sgpr_count:     19
    .sgpr_spill_count: 0
    .symbol:         _ZN9rocsparseL18bsrxmvn_4x4_kernelILj128ELj32EiiiaaiEEvT3_20rocsparse_direction_NS_24const_host_device_scalarIT1_EES1_PKS1_PKT2_SA_S7_PKT4_PKT5_S5_PT6_21rocsparse_index_base_b.kd
    .uniform_work_group_size: 1
    .uses_dynamic_stack: false
    .vgpr_count:     60
    .vgpr_spill_count: 0
    .wavefront_size: 32
    .workgroup_processor_mode: 1
  - .args:
      - .offset:         0
        .size:           4
        .value_kind:     by_value
      - .offset:         4
        .size:           4
        .value_kind:     by_value
      - .offset:         8
        .size:           8
        .value_kind:     by_value
      - .offset:         16
        .size:           4
        .value_kind:     by_value
      - .actual_access:  read_only
        .address_space:  global
        .offset:         24
        .size:           8
        .value_kind:     global_buffer
      - .actual_access:  read_only
        .address_space:  global
        .offset:         32
        .size:           8
        .value_kind:     global_buffer
      - .actual_access:  read_only
        .address_space:  global
        .offset:         40
        .size:           8
        .value_kind:     global_buffer
      - .actual_access:  read_only
        .address_space:  global
        .offset:         48
        .size:           8
        .value_kind:     global_buffer
      - .actual_access:  read_only
        .address_space:  global
        .offset:         56
        .size:           8
        .value_kind:     global_buffer
      - .actual_access:  read_only
        .address_space:  global
        .offset:         64
        .size:           8
        .value_kind:     global_buffer
      - .offset:         72
        .size:           8
        .value_kind:     by_value
      - .address_space:  global
        .offset:         80
        .size:           8
        .value_kind:     global_buffer
      - .offset:         88
        .size:           4
        .value_kind:     by_value
      - .offset:         92
        .size:           1
        .value_kind:     by_value
    .group_segment_fixed_size: 0
    .kernarg_segment_align: 8
    .kernarg_segment_size: 96
    .language:       OpenCL C
    .language_version:
      - 2
      - 0
    .max_flat_workgroup_size: 128
    .name:           _ZN9rocsparseL18bsrxmvn_4x4_kernelILj128ELj64EiiiaaiEEvT3_20rocsparse_direction_NS_24const_host_device_scalarIT1_EES1_PKS1_PKT2_SA_S7_PKT4_PKT5_S5_PT6_21rocsparse_index_base_b
    .private_segment_fixed_size: 0
    .sgpr_count:     19
    .sgpr_spill_count: 0
    .symbol:         _ZN9rocsparseL18bsrxmvn_4x4_kernelILj128ELj64EiiiaaiEEvT3_20rocsparse_direction_NS_24const_host_device_scalarIT1_EES1_PKS1_PKT2_SA_S7_PKT4_PKT5_S5_PT6_21rocsparse_index_base_b.kd
    .uniform_work_group_size: 1
    .uses_dynamic_stack: false
    .vgpr_count:     60
    .vgpr_spill_count: 0
    .wavefront_size: 32
    .workgroup_processor_mode: 1
  - .args:
      - .offset:         0
        .size:           4
        .value_kind:     by_value
      - .offset:         4
        .size:           4
        .value_kind:     by_value
      - .offset:         8
        .size:           8
        .value_kind:     by_value
      - .offset:         16
        .size:           4
        .value_kind:     by_value
      - .actual_access:  read_only
        .address_space:  global
        .offset:         24
        .size:           8
        .value_kind:     global_buffer
      - .actual_access:  read_only
        .address_space:  global
        .offset:         32
        .size:           8
        .value_kind:     global_buffer
      - .actual_access:  read_only
        .address_space:  global
        .offset:         40
        .size:           8
        .value_kind:     global_buffer
      - .actual_access:  read_only
        .address_space:  global
        .offset:         48
        .size:           8
        .value_kind:     global_buffer
      - .actual_access:  read_only
        .address_space:  global
        .offset:         56
        .size:           8
        .value_kind:     global_buffer
      - .actual_access:  read_only
        .address_space:  global
        .offset:         64
        .size:           8
        .value_kind:     global_buffer
      - .offset:         72
        .size:           8
        .value_kind:     by_value
      - .address_space:  global
        .offset:         80
        .size:           8
        .value_kind:     global_buffer
      - .offset:         88
        .size:           4
        .value_kind:     by_value
      - .offset:         92
        .size:           1
        .value_kind:     by_value
    .group_segment_fixed_size: 0
    .kernarg_segment_align: 8
    .kernarg_segment_size: 96
    .language:       OpenCL C
    .language_version:
      - 2
      - 0
    .max_flat_workgroup_size: 128
    .name:           _ZN9rocsparseL18bsrxmvn_4x4_kernelILj128ELj4EiliaaiEEvT3_20rocsparse_direction_NS_24const_host_device_scalarIT1_EES1_PKS1_PKT2_SA_S7_PKT4_PKT5_S5_PT6_21rocsparse_index_base_b
    .private_segment_fixed_size: 0
    .sgpr_count:     19
    .sgpr_spill_count: 0
    .symbol:         _ZN9rocsparseL18bsrxmvn_4x4_kernelILj128ELj4EiliaaiEEvT3_20rocsparse_direction_NS_24const_host_device_scalarIT1_EES1_PKS1_PKT2_SA_S7_PKT4_PKT5_S5_PT6_21rocsparse_index_base_b.kd
    .uniform_work_group_size: 1
    .uses_dynamic_stack: false
    .vgpr_count:     67
    .vgpr_spill_count: 0
    .wavefront_size: 32
    .workgroup_processor_mode: 1
  - .args:
      - .offset:         0
        .size:           4
        .value_kind:     by_value
      - .offset:         4
        .size:           4
        .value_kind:     by_value
      - .offset:         8
        .size:           8
        .value_kind:     by_value
      - .offset:         16
        .size:           4
        .value_kind:     by_value
      - .actual_access:  read_only
        .address_space:  global
        .offset:         24
        .size:           8
        .value_kind:     global_buffer
      - .actual_access:  read_only
        .address_space:  global
        .offset:         32
        .size:           8
        .value_kind:     global_buffer
      - .actual_access:  read_only
        .address_space:  global
        .offset:         40
        .size:           8
        .value_kind:     global_buffer
      - .actual_access:  read_only
        .address_space:  global
        .offset:         48
        .size:           8
        .value_kind:     global_buffer
      - .actual_access:  read_only
        .address_space:  global
        .offset:         56
        .size:           8
        .value_kind:     global_buffer
      - .actual_access:  read_only
        .address_space:  global
        .offset:         64
        .size:           8
        .value_kind:     global_buffer
      - .offset:         72
        .size:           8
        .value_kind:     by_value
      - .address_space:  global
        .offset:         80
        .size:           8
        .value_kind:     global_buffer
      - .offset:         88
        .size:           4
        .value_kind:     by_value
      - .offset:         92
        .size:           1
        .value_kind:     by_value
    .group_segment_fixed_size: 0
    .kernarg_segment_align: 8
    .kernarg_segment_size: 96
    .language:       OpenCL C
    .language_version:
      - 2
      - 0
    .max_flat_workgroup_size: 128
    .name:           _ZN9rocsparseL18bsrxmvn_4x4_kernelILj128ELj8EiliaaiEEvT3_20rocsparse_direction_NS_24const_host_device_scalarIT1_EES1_PKS1_PKT2_SA_S7_PKT4_PKT5_S5_PT6_21rocsparse_index_base_b
    .private_segment_fixed_size: 0
    .sgpr_count:     19
    .sgpr_spill_count: 0
    .symbol:         _ZN9rocsparseL18bsrxmvn_4x4_kernelILj128ELj8EiliaaiEEvT3_20rocsparse_direction_NS_24const_host_device_scalarIT1_EES1_PKS1_PKT2_SA_S7_PKT4_PKT5_S5_PT6_21rocsparse_index_base_b.kd
    .uniform_work_group_size: 1
    .uses_dynamic_stack: false
    .vgpr_count:     67
    .vgpr_spill_count: 0
    .wavefront_size: 32
    .workgroup_processor_mode: 1
  - .args:
      - .offset:         0
        .size:           4
        .value_kind:     by_value
      - .offset:         4
        .size:           4
        .value_kind:     by_value
      - .offset:         8
        .size:           8
        .value_kind:     by_value
      - .offset:         16
        .size:           4
        .value_kind:     by_value
      - .actual_access:  read_only
        .address_space:  global
        .offset:         24
        .size:           8
        .value_kind:     global_buffer
      - .actual_access:  read_only
        .address_space:  global
        .offset:         32
        .size:           8
        .value_kind:     global_buffer
      - .actual_access:  read_only
        .address_space:  global
        .offset:         40
        .size:           8
        .value_kind:     global_buffer
      - .actual_access:  read_only
        .address_space:  global
        .offset:         48
        .size:           8
        .value_kind:     global_buffer
      - .actual_access:  read_only
        .address_space:  global
        .offset:         56
        .size:           8
        .value_kind:     global_buffer
      - .actual_access:  read_only
        .address_space:  global
        .offset:         64
        .size:           8
        .value_kind:     global_buffer
      - .offset:         72
        .size:           8
        .value_kind:     by_value
      - .address_space:  global
        .offset:         80
        .size:           8
        .value_kind:     global_buffer
      - .offset:         88
        .size:           4
        .value_kind:     by_value
      - .offset:         92
        .size:           1
        .value_kind:     by_value
    .group_segment_fixed_size: 0
    .kernarg_segment_align: 8
    .kernarg_segment_size: 96
    .language:       OpenCL C
    .language_version:
      - 2
      - 0
    .max_flat_workgroup_size: 128
    .name:           _ZN9rocsparseL18bsrxmvn_4x4_kernelILj128ELj16EiliaaiEEvT3_20rocsparse_direction_NS_24const_host_device_scalarIT1_EES1_PKS1_PKT2_SA_S7_PKT4_PKT5_S5_PT6_21rocsparse_index_base_b
    .private_segment_fixed_size: 0
    .sgpr_count:     19
    .sgpr_spill_count: 0
    .symbol:         _ZN9rocsparseL18bsrxmvn_4x4_kernelILj128ELj16EiliaaiEEvT3_20rocsparse_direction_NS_24const_host_device_scalarIT1_EES1_PKS1_PKT2_SA_S7_PKT4_PKT5_S5_PT6_21rocsparse_index_base_b.kd
    .uniform_work_group_size: 1
    .uses_dynamic_stack: false
    .vgpr_count:     67
    .vgpr_spill_count: 0
    .wavefront_size: 32
    .workgroup_processor_mode: 1
  - .args:
      - .offset:         0
        .size:           4
        .value_kind:     by_value
      - .offset:         4
        .size:           4
        .value_kind:     by_value
      - .offset:         8
        .size:           8
        .value_kind:     by_value
      - .offset:         16
        .size:           4
        .value_kind:     by_value
      - .actual_access:  read_only
        .address_space:  global
        .offset:         24
        .size:           8
        .value_kind:     global_buffer
      - .actual_access:  read_only
        .address_space:  global
        .offset:         32
        .size:           8
        .value_kind:     global_buffer
      - .actual_access:  read_only
        .address_space:  global
        .offset:         40
        .size:           8
        .value_kind:     global_buffer
      - .actual_access:  read_only
        .address_space:  global
        .offset:         48
        .size:           8
        .value_kind:     global_buffer
      - .actual_access:  read_only
        .address_space:  global
        .offset:         56
        .size:           8
        .value_kind:     global_buffer
      - .actual_access:  read_only
        .address_space:  global
        .offset:         64
        .size:           8
        .value_kind:     global_buffer
      - .offset:         72
        .size:           8
        .value_kind:     by_value
      - .address_space:  global
        .offset:         80
        .size:           8
        .value_kind:     global_buffer
      - .offset:         88
        .size:           4
        .value_kind:     by_value
      - .offset:         92
        .size:           1
        .value_kind:     by_value
    .group_segment_fixed_size: 0
    .kernarg_segment_align: 8
    .kernarg_segment_size: 96
    .language:       OpenCL C
    .language_version:
      - 2
      - 0
    .max_flat_workgroup_size: 128
    .name:           _ZN9rocsparseL18bsrxmvn_4x4_kernelILj128ELj32EiliaaiEEvT3_20rocsparse_direction_NS_24const_host_device_scalarIT1_EES1_PKS1_PKT2_SA_S7_PKT4_PKT5_S5_PT6_21rocsparse_index_base_b
    .private_segment_fixed_size: 0
    .sgpr_count:     19
    .sgpr_spill_count: 0
    .symbol:         _ZN9rocsparseL18bsrxmvn_4x4_kernelILj128ELj32EiliaaiEEvT3_20rocsparse_direction_NS_24const_host_device_scalarIT1_EES1_PKS1_PKT2_SA_S7_PKT4_PKT5_S5_PT6_21rocsparse_index_base_b.kd
    .uniform_work_group_size: 1
    .uses_dynamic_stack: false
    .vgpr_count:     67
    .vgpr_spill_count: 0
    .wavefront_size: 32
    .workgroup_processor_mode: 1
  - .args:
      - .offset:         0
        .size:           4
        .value_kind:     by_value
      - .offset:         4
        .size:           4
        .value_kind:     by_value
      - .offset:         8
        .size:           8
        .value_kind:     by_value
      - .offset:         16
        .size:           4
        .value_kind:     by_value
      - .actual_access:  read_only
        .address_space:  global
        .offset:         24
        .size:           8
        .value_kind:     global_buffer
      - .actual_access:  read_only
        .address_space:  global
        .offset:         32
        .size:           8
        .value_kind:     global_buffer
      - .actual_access:  read_only
        .address_space:  global
        .offset:         40
        .size:           8
        .value_kind:     global_buffer
      - .actual_access:  read_only
        .address_space:  global
        .offset:         48
        .size:           8
        .value_kind:     global_buffer
      - .actual_access:  read_only
        .address_space:  global
        .offset:         56
        .size:           8
        .value_kind:     global_buffer
      - .actual_access:  read_only
        .address_space:  global
        .offset:         64
        .size:           8
        .value_kind:     global_buffer
      - .offset:         72
        .size:           8
        .value_kind:     by_value
      - .address_space:  global
        .offset:         80
        .size:           8
        .value_kind:     global_buffer
      - .offset:         88
        .size:           4
        .value_kind:     by_value
      - .offset:         92
        .size:           1
        .value_kind:     by_value
    .group_segment_fixed_size: 0
    .kernarg_segment_align: 8
    .kernarg_segment_size: 96
    .language:       OpenCL C
    .language_version:
      - 2
      - 0
    .max_flat_workgroup_size: 128
    .name:           _ZN9rocsparseL18bsrxmvn_4x4_kernelILj128ELj64EiliaaiEEvT3_20rocsparse_direction_NS_24const_host_device_scalarIT1_EES1_PKS1_PKT2_SA_S7_PKT4_PKT5_S5_PT6_21rocsparse_index_base_b
    .private_segment_fixed_size: 0
    .sgpr_count:     19
    .sgpr_spill_count: 0
    .symbol:         _ZN9rocsparseL18bsrxmvn_4x4_kernelILj128ELj64EiliaaiEEvT3_20rocsparse_direction_NS_24const_host_device_scalarIT1_EES1_PKS1_PKT2_SA_S7_PKT4_PKT5_S5_PT6_21rocsparse_index_base_b.kd
    .uniform_work_group_size: 1
    .uses_dynamic_stack: false
    .vgpr_count:     67
    .vgpr_spill_count: 0
    .wavefront_size: 32
    .workgroup_processor_mode: 1
  - .args:
      - .offset:         0
        .size:           8
        .value_kind:     by_value
      - .offset:         8
        .size:           4
        .value_kind:     by_value
      - .offset:         16
        .size:           8
        .value_kind:     by_value
      - .offset:         24
        .size:           8
        .value_kind:     by_value
      - .actual_access:  read_only
        .address_space:  global
        .offset:         32
        .size:           8
        .value_kind:     global_buffer
      - .actual_access:  read_only
        .address_space:  global
        .offset:         40
        .size:           8
        .value_kind:     global_buffer
      - .actual_access:  read_only
        .address_space:  global
        .offset:         48
        .size:           8
        .value_kind:     global_buffer
      - .actual_access:  read_only
        .address_space:  global
        .offset:         56
        .size:           8
        .value_kind:     global_buffer
      - .actual_access:  read_only
        .address_space:  global
        .offset:         64
        .size:           8
        .value_kind:     global_buffer
      - .actual_access:  read_only
        .address_space:  global
        .offset:         72
        .size:           8
        .value_kind:     global_buffer
      - .offset:         80
        .size:           8
        .value_kind:     by_value
      - .address_space:  global
        .offset:         88
        .size:           8
        .value_kind:     global_buffer
      - .offset:         96
        .size:           4
        .value_kind:     by_value
      - .offset:         100
        .size:           1
        .value_kind:     by_value
    .group_segment_fixed_size: 0
    .kernarg_segment_align: 8
    .kernarg_segment_size: 104
    .language:       OpenCL C
    .language_version:
      - 2
      - 0
    .max_flat_workgroup_size: 128
    .name:           _ZN9rocsparseL18bsrxmvn_4x4_kernelILj128ELj4EillaaiEEvT3_20rocsparse_direction_NS_24const_host_device_scalarIT1_EES1_PKS1_PKT2_SA_S7_PKT4_PKT5_S5_PT6_21rocsparse_index_base_b
    .private_segment_fixed_size: 0
    .sgpr_count:     19
    .sgpr_spill_count: 0
    .symbol:         _ZN9rocsparseL18bsrxmvn_4x4_kernelILj128ELj4EillaaiEEvT3_20rocsparse_direction_NS_24const_host_device_scalarIT1_EES1_PKS1_PKT2_SA_S7_PKT4_PKT5_S5_PT6_21rocsparse_index_base_b.kd
    .uniform_work_group_size: 1
    .uses_dynamic_stack: false
    .vgpr_count:     68
    .vgpr_spill_count: 0
    .wavefront_size: 32
    .workgroup_processor_mode: 1
  - .args:
      - .offset:         0
        .size:           8
        .value_kind:     by_value
      - .offset:         8
        .size:           4
        .value_kind:     by_value
      - .offset:         16
        .size:           8
        .value_kind:     by_value
      - .offset:         24
        .size:           8
        .value_kind:     by_value
      - .actual_access:  read_only
        .address_space:  global
        .offset:         32
        .size:           8
        .value_kind:     global_buffer
      - .actual_access:  read_only
        .address_space:  global
        .offset:         40
        .size:           8
        .value_kind:     global_buffer
      - .actual_access:  read_only
        .address_space:  global
        .offset:         48
        .size:           8
        .value_kind:     global_buffer
      - .actual_access:  read_only
        .address_space:  global
        .offset:         56
        .size:           8
        .value_kind:     global_buffer
      - .actual_access:  read_only
        .address_space:  global
        .offset:         64
        .size:           8
        .value_kind:     global_buffer
      - .actual_access:  read_only
        .address_space:  global
        .offset:         72
        .size:           8
        .value_kind:     global_buffer
      - .offset:         80
        .size:           8
        .value_kind:     by_value
      - .address_space:  global
        .offset:         88
        .size:           8
        .value_kind:     global_buffer
      - .offset:         96
        .size:           4
        .value_kind:     by_value
      - .offset:         100
        .size:           1
        .value_kind:     by_value
    .group_segment_fixed_size: 0
    .kernarg_segment_align: 8
    .kernarg_segment_size: 104
    .language:       OpenCL C
    .language_version:
      - 2
      - 0
    .max_flat_workgroup_size: 128
    .name:           _ZN9rocsparseL18bsrxmvn_4x4_kernelILj128ELj8EillaaiEEvT3_20rocsparse_direction_NS_24const_host_device_scalarIT1_EES1_PKS1_PKT2_SA_S7_PKT4_PKT5_S5_PT6_21rocsparse_index_base_b
    .private_segment_fixed_size: 0
    .sgpr_count:     19
    .sgpr_spill_count: 0
    .symbol:         _ZN9rocsparseL18bsrxmvn_4x4_kernelILj128ELj8EillaaiEEvT3_20rocsparse_direction_NS_24const_host_device_scalarIT1_EES1_PKS1_PKT2_SA_S7_PKT4_PKT5_S5_PT6_21rocsparse_index_base_b.kd
    .uniform_work_group_size: 1
    .uses_dynamic_stack: false
    .vgpr_count:     68
    .vgpr_spill_count: 0
    .wavefront_size: 32
    .workgroup_processor_mode: 1
  - .args:
      - .offset:         0
        .size:           8
        .value_kind:     by_value
      - .offset:         8
        .size:           4
        .value_kind:     by_value
      - .offset:         16
        .size:           8
        .value_kind:     by_value
      - .offset:         24
        .size:           8
        .value_kind:     by_value
      - .actual_access:  read_only
        .address_space:  global
        .offset:         32
        .size:           8
        .value_kind:     global_buffer
      - .actual_access:  read_only
        .address_space:  global
        .offset:         40
        .size:           8
        .value_kind:     global_buffer
      - .actual_access:  read_only
        .address_space:  global
        .offset:         48
        .size:           8
        .value_kind:     global_buffer
      - .actual_access:  read_only
        .address_space:  global
        .offset:         56
        .size:           8
        .value_kind:     global_buffer
      - .actual_access:  read_only
        .address_space:  global
        .offset:         64
        .size:           8
        .value_kind:     global_buffer
      - .actual_access:  read_only
        .address_space:  global
        .offset:         72
        .size:           8
        .value_kind:     global_buffer
      - .offset:         80
        .size:           8
        .value_kind:     by_value
      - .address_space:  global
        .offset:         88
        .size:           8
        .value_kind:     global_buffer
      - .offset:         96
        .size:           4
        .value_kind:     by_value
      - .offset:         100
        .size:           1
        .value_kind:     by_value
    .group_segment_fixed_size: 0
    .kernarg_segment_align: 8
    .kernarg_segment_size: 104
    .language:       OpenCL C
    .language_version:
      - 2
      - 0
    .max_flat_workgroup_size: 128
    .name:           _ZN9rocsparseL18bsrxmvn_4x4_kernelILj128ELj16EillaaiEEvT3_20rocsparse_direction_NS_24const_host_device_scalarIT1_EES1_PKS1_PKT2_SA_S7_PKT4_PKT5_S5_PT6_21rocsparse_index_base_b
    .private_segment_fixed_size: 0
    .sgpr_count:     19
    .sgpr_spill_count: 0
    .symbol:         _ZN9rocsparseL18bsrxmvn_4x4_kernelILj128ELj16EillaaiEEvT3_20rocsparse_direction_NS_24const_host_device_scalarIT1_EES1_PKS1_PKT2_SA_S7_PKT4_PKT5_S5_PT6_21rocsparse_index_base_b.kd
    .uniform_work_group_size: 1
    .uses_dynamic_stack: false
    .vgpr_count:     68
    .vgpr_spill_count: 0
    .wavefront_size: 32
    .workgroup_processor_mode: 1
  - .args:
      - .offset:         0
        .size:           8
        .value_kind:     by_value
      - .offset:         8
        .size:           4
        .value_kind:     by_value
      - .offset:         16
        .size:           8
        .value_kind:     by_value
      - .offset:         24
        .size:           8
        .value_kind:     by_value
      - .actual_access:  read_only
        .address_space:  global
        .offset:         32
        .size:           8
        .value_kind:     global_buffer
      - .actual_access:  read_only
        .address_space:  global
        .offset:         40
        .size:           8
        .value_kind:     global_buffer
      - .actual_access:  read_only
        .address_space:  global
        .offset:         48
        .size:           8
        .value_kind:     global_buffer
      - .actual_access:  read_only
        .address_space:  global
        .offset:         56
        .size:           8
        .value_kind:     global_buffer
      - .actual_access:  read_only
        .address_space:  global
        .offset:         64
        .size:           8
        .value_kind:     global_buffer
      - .actual_access:  read_only
        .address_space:  global
        .offset:         72
        .size:           8
        .value_kind:     global_buffer
      - .offset:         80
        .size:           8
        .value_kind:     by_value
      - .address_space:  global
        .offset:         88
        .size:           8
        .value_kind:     global_buffer
      - .offset:         96
        .size:           4
        .value_kind:     by_value
      - .offset:         100
        .size:           1
        .value_kind:     by_value
    .group_segment_fixed_size: 0
    .kernarg_segment_align: 8
    .kernarg_segment_size: 104
    .language:       OpenCL C
    .language_version:
      - 2
      - 0
    .max_flat_workgroup_size: 128
    .name:           _ZN9rocsparseL18bsrxmvn_4x4_kernelILj128ELj32EillaaiEEvT3_20rocsparse_direction_NS_24const_host_device_scalarIT1_EES1_PKS1_PKT2_SA_S7_PKT4_PKT5_S5_PT6_21rocsparse_index_base_b
    .private_segment_fixed_size: 0
    .sgpr_count:     19
    .sgpr_spill_count: 0
    .symbol:         _ZN9rocsparseL18bsrxmvn_4x4_kernelILj128ELj32EillaaiEEvT3_20rocsparse_direction_NS_24const_host_device_scalarIT1_EES1_PKS1_PKT2_SA_S7_PKT4_PKT5_S5_PT6_21rocsparse_index_base_b.kd
    .uniform_work_group_size: 1
    .uses_dynamic_stack: false
    .vgpr_count:     68
    .vgpr_spill_count: 0
    .wavefront_size: 32
    .workgroup_processor_mode: 1
  - .args:
      - .offset:         0
        .size:           8
        .value_kind:     by_value
      - .offset:         8
        .size:           4
        .value_kind:     by_value
      - .offset:         16
        .size:           8
        .value_kind:     by_value
      - .offset:         24
        .size:           8
        .value_kind:     by_value
      - .actual_access:  read_only
        .address_space:  global
        .offset:         32
        .size:           8
        .value_kind:     global_buffer
      - .actual_access:  read_only
        .address_space:  global
        .offset:         40
        .size:           8
        .value_kind:     global_buffer
      - .actual_access:  read_only
        .address_space:  global
        .offset:         48
        .size:           8
        .value_kind:     global_buffer
      - .actual_access:  read_only
        .address_space:  global
        .offset:         56
        .size:           8
        .value_kind:     global_buffer
      - .actual_access:  read_only
        .address_space:  global
        .offset:         64
        .size:           8
        .value_kind:     global_buffer
      - .actual_access:  read_only
        .address_space:  global
        .offset:         72
        .size:           8
        .value_kind:     global_buffer
      - .offset:         80
        .size:           8
        .value_kind:     by_value
      - .address_space:  global
        .offset:         88
        .size:           8
        .value_kind:     global_buffer
      - .offset:         96
        .size:           4
        .value_kind:     by_value
      - .offset:         100
        .size:           1
        .value_kind:     by_value
    .group_segment_fixed_size: 0
    .kernarg_segment_align: 8
    .kernarg_segment_size: 104
    .language:       OpenCL C
    .language_version:
      - 2
      - 0
    .max_flat_workgroup_size: 128
    .name:           _ZN9rocsparseL18bsrxmvn_4x4_kernelILj128ELj64EillaaiEEvT3_20rocsparse_direction_NS_24const_host_device_scalarIT1_EES1_PKS1_PKT2_SA_S7_PKT4_PKT5_S5_PT6_21rocsparse_index_base_b
    .private_segment_fixed_size: 0
    .sgpr_count:     19
    .sgpr_spill_count: 0
    .symbol:         _ZN9rocsparseL18bsrxmvn_4x4_kernelILj128ELj64EillaaiEEvT3_20rocsparse_direction_NS_24const_host_device_scalarIT1_EES1_PKS1_PKT2_SA_S7_PKT4_PKT5_S5_PT6_21rocsparse_index_base_b.kd
    .uniform_work_group_size: 1
    .uses_dynamic_stack: false
    .vgpr_count:     68
    .vgpr_spill_count: 0
    .wavefront_size: 32
    .workgroup_processor_mode: 1
  - .args:
      - .offset:         0
        .size:           4
        .value_kind:     by_value
      - .offset:         4
        .size:           4
        .value_kind:     by_value
      - .offset:         8
        .size:           8
        .value_kind:     by_value
      - .offset:         16
        .size:           4
        .value_kind:     by_value
      - .actual_access:  read_only
        .address_space:  global
        .offset:         24
        .size:           8
        .value_kind:     global_buffer
      - .actual_access:  read_only
        .address_space:  global
        .offset:         32
        .size:           8
        .value_kind:     global_buffer
      - .actual_access:  read_only
        .address_space:  global
        .offset:         40
        .size:           8
        .value_kind:     global_buffer
      - .actual_access:  read_only
        .address_space:  global
        .offset:         48
        .size:           8
        .value_kind:     global_buffer
      - .actual_access:  read_only
        .address_space:  global
        .offset:         56
        .size:           8
        .value_kind:     global_buffer
      - .actual_access:  read_only
        .address_space:  global
        .offset:         64
        .size:           8
        .value_kind:     global_buffer
      - .offset:         72
        .size:           8
        .value_kind:     by_value
      - .address_space:  global
        .offset:         80
        .size:           8
        .value_kind:     global_buffer
      - .offset:         88
        .size:           4
        .value_kind:     by_value
      - .offset:         92
        .size:           1
        .value_kind:     by_value
    .group_segment_fixed_size: 0
    .kernarg_segment_align: 8
    .kernarg_segment_size: 96
    .language:       OpenCL C
    .language_version:
      - 2
      - 0
    .max_flat_workgroup_size: 128
    .name:           _ZN9rocsparseL18bsrxmvn_4x4_kernelILj128ELj4EfiiaafEEvT3_20rocsparse_direction_NS_24const_host_device_scalarIT1_EES1_PKS1_PKT2_SA_S7_PKT4_PKT5_S5_PT6_21rocsparse_index_base_b
    .private_segment_fixed_size: 0
    .sgpr_count:     22
    .sgpr_spill_count: 0
    .symbol:         _ZN9rocsparseL18bsrxmvn_4x4_kernelILj128ELj4EfiiaafEEvT3_20rocsparse_direction_NS_24const_host_device_scalarIT1_EES1_PKS1_PKT2_SA_S7_PKT4_PKT5_S5_PT6_21rocsparse_index_base_b.kd
    .uniform_work_group_size: 1
    .uses_dynamic_stack: false
    .vgpr_count:     94
    .vgpr_spill_count: 0
    .wavefront_size: 32
    .workgroup_processor_mode: 1
  - .args:
      - .offset:         0
        .size:           4
        .value_kind:     by_value
      - .offset:         4
        .size:           4
        .value_kind:     by_value
      - .offset:         8
        .size:           8
        .value_kind:     by_value
      - .offset:         16
        .size:           4
        .value_kind:     by_value
      - .actual_access:  read_only
        .address_space:  global
        .offset:         24
        .size:           8
        .value_kind:     global_buffer
      - .actual_access:  read_only
        .address_space:  global
        .offset:         32
        .size:           8
        .value_kind:     global_buffer
      - .actual_access:  read_only
        .address_space:  global
        .offset:         40
        .size:           8
        .value_kind:     global_buffer
      - .actual_access:  read_only
        .address_space:  global
        .offset:         48
        .size:           8
        .value_kind:     global_buffer
      - .actual_access:  read_only
        .address_space:  global
        .offset:         56
        .size:           8
        .value_kind:     global_buffer
      - .actual_access:  read_only
        .address_space:  global
        .offset:         64
        .size:           8
        .value_kind:     global_buffer
      - .offset:         72
        .size:           8
        .value_kind:     by_value
      - .address_space:  global
        .offset:         80
        .size:           8
        .value_kind:     global_buffer
      - .offset:         88
        .size:           4
        .value_kind:     by_value
      - .offset:         92
        .size:           1
        .value_kind:     by_value
    .group_segment_fixed_size: 0
    .kernarg_segment_align: 8
    .kernarg_segment_size: 96
    .language:       OpenCL C
    .language_version:
      - 2
      - 0
    .max_flat_workgroup_size: 128
    .name:           _ZN9rocsparseL18bsrxmvn_4x4_kernelILj128ELj8EfiiaafEEvT3_20rocsparse_direction_NS_24const_host_device_scalarIT1_EES1_PKS1_PKT2_SA_S7_PKT4_PKT5_S5_PT6_21rocsparse_index_base_b
    .private_segment_fixed_size: 0
    .sgpr_count:     22
    .sgpr_spill_count: 0
    .symbol:         _ZN9rocsparseL18bsrxmvn_4x4_kernelILj128ELj8EfiiaafEEvT3_20rocsparse_direction_NS_24const_host_device_scalarIT1_EES1_PKS1_PKT2_SA_S7_PKT4_PKT5_S5_PT6_21rocsparse_index_base_b.kd
    .uniform_work_group_size: 1
    .uses_dynamic_stack: false
    .vgpr_count:     94
    .vgpr_spill_count: 0
    .wavefront_size: 32
    .workgroup_processor_mode: 1
  - .args:
      - .offset:         0
        .size:           4
        .value_kind:     by_value
      - .offset:         4
        .size:           4
        .value_kind:     by_value
      - .offset:         8
        .size:           8
        .value_kind:     by_value
      - .offset:         16
        .size:           4
        .value_kind:     by_value
      - .actual_access:  read_only
        .address_space:  global
        .offset:         24
        .size:           8
        .value_kind:     global_buffer
      - .actual_access:  read_only
        .address_space:  global
        .offset:         32
        .size:           8
        .value_kind:     global_buffer
      - .actual_access:  read_only
        .address_space:  global
        .offset:         40
        .size:           8
        .value_kind:     global_buffer
      - .actual_access:  read_only
        .address_space:  global
        .offset:         48
        .size:           8
        .value_kind:     global_buffer
      - .actual_access:  read_only
        .address_space:  global
        .offset:         56
        .size:           8
        .value_kind:     global_buffer
      - .actual_access:  read_only
        .address_space:  global
        .offset:         64
        .size:           8
        .value_kind:     global_buffer
      - .offset:         72
        .size:           8
        .value_kind:     by_value
      - .address_space:  global
        .offset:         80
        .size:           8
        .value_kind:     global_buffer
      - .offset:         88
        .size:           4
        .value_kind:     by_value
      - .offset:         92
        .size:           1
        .value_kind:     by_value
    .group_segment_fixed_size: 0
    .kernarg_segment_align: 8
    .kernarg_segment_size: 96
    .language:       OpenCL C
    .language_version:
      - 2
      - 0
    .max_flat_workgroup_size: 128
    .name:           _ZN9rocsparseL18bsrxmvn_4x4_kernelILj128ELj16EfiiaafEEvT3_20rocsparse_direction_NS_24const_host_device_scalarIT1_EES1_PKS1_PKT2_SA_S7_PKT4_PKT5_S5_PT6_21rocsparse_index_base_b
    .private_segment_fixed_size: 0
    .sgpr_count:     22
    .sgpr_spill_count: 0
    .symbol:         _ZN9rocsparseL18bsrxmvn_4x4_kernelILj128ELj16EfiiaafEEvT3_20rocsparse_direction_NS_24const_host_device_scalarIT1_EES1_PKS1_PKT2_SA_S7_PKT4_PKT5_S5_PT6_21rocsparse_index_base_b.kd
    .uniform_work_group_size: 1
    .uses_dynamic_stack: false
    .vgpr_count:     94
    .vgpr_spill_count: 0
    .wavefront_size: 32
    .workgroup_processor_mode: 1
  - .args:
      - .offset:         0
        .size:           4
        .value_kind:     by_value
      - .offset:         4
        .size:           4
        .value_kind:     by_value
      - .offset:         8
        .size:           8
        .value_kind:     by_value
      - .offset:         16
        .size:           4
        .value_kind:     by_value
      - .actual_access:  read_only
        .address_space:  global
        .offset:         24
        .size:           8
        .value_kind:     global_buffer
      - .actual_access:  read_only
        .address_space:  global
        .offset:         32
        .size:           8
        .value_kind:     global_buffer
      - .actual_access:  read_only
        .address_space:  global
        .offset:         40
        .size:           8
        .value_kind:     global_buffer
      - .actual_access:  read_only
        .address_space:  global
        .offset:         48
        .size:           8
        .value_kind:     global_buffer
      - .actual_access:  read_only
        .address_space:  global
        .offset:         56
        .size:           8
        .value_kind:     global_buffer
      - .actual_access:  read_only
        .address_space:  global
        .offset:         64
        .size:           8
        .value_kind:     global_buffer
      - .offset:         72
        .size:           8
        .value_kind:     by_value
      - .address_space:  global
        .offset:         80
        .size:           8
        .value_kind:     global_buffer
      - .offset:         88
        .size:           4
        .value_kind:     by_value
      - .offset:         92
        .size:           1
        .value_kind:     by_value
    .group_segment_fixed_size: 0
    .kernarg_segment_align: 8
    .kernarg_segment_size: 96
    .language:       OpenCL C
    .language_version:
      - 2
      - 0
    .max_flat_workgroup_size: 128
    .name:           _ZN9rocsparseL18bsrxmvn_4x4_kernelILj128ELj32EfiiaafEEvT3_20rocsparse_direction_NS_24const_host_device_scalarIT1_EES1_PKS1_PKT2_SA_S7_PKT4_PKT5_S5_PT6_21rocsparse_index_base_b
    .private_segment_fixed_size: 0
    .sgpr_count:     22
    .sgpr_spill_count: 0
    .symbol:         _ZN9rocsparseL18bsrxmvn_4x4_kernelILj128ELj32EfiiaafEEvT3_20rocsparse_direction_NS_24const_host_device_scalarIT1_EES1_PKS1_PKT2_SA_S7_PKT4_PKT5_S5_PT6_21rocsparse_index_base_b.kd
    .uniform_work_group_size: 1
    .uses_dynamic_stack: false
    .vgpr_count:     94
    .vgpr_spill_count: 0
    .wavefront_size: 32
    .workgroup_processor_mode: 1
  - .args:
      - .offset:         0
        .size:           4
        .value_kind:     by_value
      - .offset:         4
        .size:           4
        .value_kind:     by_value
      - .offset:         8
        .size:           8
        .value_kind:     by_value
      - .offset:         16
        .size:           4
        .value_kind:     by_value
      - .actual_access:  read_only
        .address_space:  global
        .offset:         24
        .size:           8
        .value_kind:     global_buffer
      - .actual_access:  read_only
        .address_space:  global
        .offset:         32
        .size:           8
        .value_kind:     global_buffer
      - .actual_access:  read_only
        .address_space:  global
        .offset:         40
        .size:           8
        .value_kind:     global_buffer
      - .actual_access:  read_only
        .address_space:  global
        .offset:         48
        .size:           8
        .value_kind:     global_buffer
      - .actual_access:  read_only
        .address_space:  global
        .offset:         56
        .size:           8
        .value_kind:     global_buffer
      - .actual_access:  read_only
        .address_space:  global
        .offset:         64
        .size:           8
        .value_kind:     global_buffer
      - .offset:         72
        .size:           8
        .value_kind:     by_value
      - .address_space:  global
        .offset:         80
        .size:           8
        .value_kind:     global_buffer
      - .offset:         88
        .size:           4
        .value_kind:     by_value
      - .offset:         92
        .size:           1
        .value_kind:     by_value
    .group_segment_fixed_size: 0
    .kernarg_segment_align: 8
    .kernarg_segment_size: 96
    .language:       OpenCL C
    .language_version:
      - 2
      - 0
    .max_flat_workgroup_size: 128
    .name:           _ZN9rocsparseL18bsrxmvn_4x4_kernelILj128ELj64EfiiaafEEvT3_20rocsparse_direction_NS_24const_host_device_scalarIT1_EES1_PKS1_PKT2_SA_S7_PKT4_PKT5_S5_PT6_21rocsparse_index_base_b
    .private_segment_fixed_size: 0
    .sgpr_count:     22
    .sgpr_spill_count: 0
    .symbol:         _ZN9rocsparseL18bsrxmvn_4x4_kernelILj128ELj64EfiiaafEEvT3_20rocsparse_direction_NS_24const_host_device_scalarIT1_EES1_PKS1_PKT2_SA_S7_PKT4_PKT5_S5_PT6_21rocsparse_index_base_b.kd
    .uniform_work_group_size: 1
    .uses_dynamic_stack: false
    .vgpr_count:     94
    .vgpr_spill_count: 0
    .wavefront_size: 32
    .workgroup_processor_mode: 1
  - .args:
      - .offset:         0
        .size:           4
        .value_kind:     by_value
      - .offset:         4
        .size:           4
        .value_kind:     by_value
      - .offset:         8
        .size:           8
        .value_kind:     by_value
      - .offset:         16
        .size:           4
        .value_kind:     by_value
      - .actual_access:  read_only
        .address_space:  global
        .offset:         24
        .size:           8
        .value_kind:     global_buffer
      - .actual_access:  read_only
        .address_space:  global
        .offset:         32
        .size:           8
        .value_kind:     global_buffer
      - .actual_access:  read_only
        .address_space:  global
        .offset:         40
        .size:           8
        .value_kind:     global_buffer
      - .actual_access:  read_only
        .address_space:  global
        .offset:         48
        .size:           8
        .value_kind:     global_buffer
      - .actual_access:  read_only
        .address_space:  global
        .offset:         56
        .size:           8
        .value_kind:     global_buffer
      - .actual_access:  read_only
        .address_space:  global
        .offset:         64
        .size:           8
        .value_kind:     global_buffer
      - .offset:         72
        .size:           8
        .value_kind:     by_value
      - .address_space:  global
        .offset:         80
        .size:           8
        .value_kind:     global_buffer
      - .offset:         88
        .size:           4
        .value_kind:     by_value
      - .offset:         92
        .size:           1
        .value_kind:     by_value
    .group_segment_fixed_size: 0
    .kernarg_segment_align: 8
    .kernarg_segment_size: 96
    .language:       OpenCL C
    .language_version:
      - 2
      - 0
    .max_flat_workgroup_size: 128
    .name:           _ZN9rocsparseL18bsrxmvn_4x4_kernelILj128ELj4EfliaafEEvT3_20rocsparse_direction_NS_24const_host_device_scalarIT1_EES1_PKS1_PKT2_SA_S7_PKT4_PKT5_S5_PT6_21rocsparse_index_base_b
    .private_segment_fixed_size: 0
    .sgpr_count:     22
    .sgpr_spill_count: 0
    .symbol:         _ZN9rocsparseL18bsrxmvn_4x4_kernelILj128ELj4EfliaafEEvT3_20rocsparse_direction_NS_24const_host_device_scalarIT1_EES1_PKS1_PKT2_SA_S7_PKT4_PKT5_S5_PT6_21rocsparse_index_base_b.kd
    .uniform_work_group_size: 1
    .uses_dynamic_stack: false
    .vgpr_count:     100
    .vgpr_spill_count: 0
    .wavefront_size: 32
    .workgroup_processor_mode: 1
  - .args:
      - .offset:         0
        .size:           4
        .value_kind:     by_value
      - .offset:         4
        .size:           4
        .value_kind:     by_value
      - .offset:         8
        .size:           8
        .value_kind:     by_value
      - .offset:         16
        .size:           4
        .value_kind:     by_value
      - .actual_access:  read_only
        .address_space:  global
        .offset:         24
        .size:           8
        .value_kind:     global_buffer
      - .actual_access:  read_only
        .address_space:  global
        .offset:         32
        .size:           8
        .value_kind:     global_buffer
      - .actual_access:  read_only
        .address_space:  global
        .offset:         40
        .size:           8
        .value_kind:     global_buffer
      - .actual_access:  read_only
        .address_space:  global
        .offset:         48
        .size:           8
        .value_kind:     global_buffer
      - .actual_access:  read_only
        .address_space:  global
        .offset:         56
        .size:           8
        .value_kind:     global_buffer
      - .actual_access:  read_only
        .address_space:  global
        .offset:         64
        .size:           8
        .value_kind:     global_buffer
      - .offset:         72
        .size:           8
        .value_kind:     by_value
      - .address_space:  global
        .offset:         80
        .size:           8
        .value_kind:     global_buffer
      - .offset:         88
        .size:           4
        .value_kind:     by_value
      - .offset:         92
        .size:           1
        .value_kind:     by_value
    .group_segment_fixed_size: 0
    .kernarg_segment_align: 8
    .kernarg_segment_size: 96
    .language:       OpenCL C
    .language_version:
      - 2
      - 0
    .max_flat_workgroup_size: 128
    .name:           _ZN9rocsparseL18bsrxmvn_4x4_kernelILj128ELj8EfliaafEEvT3_20rocsparse_direction_NS_24const_host_device_scalarIT1_EES1_PKS1_PKT2_SA_S7_PKT4_PKT5_S5_PT6_21rocsparse_index_base_b
    .private_segment_fixed_size: 0
    .sgpr_count:     22
    .sgpr_spill_count: 0
    .symbol:         _ZN9rocsparseL18bsrxmvn_4x4_kernelILj128ELj8EfliaafEEvT3_20rocsparse_direction_NS_24const_host_device_scalarIT1_EES1_PKS1_PKT2_SA_S7_PKT4_PKT5_S5_PT6_21rocsparse_index_base_b.kd
    .uniform_work_group_size: 1
    .uses_dynamic_stack: false
    .vgpr_count:     100
    .vgpr_spill_count: 0
    .wavefront_size: 32
    .workgroup_processor_mode: 1
  - .args:
      - .offset:         0
        .size:           4
        .value_kind:     by_value
      - .offset:         4
        .size:           4
        .value_kind:     by_value
      - .offset:         8
        .size:           8
        .value_kind:     by_value
      - .offset:         16
        .size:           4
        .value_kind:     by_value
      - .actual_access:  read_only
        .address_space:  global
        .offset:         24
        .size:           8
        .value_kind:     global_buffer
      - .actual_access:  read_only
        .address_space:  global
        .offset:         32
        .size:           8
        .value_kind:     global_buffer
      - .actual_access:  read_only
        .address_space:  global
        .offset:         40
        .size:           8
        .value_kind:     global_buffer
      - .actual_access:  read_only
        .address_space:  global
        .offset:         48
        .size:           8
        .value_kind:     global_buffer
      - .actual_access:  read_only
        .address_space:  global
        .offset:         56
        .size:           8
        .value_kind:     global_buffer
      - .actual_access:  read_only
        .address_space:  global
        .offset:         64
        .size:           8
        .value_kind:     global_buffer
      - .offset:         72
        .size:           8
        .value_kind:     by_value
      - .address_space:  global
        .offset:         80
        .size:           8
        .value_kind:     global_buffer
      - .offset:         88
        .size:           4
        .value_kind:     by_value
      - .offset:         92
        .size:           1
        .value_kind:     by_value
    .group_segment_fixed_size: 0
    .kernarg_segment_align: 8
    .kernarg_segment_size: 96
    .language:       OpenCL C
    .language_version:
      - 2
      - 0
    .max_flat_workgroup_size: 128
    .name:           _ZN9rocsparseL18bsrxmvn_4x4_kernelILj128ELj16EfliaafEEvT3_20rocsparse_direction_NS_24const_host_device_scalarIT1_EES1_PKS1_PKT2_SA_S7_PKT4_PKT5_S5_PT6_21rocsparse_index_base_b
    .private_segment_fixed_size: 0
    .sgpr_count:     22
    .sgpr_spill_count: 0
    .symbol:         _ZN9rocsparseL18bsrxmvn_4x4_kernelILj128ELj16EfliaafEEvT3_20rocsparse_direction_NS_24const_host_device_scalarIT1_EES1_PKS1_PKT2_SA_S7_PKT4_PKT5_S5_PT6_21rocsparse_index_base_b.kd
    .uniform_work_group_size: 1
    .uses_dynamic_stack: false
    .vgpr_count:     100
    .vgpr_spill_count: 0
    .wavefront_size: 32
    .workgroup_processor_mode: 1
  - .args:
      - .offset:         0
        .size:           4
        .value_kind:     by_value
      - .offset:         4
        .size:           4
        .value_kind:     by_value
      - .offset:         8
        .size:           8
        .value_kind:     by_value
      - .offset:         16
        .size:           4
        .value_kind:     by_value
      - .actual_access:  read_only
        .address_space:  global
        .offset:         24
        .size:           8
        .value_kind:     global_buffer
      - .actual_access:  read_only
        .address_space:  global
        .offset:         32
        .size:           8
        .value_kind:     global_buffer
      - .actual_access:  read_only
        .address_space:  global
        .offset:         40
        .size:           8
        .value_kind:     global_buffer
      - .actual_access:  read_only
        .address_space:  global
        .offset:         48
        .size:           8
        .value_kind:     global_buffer
      - .actual_access:  read_only
        .address_space:  global
        .offset:         56
        .size:           8
        .value_kind:     global_buffer
      - .actual_access:  read_only
        .address_space:  global
        .offset:         64
        .size:           8
        .value_kind:     global_buffer
      - .offset:         72
        .size:           8
        .value_kind:     by_value
      - .address_space:  global
        .offset:         80
        .size:           8
        .value_kind:     global_buffer
      - .offset:         88
        .size:           4
        .value_kind:     by_value
      - .offset:         92
        .size:           1
        .value_kind:     by_value
    .group_segment_fixed_size: 0
    .kernarg_segment_align: 8
    .kernarg_segment_size: 96
    .language:       OpenCL C
    .language_version:
      - 2
      - 0
    .max_flat_workgroup_size: 128
    .name:           _ZN9rocsparseL18bsrxmvn_4x4_kernelILj128ELj32EfliaafEEvT3_20rocsparse_direction_NS_24const_host_device_scalarIT1_EES1_PKS1_PKT2_SA_S7_PKT4_PKT5_S5_PT6_21rocsparse_index_base_b
    .private_segment_fixed_size: 0
    .sgpr_count:     22
    .sgpr_spill_count: 0
    .symbol:         _ZN9rocsparseL18bsrxmvn_4x4_kernelILj128ELj32EfliaafEEvT3_20rocsparse_direction_NS_24const_host_device_scalarIT1_EES1_PKS1_PKT2_SA_S7_PKT4_PKT5_S5_PT6_21rocsparse_index_base_b.kd
    .uniform_work_group_size: 1
    .uses_dynamic_stack: false
    .vgpr_count:     100
    .vgpr_spill_count: 0
    .wavefront_size: 32
    .workgroup_processor_mode: 1
  - .args:
      - .offset:         0
        .size:           4
        .value_kind:     by_value
      - .offset:         4
        .size:           4
        .value_kind:     by_value
      - .offset:         8
        .size:           8
        .value_kind:     by_value
      - .offset:         16
        .size:           4
        .value_kind:     by_value
      - .actual_access:  read_only
        .address_space:  global
        .offset:         24
        .size:           8
        .value_kind:     global_buffer
      - .actual_access:  read_only
        .address_space:  global
        .offset:         32
        .size:           8
        .value_kind:     global_buffer
      - .actual_access:  read_only
        .address_space:  global
        .offset:         40
        .size:           8
        .value_kind:     global_buffer
      - .actual_access:  read_only
        .address_space:  global
        .offset:         48
        .size:           8
        .value_kind:     global_buffer
      - .actual_access:  read_only
        .address_space:  global
        .offset:         56
        .size:           8
        .value_kind:     global_buffer
      - .actual_access:  read_only
        .address_space:  global
        .offset:         64
        .size:           8
        .value_kind:     global_buffer
      - .offset:         72
        .size:           8
        .value_kind:     by_value
      - .address_space:  global
        .offset:         80
        .size:           8
        .value_kind:     global_buffer
      - .offset:         88
        .size:           4
        .value_kind:     by_value
      - .offset:         92
        .size:           1
        .value_kind:     by_value
    .group_segment_fixed_size: 0
    .kernarg_segment_align: 8
    .kernarg_segment_size: 96
    .language:       OpenCL C
    .language_version:
      - 2
      - 0
    .max_flat_workgroup_size: 128
    .name:           _ZN9rocsparseL18bsrxmvn_4x4_kernelILj128ELj64EfliaafEEvT3_20rocsparse_direction_NS_24const_host_device_scalarIT1_EES1_PKS1_PKT2_SA_S7_PKT4_PKT5_S5_PT6_21rocsparse_index_base_b
    .private_segment_fixed_size: 0
    .sgpr_count:     22
    .sgpr_spill_count: 0
    .symbol:         _ZN9rocsparseL18bsrxmvn_4x4_kernelILj128ELj64EfliaafEEvT3_20rocsparse_direction_NS_24const_host_device_scalarIT1_EES1_PKS1_PKT2_SA_S7_PKT4_PKT5_S5_PT6_21rocsparse_index_base_b.kd
    .uniform_work_group_size: 1
    .uses_dynamic_stack: false
    .vgpr_count:     100
    .vgpr_spill_count: 0
    .wavefront_size: 32
    .workgroup_processor_mode: 1
  - .args:
      - .offset:         0
        .size:           8
        .value_kind:     by_value
      - .offset:         8
        .size:           4
        .value_kind:     by_value
      - .offset:         16
        .size:           8
        .value_kind:     by_value
      - .offset:         24
        .size:           8
        .value_kind:     by_value
      - .actual_access:  read_only
        .address_space:  global
        .offset:         32
        .size:           8
        .value_kind:     global_buffer
      - .actual_access:  read_only
        .address_space:  global
        .offset:         40
        .size:           8
        .value_kind:     global_buffer
      - .actual_access:  read_only
        .address_space:  global
        .offset:         48
        .size:           8
        .value_kind:     global_buffer
      - .actual_access:  read_only
        .address_space:  global
        .offset:         56
        .size:           8
        .value_kind:     global_buffer
      - .actual_access:  read_only
        .address_space:  global
        .offset:         64
        .size:           8
        .value_kind:     global_buffer
      - .actual_access:  read_only
        .address_space:  global
        .offset:         72
        .size:           8
        .value_kind:     global_buffer
      - .offset:         80
        .size:           8
        .value_kind:     by_value
      - .address_space:  global
        .offset:         88
        .size:           8
        .value_kind:     global_buffer
      - .offset:         96
        .size:           4
        .value_kind:     by_value
      - .offset:         100
        .size:           1
        .value_kind:     by_value
    .group_segment_fixed_size: 0
    .kernarg_segment_align: 8
    .kernarg_segment_size: 104
    .language:       OpenCL C
    .language_version:
      - 2
      - 0
    .max_flat_workgroup_size: 128
    .name:           _ZN9rocsparseL18bsrxmvn_4x4_kernelILj128ELj4EfllaafEEvT3_20rocsparse_direction_NS_24const_host_device_scalarIT1_EES1_PKS1_PKT2_SA_S7_PKT4_PKT5_S5_PT6_21rocsparse_index_base_b
    .private_segment_fixed_size: 0
    .sgpr_count:     24
    .sgpr_spill_count: 0
    .symbol:         _ZN9rocsparseL18bsrxmvn_4x4_kernelILj128ELj4EfllaafEEvT3_20rocsparse_direction_NS_24const_host_device_scalarIT1_EES1_PKS1_PKT2_SA_S7_PKT4_PKT5_S5_PT6_21rocsparse_index_base_b.kd
    .uniform_work_group_size: 1
    .uses_dynamic_stack: false
    .vgpr_count:     101
    .vgpr_spill_count: 0
    .wavefront_size: 32
    .workgroup_processor_mode: 1
  - .args:
      - .offset:         0
        .size:           8
        .value_kind:     by_value
      - .offset:         8
        .size:           4
        .value_kind:     by_value
      - .offset:         16
        .size:           8
        .value_kind:     by_value
      - .offset:         24
        .size:           8
        .value_kind:     by_value
      - .actual_access:  read_only
        .address_space:  global
        .offset:         32
        .size:           8
        .value_kind:     global_buffer
      - .actual_access:  read_only
        .address_space:  global
        .offset:         40
        .size:           8
        .value_kind:     global_buffer
      - .actual_access:  read_only
        .address_space:  global
        .offset:         48
        .size:           8
        .value_kind:     global_buffer
      - .actual_access:  read_only
        .address_space:  global
        .offset:         56
        .size:           8
        .value_kind:     global_buffer
      - .actual_access:  read_only
        .address_space:  global
        .offset:         64
        .size:           8
        .value_kind:     global_buffer
      - .actual_access:  read_only
        .address_space:  global
        .offset:         72
        .size:           8
        .value_kind:     global_buffer
      - .offset:         80
        .size:           8
        .value_kind:     by_value
      - .address_space:  global
        .offset:         88
        .size:           8
        .value_kind:     global_buffer
      - .offset:         96
        .size:           4
        .value_kind:     by_value
      - .offset:         100
        .size:           1
        .value_kind:     by_value
    .group_segment_fixed_size: 0
    .kernarg_segment_align: 8
    .kernarg_segment_size: 104
    .language:       OpenCL C
    .language_version:
      - 2
      - 0
    .max_flat_workgroup_size: 128
    .name:           _ZN9rocsparseL18bsrxmvn_4x4_kernelILj128ELj8EfllaafEEvT3_20rocsparse_direction_NS_24const_host_device_scalarIT1_EES1_PKS1_PKT2_SA_S7_PKT4_PKT5_S5_PT6_21rocsparse_index_base_b
    .private_segment_fixed_size: 0
    .sgpr_count:     24
    .sgpr_spill_count: 0
    .symbol:         _ZN9rocsparseL18bsrxmvn_4x4_kernelILj128ELj8EfllaafEEvT3_20rocsparse_direction_NS_24const_host_device_scalarIT1_EES1_PKS1_PKT2_SA_S7_PKT4_PKT5_S5_PT6_21rocsparse_index_base_b.kd
    .uniform_work_group_size: 1
    .uses_dynamic_stack: false
    .vgpr_count:     101
    .vgpr_spill_count: 0
    .wavefront_size: 32
    .workgroup_processor_mode: 1
  - .args:
      - .offset:         0
        .size:           8
        .value_kind:     by_value
      - .offset:         8
        .size:           4
        .value_kind:     by_value
      - .offset:         16
        .size:           8
        .value_kind:     by_value
      - .offset:         24
        .size:           8
        .value_kind:     by_value
      - .actual_access:  read_only
        .address_space:  global
        .offset:         32
        .size:           8
        .value_kind:     global_buffer
      - .actual_access:  read_only
        .address_space:  global
        .offset:         40
        .size:           8
        .value_kind:     global_buffer
      - .actual_access:  read_only
        .address_space:  global
        .offset:         48
        .size:           8
        .value_kind:     global_buffer
      - .actual_access:  read_only
        .address_space:  global
        .offset:         56
        .size:           8
        .value_kind:     global_buffer
      - .actual_access:  read_only
        .address_space:  global
        .offset:         64
        .size:           8
        .value_kind:     global_buffer
      - .actual_access:  read_only
        .address_space:  global
        .offset:         72
        .size:           8
        .value_kind:     global_buffer
      - .offset:         80
        .size:           8
        .value_kind:     by_value
      - .address_space:  global
        .offset:         88
        .size:           8
        .value_kind:     global_buffer
      - .offset:         96
        .size:           4
        .value_kind:     by_value
      - .offset:         100
        .size:           1
        .value_kind:     by_value
    .group_segment_fixed_size: 0
    .kernarg_segment_align: 8
    .kernarg_segment_size: 104
    .language:       OpenCL C
    .language_version:
      - 2
      - 0
    .max_flat_workgroup_size: 128
    .name:           _ZN9rocsparseL18bsrxmvn_4x4_kernelILj128ELj16EfllaafEEvT3_20rocsparse_direction_NS_24const_host_device_scalarIT1_EES1_PKS1_PKT2_SA_S7_PKT4_PKT5_S5_PT6_21rocsparse_index_base_b
    .private_segment_fixed_size: 0
    .sgpr_count:     24
    .sgpr_spill_count: 0
    .symbol:         _ZN9rocsparseL18bsrxmvn_4x4_kernelILj128ELj16EfllaafEEvT3_20rocsparse_direction_NS_24const_host_device_scalarIT1_EES1_PKS1_PKT2_SA_S7_PKT4_PKT5_S5_PT6_21rocsparse_index_base_b.kd
    .uniform_work_group_size: 1
    .uses_dynamic_stack: false
    .vgpr_count:     101
    .vgpr_spill_count: 0
    .wavefront_size: 32
    .workgroup_processor_mode: 1
  - .args:
      - .offset:         0
        .size:           8
        .value_kind:     by_value
      - .offset:         8
        .size:           4
        .value_kind:     by_value
      - .offset:         16
        .size:           8
        .value_kind:     by_value
      - .offset:         24
        .size:           8
        .value_kind:     by_value
      - .actual_access:  read_only
        .address_space:  global
        .offset:         32
        .size:           8
        .value_kind:     global_buffer
      - .actual_access:  read_only
        .address_space:  global
        .offset:         40
        .size:           8
        .value_kind:     global_buffer
      - .actual_access:  read_only
        .address_space:  global
        .offset:         48
        .size:           8
        .value_kind:     global_buffer
      - .actual_access:  read_only
        .address_space:  global
        .offset:         56
        .size:           8
        .value_kind:     global_buffer
      - .actual_access:  read_only
        .address_space:  global
        .offset:         64
        .size:           8
        .value_kind:     global_buffer
      - .actual_access:  read_only
        .address_space:  global
        .offset:         72
        .size:           8
        .value_kind:     global_buffer
      - .offset:         80
        .size:           8
        .value_kind:     by_value
      - .address_space:  global
        .offset:         88
        .size:           8
        .value_kind:     global_buffer
      - .offset:         96
        .size:           4
        .value_kind:     by_value
      - .offset:         100
        .size:           1
        .value_kind:     by_value
    .group_segment_fixed_size: 0
    .kernarg_segment_align: 8
    .kernarg_segment_size: 104
    .language:       OpenCL C
    .language_version:
      - 2
      - 0
    .max_flat_workgroup_size: 128
    .name:           _ZN9rocsparseL18bsrxmvn_4x4_kernelILj128ELj32EfllaafEEvT3_20rocsparse_direction_NS_24const_host_device_scalarIT1_EES1_PKS1_PKT2_SA_S7_PKT4_PKT5_S5_PT6_21rocsparse_index_base_b
    .private_segment_fixed_size: 0
    .sgpr_count:     24
    .sgpr_spill_count: 0
    .symbol:         _ZN9rocsparseL18bsrxmvn_4x4_kernelILj128ELj32EfllaafEEvT3_20rocsparse_direction_NS_24const_host_device_scalarIT1_EES1_PKS1_PKT2_SA_S7_PKT4_PKT5_S5_PT6_21rocsparse_index_base_b.kd
    .uniform_work_group_size: 1
    .uses_dynamic_stack: false
    .vgpr_count:     101
    .vgpr_spill_count: 0
    .wavefront_size: 32
    .workgroup_processor_mode: 1
  - .args:
      - .offset:         0
        .size:           8
        .value_kind:     by_value
      - .offset:         8
        .size:           4
        .value_kind:     by_value
      - .offset:         16
        .size:           8
        .value_kind:     by_value
      - .offset:         24
        .size:           8
        .value_kind:     by_value
      - .actual_access:  read_only
        .address_space:  global
        .offset:         32
        .size:           8
        .value_kind:     global_buffer
      - .actual_access:  read_only
        .address_space:  global
        .offset:         40
        .size:           8
        .value_kind:     global_buffer
      - .actual_access:  read_only
        .address_space:  global
        .offset:         48
        .size:           8
        .value_kind:     global_buffer
      - .actual_access:  read_only
        .address_space:  global
        .offset:         56
        .size:           8
        .value_kind:     global_buffer
      - .actual_access:  read_only
        .address_space:  global
        .offset:         64
        .size:           8
        .value_kind:     global_buffer
      - .actual_access:  read_only
        .address_space:  global
        .offset:         72
        .size:           8
        .value_kind:     global_buffer
      - .offset:         80
        .size:           8
        .value_kind:     by_value
      - .address_space:  global
        .offset:         88
        .size:           8
        .value_kind:     global_buffer
      - .offset:         96
        .size:           4
        .value_kind:     by_value
      - .offset:         100
        .size:           1
        .value_kind:     by_value
    .group_segment_fixed_size: 0
    .kernarg_segment_align: 8
    .kernarg_segment_size: 104
    .language:       OpenCL C
    .language_version:
      - 2
      - 0
    .max_flat_workgroup_size: 128
    .name:           _ZN9rocsparseL18bsrxmvn_4x4_kernelILj128ELj64EfllaafEEvT3_20rocsparse_direction_NS_24const_host_device_scalarIT1_EES1_PKS1_PKT2_SA_S7_PKT4_PKT5_S5_PT6_21rocsparse_index_base_b
    .private_segment_fixed_size: 0
    .sgpr_count:     24
    .sgpr_spill_count: 0
    .symbol:         _ZN9rocsparseL18bsrxmvn_4x4_kernelILj128ELj64EfllaafEEvT3_20rocsparse_direction_NS_24const_host_device_scalarIT1_EES1_PKS1_PKT2_SA_S7_PKT4_PKT5_S5_PT6_21rocsparse_index_base_b.kd
    .uniform_work_group_size: 1
    .uses_dynamic_stack: false
    .vgpr_count:     101
    .vgpr_spill_count: 0
    .wavefront_size: 32
    .workgroup_processor_mode: 1
  - .args:
      - .offset:         0
        .size:           4
        .value_kind:     by_value
      - .offset:         4
        .size:           4
        .value_kind:     by_value
      - .offset:         8
        .size:           8
        .value_kind:     by_value
      - .offset:         16
        .size:           4
        .value_kind:     by_value
      - .actual_access:  read_only
        .address_space:  global
        .offset:         24
        .size:           8
        .value_kind:     global_buffer
      - .actual_access:  read_only
        .address_space:  global
        .offset:         32
        .size:           8
        .value_kind:     global_buffer
      - .actual_access:  read_only
        .address_space:  global
        .offset:         40
        .size:           8
        .value_kind:     global_buffer
      - .actual_access:  read_only
        .address_space:  global
        .offset:         48
        .size:           8
        .value_kind:     global_buffer
      - .actual_access:  read_only
        .address_space:  global
        .offset:         56
        .size:           8
        .value_kind:     global_buffer
      - .actual_access:  read_only
        .address_space:  global
        .offset:         64
        .size:           8
        .value_kind:     global_buffer
      - .offset:         72
        .size:           8
        .value_kind:     by_value
      - .address_space:  global
        .offset:         80
        .size:           8
        .value_kind:     global_buffer
      - .offset:         88
        .size:           4
        .value_kind:     by_value
      - .offset:         92
        .size:           1
        .value_kind:     by_value
    .group_segment_fixed_size: 0
    .kernarg_segment_align: 8
    .kernarg_segment_size: 96
    .language:       OpenCL C
    .language_version:
      - 2
      - 0
    .max_flat_workgroup_size: 128
    .name:           _ZN9rocsparseL18bsrxmvn_4x4_kernelILj128ELj4EfiiDF16_DF16_fEEvT3_20rocsparse_direction_NS_24const_host_device_scalarIT1_EES1_PKS1_PKT2_SA_S7_PKT4_PKT5_S5_PT6_21rocsparse_index_base_b
    .private_segment_fixed_size: 0
    .sgpr_count:     22
    .sgpr_spill_count: 0
    .symbol:         _ZN9rocsparseL18bsrxmvn_4x4_kernelILj128ELj4EfiiDF16_DF16_fEEvT3_20rocsparse_direction_NS_24const_host_device_scalarIT1_EES1_PKS1_PKT2_SA_S7_PKT4_PKT5_S5_PT6_21rocsparse_index_base_b.kd
    .uniform_work_group_size: 1
    .uses_dynamic_stack: false
    .vgpr_count:     56
    .vgpr_spill_count: 0
    .wavefront_size: 32
    .workgroup_processor_mode: 1
  - .args:
      - .offset:         0
        .size:           4
        .value_kind:     by_value
      - .offset:         4
        .size:           4
        .value_kind:     by_value
      - .offset:         8
        .size:           8
        .value_kind:     by_value
      - .offset:         16
        .size:           4
        .value_kind:     by_value
      - .actual_access:  read_only
        .address_space:  global
        .offset:         24
        .size:           8
        .value_kind:     global_buffer
      - .actual_access:  read_only
        .address_space:  global
        .offset:         32
        .size:           8
        .value_kind:     global_buffer
      - .actual_access:  read_only
        .address_space:  global
        .offset:         40
        .size:           8
        .value_kind:     global_buffer
      - .actual_access:  read_only
        .address_space:  global
        .offset:         48
        .size:           8
        .value_kind:     global_buffer
      - .actual_access:  read_only
        .address_space:  global
        .offset:         56
        .size:           8
        .value_kind:     global_buffer
      - .actual_access:  read_only
        .address_space:  global
        .offset:         64
        .size:           8
        .value_kind:     global_buffer
      - .offset:         72
        .size:           8
        .value_kind:     by_value
      - .address_space:  global
        .offset:         80
        .size:           8
        .value_kind:     global_buffer
      - .offset:         88
        .size:           4
        .value_kind:     by_value
      - .offset:         92
        .size:           1
        .value_kind:     by_value
    .group_segment_fixed_size: 0
    .kernarg_segment_align: 8
    .kernarg_segment_size: 96
    .language:       OpenCL C
    .language_version:
      - 2
      - 0
    .max_flat_workgroup_size: 128
    .name:           _ZN9rocsparseL18bsrxmvn_4x4_kernelILj128ELj8EfiiDF16_DF16_fEEvT3_20rocsparse_direction_NS_24const_host_device_scalarIT1_EES1_PKS1_PKT2_SA_S7_PKT4_PKT5_S5_PT6_21rocsparse_index_base_b
    .private_segment_fixed_size: 0
    .sgpr_count:     22
    .sgpr_spill_count: 0
    .symbol:         _ZN9rocsparseL18bsrxmvn_4x4_kernelILj128ELj8EfiiDF16_DF16_fEEvT3_20rocsparse_direction_NS_24const_host_device_scalarIT1_EES1_PKS1_PKT2_SA_S7_PKT4_PKT5_S5_PT6_21rocsparse_index_base_b.kd
    .uniform_work_group_size: 1
    .uses_dynamic_stack: false
    .vgpr_count:     56
    .vgpr_spill_count: 0
    .wavefront_size: 32
    .workgroup_processor_mode: 1
  - .args:
      - .offset:         0
        .size:           4
        .value_kind:     by_value
      - .offset:         4
        .size:           4
        .value_kind:     by_value
      - .offset:         8
        .size:           8
        .value_kind:     by_value
      - .offset:         16
        .size:           4
        .value_kind:     by_value
      - .actual_access:  read_only
        .address_space:  global
        .offset:         24
        .size:           8
        .value_kind:     global_buffer
      - .actual_access:  read_only
        .address_space:  global
        .offset:         32
        .size:           8
        .value_kind:     global_buffer
      - .actual_access:  read_only
        .address_space:  global
        .offset:         40
        .size:           8
        .value_kind:     global_buffer
      - .actual_access:  read_only
        .address_space:  global
        .offset:         48
        .size:           8
        .value_kind:     global_buffer
      - .actual_access:  read_only
        .address_space:  global
        .offset:         56
        .size:           8
        .value_kind:     global_buffer
      - .actual_access:  read_only
        .address_space:  global
        .offset:         64
        .size:           8
        .value_kind:     global_buffer
      - .offset:         72
        .size:           8
        .value_kind:     by_value
      - .address_space:  global
        .offset:         80
        .size:           8
        .value_kind:     global_buffer
      - .offset:         88
        .size:           4
        .value_kind:     by_value
      - .offset:         92
        .size:           1
        .value_kind:     by_value
    .group_segment_fixed_size: 0
    .kernarg_segment_align: 8
    .kernarg_segment_size: 96
    .language:       OpenCL C
    .language_version:
      - 2
      - 0
    .max_flat_workgroup_size: 128
    .name:           _ZN9rocsparseL18bsrxmvn_4x4_kernelILj128ELj16EfiiDF16_DF16_fEEvT3_20rocsparse_direction_NS_24const_host_device_scalarIT1_EES1_PKS1_PKT2_SA_S7_PKT4_PKT5_S5_PT6_21rocsparse_index_base_b
    .private_segment_fixed_size: 0
    .sgpr_count:     22
    .sgpr_spill_count: 0
    .symbol:         _ZN9rocsparseL18bsrxmvn_4x4_kernelILj128ELj16EfiiDF16_DF16_fEEvT3_20rocsparse_direction_NS_24const_host_device_scalarIT1_EES1_PKS1_PKT2_SA_S7_PKT4_PKT5_S5_PT6_21rocsparse_index_base_b.kd
    .uniform_work_group_size: 1
    .uses_dynamic_stack: false
    .vgpr_count:     56
    .vgpr_spill_count: 0
    .wavefront_size: 32
    .workgroup_processor_mode: 1
  - .args:
      - .offset:         0
        .size:           4
        .value_kind:     by_value
      - .offset:         4
        .size:           4
        .value_kind:     by_value
      - .offset:         8
        .size:           8
        .value_kind:     by_value
      - .offset:         16
        .size:           4
        .value_kind:     by_value
      - .actual_access:  read_only
        .address_space:  global
        .offset:         24
        .size:           8
        .value_kind:     global_buffer
      - .actual_access:  read_only
        .address_space:  global
        .offset:         32
        .size:           8
        .value_kind:     global_buffer
      - .actual_access:  read_only
        .address_space:  global
        .offset:         40
        .size:           8
        .value_kind:     global_buffer
      - .actual_access:  read_only
        .address_space:  global
        .offset:         48
        .size:           8
        .value_kind:     global_buffer
      - .actual_access:  read_only
        .address_space:  global
        .offset:         56
        .size:           8
        .value_kind:     global_buffer
      - .actual_access:  read_only
        .address_space:  global
        .offset:         64
        .size:           8
        .value_kind:     global_buffer
      - .offset:         72
        .size:           8
        .value_kind:     by_value
      - .address_space:  global
        .offset:         80
        .size:           8
        .value_kind:     global_buffer
      - .offset:         88
        .size:           4
        .value_kind:     by_value
      - .offset:         92
        .size:           1
        .value_kind:     by_value
    .group_segment_fixed_size: 0
    .kernarg_segment_align: 8
    .kernarg_segment_size: 96
    .language:       OpenCL C
    .language_version:
      - 2
      - 0
    .max_flat_workgroup_size: 128
    .name:           _ZN9rocsparseL18bsrxmvn_4x4_kernelILj128ELj32EfiiDF16_DF16_fEEvT3_20rocsparse_direction_NS_24const_host_device_scalarIT1_EES1_PKS1_PKT2_SA_S7_PKT4_PKT5_S5_PT6_21rocsparse_index_base_b
    .private_segment_fixed_size: 0
    .sgpr_count:     22
    .sgpr_spill_count: 0
    .symbol:         _ZN9rocsparseL18bsrxmvn_4x4_kernelILj128ELj32EfiiDF16_DF16_fEEvT3_20rocsparse_direction_NS_24const_host_device_scalarIT1_EES1_PKS1_PKT2_SA_S7_PKT4_PKT5_S5_PT6_21rocsparse_index_base_b.kd
    .uniform_work_group_size: 1
    .uses_dynamic_stack: false
    .vgpr_count:     56
    .vgpr_spill_count: 0
    .wavefront_size: 32
    .workgroup_processor_mode: 1
  - .args:
      - .offset:         0
        .size:           4
        .value_kind:     by_value
      - .offset:         4
        .size:           4
        .value_kind:     by_value
      - .offset:         8
        .size:           8
        .value_kind:     by_value
      - .offset:         16
        .size:           4
        .value_kind:     by_value
      - .actual_access:  read_only
        .address_space:  global
        .offset:         24
        .size:           8
        .value_kind:     global_buffer
      - .actual_access:  read_only
        .address_space:  global
        .offset:         32
        .size:           8
        .value_kind:     global_buffer
      - .actual_access:  read_only
        .address_space:  global
        .offset:         40
        .size:           8
        .value_kind:     global_buffer
      - .actual_access:  read_only
        .address_space:  global
        .offset:         48
        .size:           8
        .value_kind:     global_buffer
      - .actual_access:  read_only
        .address_space:  global
        .offset:         56
        .size:           8
        .value_kind:     global_buffer
      - .actual_access:  read_only
        .address_space:  global
        .offset:         64
        .size:           8
        .value_kind:     global_buffer
      - .offset:         72
        .size:           8
        .value_kind:     by_value
      - .address_space:  global
        .offset:         80
        .size:           8
        .value_kind:     global_buffer
      - .offset:         88
        .size:           4
        .value_kind:     by_value
      - .offset:         92
        .size:           1
        .value_kind:     by_value
    .group_segment_fixed_size: 0
    .kernarg_segment_align: 8
    .kernarg_segment_size: 96
    .language:       OpenCL C
    .language_version:
      - 2
      - 0
    .max_flat_workgroup_size: 128
    .name:           _ZN9rocsparseL18bsrxmvn_4x4_kernelILj128ELj64EfiiDF16_DF16_fEEvT3_20rocsparse_direction_NS_24const_host_device_scalarIT1_EES1_PKS1_PKT2_SA_S7_PKT4_PKT5_S5_PT6_21rocsparse_index_base_b
    .private_segment_fixed_size: 0
    .sgpr_count:     22
    .sgpr_spill_count: 0
    .symbol:         _ZN9rocsparseL18bsrxmvn_4x4_kernelILj128ELj64EfiiDF16_DF16_fEEvT3_20rocsparse_direction_NS_24const_host_device_scalarIT1_EES1_PKS1_PKT2_SA_S7_PKT4_PKT5_S5_PT6_21rocsparse_index_base_b.kd
    .uniform_work_group_size: 1
    .uses_dynamic_stack: false
    .vgpr_count:     56
    .vgpr_spill_count: 0
    .wavefront_size: 32
    .workgroup_processor_mode: 1
  - .args:
      - .offset:         0
        .size:           4
        .value_kind:     by_value
      - .offset:         4
        .size:           4
        .value_kind:     by_value
      - .offset:         8
        .size:           8
        .value_kind:     by_value
      - .offset:         16
        .size:           4
        .value_kind:     by_value
      - .actual_access:  read_only
        .address_space:  global
        .offset:         24
        .size:           8
        .value_kind:     global_buffer
      - .actual_access:  read_only
        .address_space:  global
        .offset:         32
        .size:           8
        .value_kind:     global_buffer
      - .actual_access:  read_only
        .address_space:  global
        .offset:         40
        .size:           8
        .value_kind:     global_buffer
      - .actual_access:  read_only
        .address_space:  global
        .offset:         48
        .size:           8
        .value_kind:     global_buffer
      - .actual_access:  read_only
        .address_space:  global
        .offset:         56
        .size:           8
        .value_kind:     global_buffer
      - .actual_access:  read_only
        .address_space:  global
        .offset:         64
        .size:           8
        .value_kind:     global_buffer
      - .offset:         72
        .size:           8
        .value_kind:     by_value
      - .address_space:  global
        .offset:         80
        .size:           8
        .value_kind:     global_buffer
      - .offset:         88
        .size:           4
        .value_kind:     by_value
      - .offset:         92
        .size:           1
        .value_kind:     by_value
    .group_segment_fixed_size: 0
    .kernarg_segment_align: 8
    .kernarg_segment_size: 96
    .language:       OpenCL C
    .language_version:
      - 2
      - 0
    .max_flat_workgroup_size: 128
    .name:           _ZN9rocsparseL18bsrxmvn_4x4_kernelILj128ELj4EfliDF16_DF16_fEEvT3_20rocsparse_direction_NS_24const_host_device_scalarIT1_EES1_PKS1_PKT2_SA_S7_PKT4_PKT5_S5_PT6_21rocsparse_index_base_b
    .private_segment_fixed_size: 0
    .sgpr_count:     22
    .sgpr_spill_count: 0
    .symbol:         _ZN9rocsparseL18bsrxmvn_4x4_kernelILj128ELj4EfliDF16_DF16_fEEvT3_20rocsparse_direction_NS_24const_host_device_scalarIT1_EES1_PKS1_PKT2_SA_S7_PKT4_PKT5_S5_PT6_21rocsparse_index_base_b.kd
    .uniform_work_group_size: 1
    .uses_dynamic_stack: false
    .vgpr_count:     60
    .vgpr_spill_count: 0
    .wavefront_size: 32
    .workgroup_processor_mode: 1
  - .args:
      - .offset:         0
        .size:           4
        .value_kind:     by_value
      - .offset:         4
        .size:           4
        .value_kind:     by_value
      - .offset:         8
        .size:           8
        .value_kind:     by_value
      - .offset:         16
        .size:           4
        .value_kind:     by_value
      - .actual_access:  read_only
        .address_space:  global
        .offset:         24
        .size:           8
        .value_kind:     global_buffer
      - .actual_access:  read_only
        .address_space:  global
        .offset:         32
        .size:           8
        .value_kind:     global_buffer
      - .actual_access:  read_only
        .address_space:  global
        .offset:         40
        .size:           8
        .value_kind:     global_buffer
      - .actual_access:  read_only
        .address_space:  global
        .offset:         48
        .size:           8
        .value_kind:     global_buffer
      - .actual_access:  read_only
        .address_space:  global
        .offset:         56
        .size:           8
        .value_kind:     global_buffer
      - .actual_access:  read_only
        .address_space:  global
        .offset:         64
        .size:           8
        .value_kind:     global_buffer
      - .offset:         72
        .size:           8
        .value_kind:     by_value
      - .address_space:  global
        .offset:         80
        .size:           8
        .value_kind:     global_buffer
      - .offset:         88
        .size:           4
        .value_kind:     by_value
      - .offset:         92
        .size:           1
        .value_kind:     by_value
    .group_segment_fixed_size: 0
    .kernarg_segment_align: 8
    .kernarg_segment_size: 96
    .language:       OpenCL C
    .language_version:
      - 2
      - 0
    .max_flat_workgroup_size: 128
    .name:           _ZN9rocsparseL18bsrxmvn_4x4_kernelILj128ELj8EfliDF16_DF16_fEEvT3_20rocsparse_direction_NS_24const_host_device_scalarIT1_EES1_PKS1_PKT2_SA_S7_PKT4_PKT5_S5_PT6_21rocsparse_index_base_b
    .private_segment_fixed_size: 0
    .sgpr_count:     22
    .sgpr_spill_count: 0
    .symbol:         _ZN9rocsparseL18bsrxmvn_4x4_kernelILj128ELj8EfliDF16_DF16_fEEvT3_20rocsparse_direction_NS_24const_host_device_scalarIT1_EES1_PKS1_PKT2_SA_S7_PKT4_PKT5_S5_PT6_21rocsparse_index_base_b.kd
    .uniform_work_group_size: 1
    .uses_dynamic_stack: false
    .vgpr_count:     60
    .vgpr_spill_count: 0
    .wavefront_size: 32
    .workgroup_processor_mode: 1
  - .args:
      - .offset:         0
        .size:           4
        .value_kind:     by_value
      - .offset:         4
        .size:           4
        .value_kind:     by_value
      - .offset:         8
        .size:           8
        .value_kind:     by_value
      - .offset:         16
        .size:           4
        .value_kind:     by_value
      - .actual_access:  read_only
        .address_space:  global
        .offset:         24
        .size:           8
        .value_kind:     global_buffer
      - .actual_access:  read_only
        .address_space:  global
        .offset:         32
        .size:           8
        .value_kind:     global_buffer
      - .actual_access:  read_only
        .address_space:  global
        .offset:         40
        .size:           8
        .value_kind:     global_buffer
      - .actual_access:  read_only
        .address_space:  global
        .offset:         48
        .size:           8
        .value_kind:     global_buffer
      - .actual_access:  read_only
        .address_space:  global
        .offset:         56
        .size:           8
        .value_kind:     global_buffer
      - .actual_access:  read_only
        .address_space:  global
        .offset:         64
        .size:           8
        .value_kind:     global_buffer
      - .offset:         72
        .size:           8
        .value_kind:     by_value
      - .address_space:  global
        .offset:         80
        .size:           8
        .value_kind:     global_buffer
      - .offset:         88
        .size:           4
        .value_kind:     by_value
      - .offset:         92
        .size:           1
        .value_kind:     by_value
    .group_segment_fixed_size: 0
    .kernarg_segment_align: 8
    .kernarg_segment_size: 96
    .language:       OpenCL C
    .language_version:
      - 2
      - 0
    .max_flat_workgroup_size: 128
    .name:           _ZN9rocsparseL18bsrxmvn_4x4_kernelILj128ELj16EfliDF16_DF16_fEEvT3_20rocsparse_direction_NS_24const_host_device_scalarIT1_EES1_PKS1_PKT2_SA_S7_PKT4_PKT5_S5_PT6_21rocsparse_index_base_b
    .private_segment_fixed_size: 0
    .sgpr_count:     22
    .sgpr_spill_count: 0
    .symbol:         _ZN9rocsparseL18bsrxmvn_4x4_kernelILj128ELj16EfliDF16_DF16_fEEvT3_20rocsparse_direction_NS_24const_host_device_scalarIT1_EES1_PKS1_PKT2_SA_S7_PKT4_PKT5_S5_PT6_21rocsparse_index_base_b.kd
    .uniform_work_group_size: 1
    .uses_dynamic_stack: false
    .vgpr_count:     60
    .vgpr_spill_count: 0
    .wavefront_size: 32
    .workgroup_processor_mode: 1
  - .args:
      - .offset:         0
        .size:           4
        .value_kind:     by_value
      - .offset:         4
        .size:           4
        .value_kind:     by_value
      - .offset:         8
        .size:           8
        .value_kind:     by_value
      - .offset:         16
        .size:           4
        .value_kind:     by_value
      - .actual_access:  read_only
        .address_space:  global
        .offset:         24
        .size:           8
        .value_kind:     global_buffer
      - .actual_access:  read_only
        .address_space:  global
        .offset:         32
        .size:           8
        .value_kind:     global_buffer
      - .actual_access:  read_only
        .address_space:  global
        .offset:         40
        .size:           8
        .value_kind:     global_buffer
      - .actual_access:  read_only
        .address_space:  global
        .offset:         48
        .size:           8
        .value_kind:     global_buffer
      - .actual_access:  read_only
        .address_space:  global
        .offset:         56
        .size:           8
        .value_kind:     global_buffer
      - .actual_access:  read_only
        .address_space:  global
        .offset:         64
        .size:           8
        .value_kind:     global_buffer
      - .offset:         72
        .size:           8
        .value_kind:     by_value
      - .address_space:  global
        .offset:         80
        .size:           8
        .value_kind:     global_buffer
      - .offset:         88
        .size:           4
        .value_kind:     by_value
      - .offset:         92
        .size:           1
        .value_kind:     by_value
    .group_segment_fixed_size: 0
    .kernarg_segment_align: 8
    .kernarg_segment_size: 96
    .language:       OpenCL C
    .language_version:
      - 2
      - 0
    .max_flat_workgroup_size: 128
    .name:           _ZN9rocsparseL18bsrxmvn_4x4_kernelILj128ELj32EfliDF16_DF16_fEEvT3_20rocsparse_direction_NS_24const_host_device_scalarIT1_EES1_PKS1_PKT2_SA_S7_PKT4_PKT5_S5_PT6_21rocsparse_index_base_b
    .private_segment_fixed_size: 0
    .sgpr_count:     22
    .sgpr_spill_count: 0
    .symbol:         _ZN9rocsparseL18bsrxmvn_4x4_kernelILj128ELj32EfliDF16_DF16_fEEvT3_20rocsparse_direction_NS_24const_host_device_scalarIT1_EES1_PKS1_PKT2_SA_S7_PKT4_PKT5_S5_PT6_21rocsparse_index_base_b.kd
    .uniform_work_group_size: 1
    .uses_dynamic_stack: false
    .vgpr_count:     60
    .vgpr_spill_count: 0
    .wavefront_size: 32
    .workgroup_processor_mode: 1
  - .args:
      - .offset:         0
        .size:           4
        .value_kind:     by_value
      - .offset:         4
        .size:           4
        .value_kind:     by_value
      - .offset:         8
        .size:           8
        .value_kind:     by_value
      - .offset:         16
        .size:           4
        .value_kind:     by_value
      - .actual_access:  read_only
        .address_space:  global
        .offset:         24
        .size:           8
        .value_kind:     global_buffer
      - .actual_access:  read_only
        .address_space:  global
        .offset:         32
        .size:           8
        .value_kind:     global_buffer
      - .actual_access:  read_only
        .address_space:  global
        .offset:         40
        .size:           8
        .value_kind:     global_buffer
      - .actual_access:  read_only
        .address_space:  global
        .offset:         48
        .size:           8
        .value_kind:     global_buffer
      - .actual_access:  read_only
        .address_space:  global
        .offset:         56
        .size:           8
        .value_kind:     global_buffer
      - .actual_access:  read_only
        .address_space:  global
        .offset:         64
        .size:           8
        .value_kind:     global_buffer
      - .offset:         72
        .size:           8
        .value_kind:     by_value
      - .address_space:  global
        .offset:         80
        .size:           8
        .value_kind:     global_buffer
      - .offset:         88
        .size:           4
        .value_kind:     by_value
      - .offset:         92
        .size:           1
        .value_kind:     by_value
    .group_segment_fixed_size: 0
    .kernarg_segment_align: 8
    .kernarg_segment_size: 96
    .language:       OpenCL C
    .language_version:
      - 2
      - 0
    .max_flat_workgroup_size: 128
    .name:           _ZN9rocsparseL18bsrxmvn_4x4_kernelILj128ELj64EfliDF16_DF16_fEEvT3_20rocsparse_direction_NS_24const_host_device_scalarIT1_EES1_PKS1_PKT2_SA_S7_PKT4_PKT5_S5_PT6_21rocsparse_index_base_b
    .private_segment_fixed_size: 0
    .sgpr_count:     22
    .sgpr_spill_count: 0
    .symbol:         _ZN9rocsparseL18bsrxmvn_4x4_kernelILj128ELj64EfliDF16_DF16_fEEvT3_20rocsparse_direction_NS_24const_host_device_scalarIT1_EES1_PKS1_PKT2_SA_S7_PKT4_PKT5_S5_PT6_21rocsparse_index_base_b.kd
    .uniform_work_group_size: 1
    .uses_dynamic_stack: false
    .vgpr_count:     60
    .vgpr_spill_count: 0
    .wavefront_size: 32
    .workgroup_processor_mode: 1
  - .args:
      - .offset:         0
        .size:           8
        .value_kind:     by_value
      - .offset:         8
        .size:           4
        .value_kind:     by_value
      - .offset:         16
        .size:           8
        .value_kind:     by_value
      - .offset:         24
        .size:           8
        .value_kind:     by_value
      - .actual_access:  read_only
        .address_space:  global
        .offset:         32
        .size:           8
        .value_kind:     global_buffer
      - .actual_access:  read_only
        .address_space:  global
        .offset:         40
        .size:           8
        .value_kind:     global_buffer
      - .actual_access:  read_only
        .address_space:  global
        .offset:         48
        .size:           8
        .value_kind:     global_buffer
      - .actual_access:  read_only
        .address_space:  global
        .offset:         56
        .size:           8
        .value_kind:     global_buffer
      - .actual_access:  read_only
        .address_space:  global
        .offset:         64
        .size:           8
        .value_kind:     global_buffer
      - .actual_access:  read_only
        .address_space:  global
        .offset:         72
        .size:           8
        .value_kind:     global_buffer
      - .offset:         80
        .size:           8
        .value_kind:     by_value
      - .address_space:  global
        .offset:         88
        .size:           8
        .value_kind:     global_buffer
      - .offset:         96
        .size:           4
        .value_kind:     by_value
      - .offset:         100
        .size:           1
        .value_kind:     by_value
    .group_segment_fixed_size: 0
    .kernarg_segment_align: 8
    .kernarg_segment_size: 104
    .language:       OpenCL C
    .language_version:
      - 2
      - 0
    .max_flat_workgroup_size: 128
    .name:           _ZN9rocsparseL18bsrxmvn_4x4_kernelILj128ELj4EfllDF16_DF16_fEEvT3_20rocsparse_direction_NS_24const_host_device_scalarIT1_EES1_PKS1_PKT2_SA_S7_PKT4_PKT5_S5_PT6_21rocsparse_index_base_b
    .private_segment_fixed_size: 0
    .sgpr_count:     24
    .sgpr_spill_count: 0
    .symbol:         _ZN9rocsparseL18bsrxmvn_4x4_kernelILj128ELj4EfllDF16_DF16_fEEvT3_20rocsparse_direction_NS_24const_host_device_scalarIT1_EES1_PKS1_PKT2_SA_S7_PKT4_PKT5_S5_PT6_21rocsparse_index_base_b.kd
    .uniform_work_group_size: 1
    .uses_dynamic_stack: false
    .vgpr_count:     61
    .vgpr_spill_count: 0
    .wavefront_size: 32
    .workgroup_processor_mode: 1
  - .args:
      - .offset:         0
        .size:           8
        .value_kind:     by_value
      - .offset:         8
        .size:           4
        .value_kind:     by_value
      - .offset:         16
        .size:           8
        .value_kind:     by_value
      - .offset:         24
        .size:           8
        .value_kind:     by_value
      - .actual_access:  read_only
        .address_space:  global
        .offset:         32
        .size:           8
        .value_kind:     global_buffer
      - .actual_access:  read_only
        .address_space:  global
        .offset:         40
        .size:           8
        .value_kind:     global_buffer
      - .actual_access:  read_only
        .address_space:  global
        .offset:         48
        .size:           8
        .value_kind:     global_buffer
      - .actual_access:  read_only
        .address_space:  global
        .offset:         56
        .size:           8
        .value_kind:     global_buffer
      - .actual_access:  read_only
        .address_space:  global
        .offset:         64
        .size:           8
        .value_kind:     global_buffer
      - .actual_access:  read_only
        .address_space:  global
        .offset:         72
        .size:           8
        .value_kind:     global_buffer
      - .offset:         80
        .size:           8
        .value_kind:     by_value
      - .address_space:  global
        .offset:         88
        .size:           8
        .value_kind:     global_buffer
      - .offset:         96
        .size:           4
        .value_kind:     by_value
      - .offset:         100
        .size:           1
        .value_kind:     by_value
    .group_segment_fixed_size: 0
    .kernarg_segment_align: 8
    .kernarg_segment_size: 104
    .language:       OpenCL C
    .language_version:
      - 2
      - 0
    .max_flat_workgroup_size: 128
    .name:           _ZN9rocsparseL18bsrxmvn_4x4_kernelILj128ELj8EfllDF16_DF16_fEEvT3_20rocsparse_direction_NS_24const_host_device_scalarIT1_EES1_PKS1_PKT2_SA_S7_PKT4_PKT5_S5_PT6_21rocsparse_index_base_b
    .private_segment_fixed_size: 0
    .sgpr_count:     24
    .sgpr_spill_count: 0
    .symbol:         _ZN9rocsparseL18bsrxmvn_4x4_kernelILj128ELj8EfllDF16_DF16_fEEvT3_20rocsparse_direction_NS_24const_host_device_scalarIT1_EES1_PKS1_PKT2_SA_S7_PKT4_PKT5_S5_PT6_21rocsparse_index_base_b.kd
    .uniform_work_group_size: 1
    .uses_dynamic_stack: false
    .vgpr_count:     61
    .vgpr_spill_count: 0
    .wavefront_size: 32
    .workgroup_processor_mode: 1
  - .args:
      - .offset:         0
        .size:           8
        .value_kind:     by_value
      - .offset:         8
        .size:           4
        .value_kind:     by_value
      - .offset:         16
        .size:           8
        .value_kind:     by_value
      - .offset:         24
        .size:           8
        .value_kind:     by_value
      - .actual_access:  read_only
        .address_space:  global
        .offset:         32
        .size:           8
        .value_kind:     global_buffer
      - .actual_access:  read_only
        .address_space:  global
        .offset:         40
        .size:           8
        .value_kind:     global_buffer
      - .actual_access:  read_only
        .address_space:  global
        .offset:         48
        .size:           8
        .value_kind:     global_buffer
      - .actual_access:  read_only
        .address_space:  global
        .offset:         56
        .size:           8
        .value_kind:     global_buffer
      - .actual_access:  read_only
        .address_space:  global
        .offset:         64
        .size:           8
        .value_kind:     global_buffer
      - .actual_access:  read_only
        .address_space:  global
        .offset:         72
        .size:           8
        .value_kind:     global_buffer
      - .offset:         80
        .size:           8
        .value_kind:     by_value
      - .address_space:  global
        .offset:         88
        .size:           8
        .value_kind:     global_buffer
      - .offset:         96
        .size:           4
        .value_kind:     by_value
      - .offset:         100
        .size:           1
        .value_kind:     by_value
    .group_segment_fixed_size: 0
    .kernarg_segment_align: 8
    .kernarg_segment_size: 104
    .language:       OpenCL C
    .language_version:
      - 2
      - 0
    .max_flat_workgroup_size: 128
    .name:           _ZN9rocsparseL18bsrxmvn_4x4_kernelILj128ELj16EfllDF16_DF16_fEEvT3_20rocsparse_direction_NS_24const_host_device_scalarIT1_EES1_PKS1_PKT2_SA_S7_PKT4_PKT5_S5_PT6_21rocsparse_index_base_b
    .private_segment_fixed_size: 0
    .sgpr_count:     24
    .sgpr_spill_count: 0
    .symbol:         _ZN9rocsparseL18bsrxmvn_4x4_kernelILj128ELj16EfllDF16_DF16_fEEvT3_20rocsparse_direction_NS_24const_host_device_scalarIT1_EES1_PKS1_PKT2_SA_S7_PKT4_PKT5_S5_PT6_21rocsparse_index_base_b.kd
    .uniform_work_group_size: 1
    .uses_dynamic_stack: false
    .vgpr_count:     61
    .vgpr_spill_count: 0
    .wavefront_size: 32
    .workgroup_processor_mode: 1
  - .args:
      - .offset:         0
        .size:           8
        .value_kind:     by_value
      - .offset:         8
        .size:           4
        .value_kind:     by_value
      - .offset:         16
        .size:           8
        .value_kind:     by_value
      - .offset:         24
        .size:           8
        .value_kind:     by_value
      - .actual_access:  read_only
        .address_space:  global
        .offset:         32
        .size:           8
        .value_kind:     global_buffer
      - .actual_access:  read_only
        .address_space:  global
        .offset:         40
        .size:           8
        .value_kind:     global_buffer
      - .actual_access:  read_only
        .address_space:  global
        .offset:         48
        .size:           8
        .value_kind:     global_buffer
      - .actual_access:  read_only
        .address_space:  global
        .offset:         56
        .size:           8
        .value_kind:     global_buffer
      - .actual_access:  read_only
        .address_space:  global
        .offset:         64
        .size:           8
        .value_kind:     global_buffer
      - .actual_access:  read_only
        .address_space:  global
        .offset:         72
        .size:           8
        .value_kind:     global_buffer
      - .offset:         80
        .size:           8
        .value_kind:     by_value
      - .address_space:  global
        .offset:         88
        .size:           8
        .value_kind:     global_buffer
      - .offset:         96
        .size:           4
        .value_kind:     by_value
      - .offset:         100
        .size:           1
        .value_kind:     by_value
    .group_segment_fixed_size: 0
    .kernarg_segment_align: 8
    .kernarg_segment_size: 104
    .language:       OpenCL C
    .language_version:
      - 2
      - 0
    .max_flat_workgroup_size: 128
    .name:           _ZN9rocsparseL18bsrxmvn_4x4_kernelILj128ELj32EfllDF16_DF16_fEEvT3_20rocsparse_direction_NS_24const_host_device_scalarIT1_EES1_PKS1_PKT2_SA_S7_PKT4_PKT5_S5_PT6_21rocsparse_index_base_b
    .private_segment_fixed_size: 0
    .sgpr_count:     24
    .sgpr_spill_count: 0
    .symbol:         _ZN9rocsparseL18bsrxmvn_4x4_kernelILj128ELj32EfllDF16_DF16_fEEvT3_20rocsparse_direction_NS_24const_host_device_scalarIT1_EES1_PKS1_PKT2_SA_S7_PKT4_PKT5_S5_PT6_21rocsparse_index_base_b.kd
    .uniform_work_group_size: 1
    .uses_dynamic_stack: false
    .vgpr_count:     61
    .vgpr_spill_count: 0
    .wavefront_size: 32
    .workgroup_processor_mode: 1
  - .args:
      - .offset:         0
        .size:           8
        .value_kind:     by_value
      - .offset:         8
        .size:           4
        .value_kind:     by_value
      - .offset:         16
        .size:           8
        .value_kind:     by_value
      - .offset:         24
        .size:           8
        .value_kind:     by_value
      - .actual_access:  read_only
        .address_space:  global
        .offset:         32
        .size:           8
        .value_kind:     global_buffer
      - .actual_access:  read_only
        .address_space:  global
        .offset:         40
        .size:           8
        .value_kind:     global_buffer
      - .actual_access:  read_only
        .address_space:  global
        .offset:         48
        .size:           8
        .value_kind:     global_buffer
      - .actual_access:  read_only
        .address_space:  global
        .offset:         56
        .size:           8
        .value_kind:     global_buffer
      - .actual_access:  read_only
        .address_space:  global
        .offset:         64
        .size:           8
        .value_kind:     global_buffer
      - .actual_access:  read_only
        .address_space:  global
        .offset:         72
        .size:           8
        .value_kind:     global_buffer
      - .offset:         80
        .size:           8
        .value_kind:     by_value
      - .address_space:  global
        .offset:         88
        .size:           8
        .value_kind:     global_buffer
      - .offset:         96
        .size:           4
        .value_kind:     by_value
      - .offset:         100
        .size:           1
        .value_kind:     by_value
    .group_segment_fixed_size: 0
    .kernarg_segment_align: 8
    .kernarg_segment_size: 104
    .language:       OpenCL C
    .language_version:
      - 2
      - 0
    .max_flat_workgroup_size: 128
    .name:           _ZN9rocsparseL18bsrxmvn_4x4_kernelILj128ELj64EfllDF16_DF16_fEEvT3_20rocsparse_direction_NS_24const_host_device_scalarIT1_EES1_PKS1_PKT2_SA_S7_PKT4_PKT5_S5_PT6_21rocsparse_index_base_b
    .private_segment_fixed_size: 0
    .sgpr_count:     24
    .sgpr_spill_count: 0
    .symbol:         _ZN9rocsparseL18bsrxmvn_4x4_kernelILj128ELj64EfllDF16_DF16_fEEvT3_20rocsparse_direction_NS_24const_host_device_scalarIT1_EES1_PKS1_PKT2_SA_S7_PKT4_PKT5_S5_PT6_21rocsparse_index_base_b.kd
    .uniform_work_group_size: 1
    .uses_dynamic_stack: false
    .vgpr_count:     61
    .vgpr_spill_count: 0
    .wavefront_size: 32
    .workgroup_processor_mode: 1
  - .args:
      - .offset:         0
        .size:           4
        .value_kind:     by_value
      - .offset:         4
        .size:           4
        .value_kind:     by_value
      - .offset:         8
        .size:           8
        .value_kind:     by_value
      - .offset:         16
        .size:           4
        .value_kind:     by_value
      - .actual_access:  read_only
        .address_space:  global
        .offset:         24
        .size:           8
        .value_kind:     global_buffer
      - .actual_access:  read_only
        .address_space:  global
        .offset:         32
        .size:           8
        .value_kind:     global_buffer
      - .actual_access:  read_only
        .address_space:  global
        .offset:         40
        .size:           8
        .value_kind:     global_buffer
      - .actual_access:  read_only
        .address_space:  global
        .offset:         48
        .size:           8
        .value_kind:     global_buffer
      - .actual_access:  read_only
        .address_space:  global
        .offset:         56
        .size:           8
        .value_kind:     global_buffer
      - .actual_access:  read_only
        .address_space:  global
        .offset:         64
        .size:           8
        .value_kind:     global_buffer
      - .offset:         72
        .size:           8
        .value_kind:     by_value
      - .address_space:  global
        .offset:         80
        .size:           8
        .value_kind:     global_buffer
      - .offset:         88
        .size:           4
        .value_kind:     by_value
      - .offset:         92
        .size:           1
        .value_kind:     by_value
    .group_segment_fixed_size: 0
    .kernarg_segment_align: 8
    .kernarg_segment_size: 96
    .language:       OpenCL C
    .language_version:
      - 2
      - 0
    .max_flat_workgroup_size: 128
    .name:           _ZN9rocsparseL18bsrxmvn_4x4_kernelILj128ELj4Efii18rocsparse_bfloat16S1_fEEvT3_20rocsparse_direction_NS_24const_host_device_scalarIT1_EES2_PKS2_PKT2_SB_S8_PKT4_PKT5_S6_PT6_21rocsparse_index_base_b
    .private_segment_fixed_size: 0
    .sgpr_count:     22
    .sgpr_spill_count: 0
    .symbol:         _ZN9rocsparseL18bsrxmvn_4x4_kernelILj128ELj4Efii18rocsparse_bfloat16S1_fEEvT3_20rocsparse_direction_NS_24const_host_device_scalarIT1_EES2_PKS2_PKT2_SB_S8_PKT4_PKT5_S6_PT6_21rocsparse_index_base_b.kd
    .uniform_work_group_size: 1
    .uses_dynamic_stack: false
    .vgpr_count:     87
    .vgpr_spill_count: 0
    .wavefront_size: 32
    .workgroup_processor_mode: 1
  - .args:
      - .offset:         0
        .size:           4
        .value_kind:     by_value
      - .offset:         4
        .size:           4
        .value_kind:     by_value
      - .offset:         8
        .size:           8
        .value_kind:     by_value
      - .offset:         16
        .size:           4
        .value_kind:     by_value
      - .actual_access:  read_only
        .address_space:  global
        .offset:         24
        .size:           8
        .value_kind:     global_buffer
      - .actual_access:  read_only
        .address_space:  global
        .offset:         32
        .size:           8
        .value_kind:     global_buffer
      - .actual_access:  read_only
        .address_space:  global
        .offset:         40
        .size:           8
        .value_kind:     global_buffer
      - .actual_access:  read_only
        .address_space:  global
        .offset:         48
        .size:           8
        .value_kind:     global_buffer
      - .actual_access:  read_only
        .address_space:  global
        .offset:         56
        .size:           8
        .value_kind:     global_buffer
      - .actual_access:  read_only
        .address_space:  global
        .offset:         64
        .size:           8
        .value_kind:     global_buffer
      - .offset:         72
        .size:           8
        .value_kind:     by_value
      - .address_space:  global
        .offset:         80
        .size:           8
        .value_kind:     global_buffer
      - .offset:         88
        .size:           4
        .value_kind:     by_value
      - .offset:         92
        .size:           1
        .value_kind:     by_value
    .group_segment_fixed_size: 0
    .kernarg_segment_align: 8
    .kernarg_segment_size: 96
    .language:       OpenCL C
    .language_version:
      - 2
      - 0
    .max_flat_workgroup_size: 128
    .name:           _ZN9rocsparseL18bsrxmvn_4x4_kernelILj128ELj8Efii18rocsparse_bfloat16S1_fEEvT3_20rocsparse_direction_NS_24const_host_device_scalarIT1_EES2_PKS2_PKT2_SB_S8_PKT4_PKT5_S6_PT6_21rocsparse_index_base_b
    .private_segment_fixed_size: 0
    .sgpr_count:     22
    .sgpr_spill_count: 0
    .symbol:         _ZN9rocsparseL18bsrxmvn_4x4_kernelILj128ELj8Efii18rocsparse_bfloat16S1_fEEvT3_20rocsparse_direction_NS_24const_host_device_scalarIT1_EES2_PKS2_PKT2_SB_S8_PKT4_PKT5_S6_PT6_21rocsparse_index_base_b.kd
    .uniform_work_group_size: 1
    .uses_dynamic_stack: false
    .vgpr_count:     87
    .vgpr_spill_count: 0
    .wavefront_size: 32
    .workgroup_processor_mode: 1
  - .args:
      - .offset:         0
        .size:           4
        .value_kind:     by_value
      - .offset:         4
        .size:           4
        .value_kind:     by_value
      - .offset:         8
        .size:           8
        .value_kind:     by_value
      - .offset:         16
        .size:           4
        .value_kind:     by_value
      - .actual_access:  read_only
        .address_space:  global
        .offset:         24
        .size:           8
        .value_kind:     global_buffer
      - .actual_access:  read_only
        .address_space:  global
        .offset:         32
        .size:           8
        .value_kind:     global_buffer
      - .actual_access:  read_only
        .address_space:  global
        .offset:         40
        .size:           8
        .value_kind:     global_buffer
      - .actual_access:  read_only
        .address_space:  global
        .offset:         48
        .size:           8
        .value_kind:     global_buffer
      - .actual_access:  read_only
        .address_space:  global
        .offset:         56
        .size:           8
        .value_kind:     global_buffer
      - .actual_access:  read_only
        .address_space:  global
        .offset:         64
        .size:           8
        .value_kind:     global_buffer
      - .offset:         72
        .size:           8
        .value_kind:     by_value
      - .address_space:  global
        .offset:         80
        .size:           8
        .value_kind:     global_buffer
      - .offset:         88
        .size:           4
        .value_kind:     by_value
      - .offset:         92
        .size:           1
        .value_kind:     by_value
    .group_segment_fixed_size: 0
    .kernarg_segment_align: 8
    .kernarg_segment_size: 96
    .language:       OpenCL C
    .language_version:
      - 2
      - 0
    .max_flat_workgroup_size: 128
    .name:           _ZN9rocsparseL18bsrxmvn_4x4_kernelILj128ELj16Efii18rocsparse_bfloat16S1_fEEvT3_20rocsparse_direction_NS_24const_host_device_scalarIT1_EES2_PKS2_PKT2_SB_S8_PKT4_PKT5_S6_PT6_21rocsparse_index_base_b
    .private_segment_fixed_size: 0
    .sgpr_count:     22
    .sgpr_spill_count: 0
    .symbol:         _ZN9rocsparseL18bsrxmvn_4x4_kernelILj128ELj16Efii18rocsparse_bfloat16S1_fEEvT3_20rocsparse_direction_NS_24const_host_device_scalarIT1_EES2_PKS2_PKT2_SB_S8_PKT4_PKT5_S6_PT6_21rocsparse_index_base_b.kd
    .uniform_work_group_size: 1
    .uses_dynamic_stack: false
    .vgpr_count:     87
    .vgpr_spill_count: 0
    .wavefront_size: 32
    .workgroup_processor_mode: 1
  - .args:
      - .offset:         0
        .size:           4
        .value_kind:     by_value
      - .offset:         4
        .size:           4
        .value_kind:     by_value
      - .offset:         8
        .size:           8
        .value_kind:     by_value
      - .offset:         16
        .size:           4
        .value_kind:     by_value
      - .actual_access:  read_only
        .address_space:  global
        .offset:         24
        .size:           8
        .value_kind:     global_buffer
      - .actual_access:  read_only
        .address_space:  global
        .offset:         32
        .size:           8
        .value_kind:     global_buffer
      - .actual_access:  read_only
        .address_space:  global
        .offset:         40
        .size:           8
        .value_kind:     global_buffer
      - .actual_access:  read_only
        .address_space:  global
        .offset:         48
        .size:           8
        .value_kind:     global_buffer
      - .actual_access:  read_only
        .address_space:  global
        .offset:         56
        .size:           8
        .value_kind:     global_buffer
      - .actual_access:  read_only
        .address_space:  global
        .offset:         64
        .size:           8
        .value_kind:     global_buffer
      - .offset:         72
        .size:           8
        .value_kind:     by_value
      - .address_space:  global
        .offset:         80
        .size:           8
        .value_kind:     global_buffer
      - .offset:         88
        .size:           4
        .value_kind:     by_value
      - .offset:         92
        .size:           1
        .value_kind:     by_value
    .group_segment_fixed_size: 0
    .kernarg_segment_align: 8
    .kernarg_segment_size: 96
    .language:       OpenCL C
    .language_version:
      - 2
      - 0
    .max_flat_workgroup_size: 128
    .name:           _ZN9rocsparseL18bsrxmvn_4x4_kernelILj128ELj32Efii18rocsparse_bfloat16S1_fEEvT3_20rocsparse_direction_NS_24const_host_device_scalarIT1_EES2_PKS2_PKT2_SB_S8_PKT4_PKT5_S6_PT6_21rocsparse_index_base_b
    .private_segment_fixed_size: 0
    .sgpr_count:     22
    .sgpr_spill_count: 0
    .symbol:         _ZN9rocsparseL18bsrxmvn_4x4_kernelILj128ELj32Efii18rocsparse_bfloat16S1_fEEvT3_20rocsparse_direction_NS_24const_host_device_scalarIT1_EES2_PKS2_PKT2_SB_S8_PKT4_PKT5_S6_PT6_21rocsparse_index_base_b.kd
    .uniform_work_group_size: 1
    .uses_dynamic_stack: false
    .vgpr_count:     87
    .vgpr_spill_count: 0
    .wavefront_size: 32
    .workgroup_processor_mode: 1
  - .args:
      - .offset:         0
        .size:           4
        .value_kind:     by_value
      - .offset:         4
        .size:           4
        .value_kind:     by_value
      - .offset:         8
        .size:           8
        .value_kind:     by_value
      - .offset:         16
        .size:           4
        .value_kind:     by_value
      - .actual_access:  read_only
        .address_space:  global
        .offset:         24
        .size:           8
        .value_kind:     global_buffer
      - .actual_access:  read_only
        .address_space:  global
        .offset:         32
        .size:           8
        .value_kind:     global_buffer
      - .actual_access:  read_only
        .address_space:  global
        .offset:         40
        .size:           8
        .value_kind:     global_buffer
      - .actual_access:  read_only
        .address_space:  global
        .offset:         48
        .size:           8
        .value_kind:     global_buffer
      - .actual_access:  read_only
        .address_space:  global
        .offset:         56
        .size:           8
        .value_kind:     global_buffer
      - .actual_access:  read_only
        .address_space:  global
        .offset:         64
        .size:           8
        .value_kind:     global_buffer
      - .offset:         72
        .size:           8
        .value_kind:     by_value
      - .address_space:  global
        .offset:         80
        .size:           8
        .value_kind:     global_buffer
      - .offset:         88
        .size:           4
        .value_kind:     by_value
      - .offset:         92
        .size:           1
        .value_kind:     by_value
    .group_segment_fixed_size: 0
    .kernarg_segment_align: 8
    .kernarg_segment_size: 96
    .language:       OpenCL C
    .language_version:
      - 2
      - 0
    .max_flat_workgroup_size: 128
    .name:           _ZN9rocsparseL18bsrxmvn_4x4_kernelILj128ELj64Efii18rocsparse_bfloat16S1_fEEvT3_20rocsparse_direction_NS_24const_host_device_scalarIT1_EES2_PKS2_PKT2_SB_S8_PKT4_PKT5_S6_PT6_21rocsparse_index_base_b
    .private_segment_fixed_size: 0
    .sgpr_count:     22
    .sgpr_spill_count: 0
    .symbol:         _ZN9rocsparseL18bsrxmvn_4x4_kernelILj128ELj64Efii18rocsparse_bfloat16S1_fEEvT3_20rocsparse_direction_NS_24const_host_device_scalarIT1_EES2_PKS2_PKT2_SB_S8_PKT4_PKT5_S6_PT6_21rocsparse_index_base_b.kd
    .uniform_work_group_size: 1
    .uses_dynamic_stack: false
    .vgpr_count:     87
    .vgpr_spill_count: 0
    .wavefront_size: 32
    .workgroup_processor_mode: 1
  - .args:
      - .offset:         0
        .size:           4
        .value_kind:     by_value
      - .offset:         4
        .size:           4
        .value_kind:     by_value
      - .offset:         8
        .size:           8
        .value_kind:     by_value
      - .offset:         16
        .size:           4
        .value_kind:     by_value
      - .actual_access:  read_only
        .address_space:  global
        .offset:         24
        .size:           8
        .value_kind:     global_buffer
      - .actual_access:  read_only
        .address_space:  global
        .offset:         32
        .size:           8
        .value_kind:     global_buffer
      - .actual_access:  read_only
        .address_space:  global
        .offset:         40
        .size:           8
        .value_kind:     global_buffer
      - .actual_access:  read_only
        .address_space:  global
        .offset:         48
        .size:           8
        .value_kind:     global_buffer
      - .actual_access:  read_only
        .address_space:  global
        .offset:         56
        .size:           8
        .value_kind:     global_buffer
      - .actual_access:  read_only
        .address_space:  global
        .offset:         64
        .size:           8
        .value_kind:     global_buffer
      - .offset:         72
        .size:           8
        .value_kind:     by_value
      - .address_space:  global
        .offset:         80
        .size:           8
        .value_kind:     global_buffer
      - .offset:         88
        .size:           4
        .value_kind:     by_value
      - .offset:         92
        .size:           1
        .value_kind:     by_value
    .group_segment_fixed_size: 0
    .kernarg_segment_align: 8
    .kernarg_segment_size: 96
    .language:       OpenCL C
    .language_version:
      - 2
      - 0
    .max_flat_workgroup_size: 128
    .name:           _ZN9rocsparseL18bsrxmvn_4x4_kernelILj128ELj4Efli18rocsparse_bfloat16S1_fEEvT3_20rocsparse_direction_NS_24const_host_device_scalarIT1_EES2_PKS2_PKT2_SB_S8_PKT4_PKT5_S6_PT6_21rocsparse_index_base_b
    .private_segment_fixed_size: 0
    .sgpr_count:     22
    .sgpr_spill_count: 0
    .symbol:         _ZN9rocsparseL18bsrxmvn_4x4_kernelILj128ELj4Efli18rocsparse_bfloat16S1_fEEvT3_20rocsparse_direction_NS_24const_host_device_scalarIT1_EES2_PKS2_PKT2_SB_S8_PKT4_PKT5_S6_PT6_21rocsparse_index_base_b.kd
    .uniform_work_group_size: 1
    .uses_dynamic_stack: false
    .vgpr_count:     93
    .vgpr_spill_count: 0
    .wavefront_size: 32
    .workgroup_processor_mode: 1
  - .args:
      - .offset:         0
        .size:           4
        .value_kind:     by_value
      - .offset:         4
        .size:           4
        .value_kind:     by_value
      - .offset:         8
        .size:           8
        .value_kind:     by_value
      - .offset:         16
        .size:           4
        .value_kind:     by_value
      - .actual_access:  read_only
        .address_space:  global
        .offset:         24
        .size:           8
        .value_kind:     global_buffer
      - .actual_access:  read_only
        .address_space:  global
        .offset:         32
        .size:           8
        .value_kind:     global_buffer
      - .actual_access:  read_only
        .address_space:  global
        .offset:         40
        .size:           8
        .value_kind:     global_buffer
      - .actual_access:  read_only
        .address_space:  global
        .offset:         48
        .size:           8
        .value_kind:     global_buffer
      - .actual_access:  read_only
        .address_space:  global
        .offset:         56
        .size:           8
        .value_kind:     global_buffer
      - .actual_access:  read_only
        .address_space:  global
        .offset:         64
        .size:           8
        .value_kind:     global_buffer
      - .offset:         72
        .size:           8
        .value_kind:     by_value
      - .address_space:  global
        .offset:         80
        .size:           8
        .value_kind:     global_buffer
      - .offset:         88
        .size:           4
        .value_kind:     by_value
      - .offset:         92
        .size:           1
        .value_kind:     by_value
    .group_segment_fixed_size: 0
    .kernarg_segment_align: 8
    .kernarg_segment_size: 96
    .language:       OpenCL C
    .language_version:
      - 2
      - 0
    .max_flat_workgroup_size: 128
    .name:           _ZN9rocsparseL18bsrxmvn_4x4_kernelILj128ELj8Efli18rocsparse_bfloat16S1_fEEvT3_20rocsparse_direction_NS_24const_host_device_scalarIT1_EES2_PKS2_PKT2_SB_S8_PKT4_PKT5_S6_PT6_21rocsparse_index_base_b
    .private_segment_fixed_size: 0
    .sgpr_count:     22
    .sgpr_spill_count: 0
    .symbol:         _ZN9rocsparseL18bsrxmvn_4x4_kernelILj128ELj8Efli18rocsparse_bfloat16S1_fEEvT3_20rocsparse_direction_NS_24const_host_device_scalarIT1_EES2_PKS2_PKT2_SB_S8_PKT4_PKT5_S6_PT6_21rocsparse_index_base_b.kd
    .uniform_work_group_size: 1
    .uses_dynamic_stack: false
    .vgpr_count:     93
    .vgpr_spill_count: 0
    .wavefront_size: 32
    .workgroup_processor_mode: 1
  - .args:
      - .offset:         0
        .size:           4
        .value_kind:     by_value
      - .offset:         4
        .size:           4
        .value_kind:     by_value
      - .offset:         8
        .size:           8
        .value_kind:     by_value
      - .offset:         16
        .size:           4
        .value_kind:     by_value
      - .actual_access:  read_only
        .address_space:  global
        .offset:         24
        .size:           8
        .value_kind:     global_buffer
      - .actual_access:  read_only
        .address_space:  global
        .offset:         32
        .size:           8
        .value_kind:     global_buffer
      - .actual_access:  read_only
        .address_space:  global
        .offset:         40
        .size:           8
        .value_kind:     global_buffer
      - .actual_access:  read_only
        .address_space:  global
        .offset:         48
        .size:           8
        .value_kind:     global_buffer
      - .actual_access:  read_only
        .address_space:  global
        .offset:         56
        .size:           8
        .value_kind:     global_buffer
      - .actual_access:  read_only
        .address_space:  global
        .offset:         64
        .size:           8
        .value_kind:     global_buffer
      - .offset:         72
        .size:           8
        .value_kind:     by_value
      - .address_space:  global
        .offset:         80
        .size:           8
        .value_kind:     global_buffer
      - .offset:         88
        .size:           4
        .value_kind:     by_value
      - .offset:         92
        .size:           1
        .value_kind:     by_value
    .group_segment_fixed_size: 0
    .kernarg_segment_align: 8
    .kernarg_segment_size: 96
    .language:       OpenCL C
    .language_version:
      - 2
      - 0
    .max_flat_workgroup_size: 128
    .name:           _ZN9rocsparseL18bsrxmvn_4x4_kernelILj128ELj16Efli18rocsparse_bfloat16S1_fEEvT3_20rocsparse_direction_NS_24const_host_device_scalarIT1_EES2_PKS2_PKT2_SB_S8_PKT4_PKT5_S6_PT6_21rocsparse_index_base_b
    .private_segment_fixed_size: 0
    .sgpr_count:     22
    .sgpr_spill_count: 0
    .symbol:         _ZN9rocsparseL18bsrxmvn_4x4_kernelILj128ELj16Efli18rocsparse_bfloat16S1_fEEvT3_20rocsparse_direction_NS_24const_host_device_scalarIT1_EES2_PKS2_PKT2_SB_S8_PKT4_PKT5_S6_PT6_21rocsparse_index_base_b.kd
    .uniform_work_group_size: 1
    .uses_dynamic_stack: false
    .vgpr_count:     93
    .vgpr_spill_count: 0
    .wavefront_size: 32
    .workgroup_processor_mode: 1
  - .args:
      - .offset:         0
        .size:           4
        .value_kind:     by_value
      - .offset:         4
        .size:           4
        .value_kind:     by_value
      - .offset:         8
        .size:           8
        .value_kind:     by_value
      - .offset:         16
        .size:           4
        .value_kind:     by_value
      - .actual_access:  read_only
        .address_space:  global
        .offset:         24
        .size:           8
        .value_kind:     global_buffer
      - .actual_access:  read_only
        .address_space:  global
        .offset:         32
        .size:           8
        .value_kind:     global_buffer
      - .actual_access:  read_only
        .address_space:  global
        .offset:         40
        .size:           8
        .value_kind:     global_buffer
      - .actual_access:  read_only
        .address_space:  global
        .offset:         48
        .size:           8
        .value_kind:     global_buffer
      - .actual_access:  read_only
        .address_space:  global
        .offset:         56
        .size:           8
        .value_kind:     global_buffer
      - .actual_access:  read_only
        .address_space:  global
        .offset:         64
        .size:           8
        .value_kind:     global_buffer
      - .offset:         72
        .size:           8
        .value_kind:     by_value
      - .address_space:  global
        .offset:         80
        .size:           8
        .value_kind:     global_buffer
      - .offset:         88
        .size:           4
        .value_kind:     by_value
      - .offset:         92
        .size:           1
        .value_kind:     by_value
    .group_segment_fixed_size: 0
    .kernarg_segment_align: 8
    .kernarg_segment_size: 96
    .language:       OpenCL C
    .language_version:
      - 2
      - 0
    .max_flat_workgroup_size: 128
    .name:           _ZN9rocsparseL18bsrxmvn_4x4_kernelILj128ELj32Efli18rocsparse_bfloat16S1_fEEvT3_20rocsparse_direction_NS_24const_host_device_scalarIT1_EES2_PKS2_PKT2_SB_S8_PKT4_PKT5_S6_PT6_21rocsparse_index_base_b
    .private_segment_fixed_size: 0
    .sgpr_count:     22
    .sgpr_spill_count: 0
    .symbol:         _ZN9rocsparseL18bsrxmvn_4x4_kernelILj128ELj32Efli18rocsparse_bfloat16S1_fEEvT3_20rocsparse_direction_NS_24const_host_device_scalarIT1_EES2_PKS2_PKT2_SB_S8_PKT4_PKT5_S6_PT6_21rocsparse_index_base_b.kd
    .uniform_work_group_size: 1
    .uses_dynamic_stack: false
    .vgpr_count:     93
    .vgpr_spill_count: 0
    .wavefront_size: 32
    .workgroup_processor_mode: 1
  - .args:
      - .offset:         0
        .size:           4
        .value_kind:     by_value
      - .offset:         4
        .size:           4
        .value_kind:     by_value
      - .offset:         8
        .size:           8
        .value_kind:     by_value
      - .offset:         16
        .size:           4
        .value_kind:     by_value
      - .actual_access:  read_only
        .address_space:  global
        .offset:         24
        .size:           8
        .value_kind:     global_buffer
      - .actual_access:  read_only
        .address_space:  global
        .offset:         32
        .size:           8
        .value_kind:     global_buffer
      - .actual_access:  read_only
        .address_space:  global
        .offset:         40
        .size:           8
        .value_kind:     global_buffer
      - .actual_access:  read_only
        .address_space:  global
        .offset:         48
        .size:           8
        .value_kind:     global_buffer
      - .actual_access:  read_only
        .address_space:  global
        .offset:         56
        .size:           8
        .value_kind:     global_buffer
      - .actual_access:  read_only
        .address_space:  global
        .offset:         64
        .size:           8
        .value_kind:     global_buffer
      - .offset:         72
        .size:           8
        .value_kind:     by_value
      - .address_space:  global
        .offset:         80
        .size:           8
        .value_kind:     global_buffer
      - .offset:         88
        .size:           4
        .value_kind:     by_value
      - .offset:         92
        .size:           1
        .value_kind:     by_value
    .group_segment_fixed_size: 0
    .kernarg_segment_align: 8
    .kernarg_segment_size: 96
    .language:       OpenCL C
    .language_version:
      - 2
      - 0
    .max_flat_workgroup_size: 128
    .name:           _ZN9rocsparseL18bsrxmvn_4x4_kernelILj128ELj64Efli18rocsparse_bfloat16S1_fEEvT3_20rocsparse_direction_NS_24const_host_device_scalarIT1_EES2_PKS2_PKT2_SB_S8_PKT4_PKT5_S6_PT6_21rocsparse_index_base_b
    .private_segment_fixed_size: 0
    .sgpr_count:     22
    .sgpr_spill_count: 0
    .symbol:         _ZN9rocsparseL18bsrxmvn_4x4_kernelILj128ELj64Efli18rocsparse_bfloat16S1_fEEvT3_20rocsparse_direction_NS_24const_host_device_scalarIT1_EES2_PKS2_PKT2_SB_S8_PKT4_PKT5_S6_PT6_21rocsparse_index_base_b.kd
    .uniform_work_group_size: 1
    .uses_dynamic_stack: false
    .vgpr_count:     93
    .vgpr_spill_count: 0
    .wavefront_size: 32
    .workgroup_processor_mode: 1
  - .args:
      - .offset:         0
        .size:           8
        .value_kind:     by_value
      - .offset:         8
        .size:           4
        .value_kind:     by_value
      - .offset:         16
        .size:           8
        .value_kind:     by_value
      - .offset:         24
        .size:           8
        .value_kind:     by_value
      - .actual_access:  read_only
        .address_space:  global
        .offset:         32
        .size:           8
        .value_kind:     global_buffer
      - .actual_access:  read_only
        .address_space:  global
        .offset:         40
        .size:           8
        .value_kind:     global_buffer
      - .actual_access:  read_only
        .address_space:  global
        .offset:         48
        .size:           8
        .value_kind:     global_buffer
      - .actual_access:  read_only
        .address_space:  global
        .offset:         56
        .size:           8
        .value_kind:     global_buffer
      - .actual_access:  read_only
        .address_space:  global
        .offset:         64
        .size:           8
        .value_kind:     global_buffer
      - .actual_access:  read_only
        .address_space:  global
        .offset:         72
        .size:           8
        .value_kind:     global_buffer
      - .offset:         80
        .size:           8
        .value_kind:     by_value
      - .address_space:  global
        .offset:         88
        .size:           8
        .value_kind:     global_buffer
      - .offset:         96
        .size:           4
        .value_kind:     by_value
      - .offset:         100
        .size:           1
        .value_kind:     by_value
    .group_segment_fixed_size: 0
    .kernarg_segment_align: 8
    .kernarg_segment_size: 104
    .language:       OpenCL C
    .language_version:
      - 2
      - 0
    .max_flat_workgroup_size: 128
    .name:           _ZN9rocsparseL18bsrxmvn_4x4_kernelILj128ELj4Efll18rocsparse_bfloat16S1_fEEvT3_20rocsparse_direction_NS_24const_host_device_scalarIT1_EES2_PKS2_PKT2_SB_S8_PKT4_PKT5_S6_PT6_21rocsparse_index_base_b
    .private_segment_fixed_size: 0
    .sgpr_count:     24
    .sgpr_spill_count: 0
    .symbol:         _ZN9rocsparseL18bsrxmvn_4x4_kernelILj128ELj4Efll18rocsparse_bfloat16S1_fEEvT3_20rocsparse_direction_NS_24const_host_device_scalarIT1_EES2_PKS2_PKT2_SB_S8_PKT4_PKT5_S6_PT6_21rocsparse_index_base_b.kd
    .uniform_work_group_size: 1
    .uses_dynamic_stack: false
    .vgpr_count:     94
    .vgpr_spill_count: 0
    .wavefront_size: 32
    .workgroup_processor_mode: 1
  - .args:
      - .offset:         0
        .size:           8
        .value_kind:     by_value
      - .offset:         8
        .size:           4
        .value_kind:     by_value
      - .offset:         16
        .size:           8
        .value_kind:     by_value
      - .offset:         24
        .size:           8
        .value_kind:     by_value
      - .actual_access:  read_only
        .address_space:  global
        .offset:         32
        .size:           8
        .value_kind:     global_buffer
      - .actual_access:  read_only
        .address_space:  global
        .offset:         40
        .size:           8
        .value_kind:     global_buffer
      - .actual_access:  read_only
        .address_space:  global
        .offset:         48
        .size:           8
        .value_kind:     global_buffer
      - .actual_access:  read_only
        .address_space:  global
        .offset:         56
        .size:           8
        .value_kind:     global_buffer
      - .actual_access:  read_only
        .address_space:  global
        .offset:         64
        .size:           8
        .value_kind:     global_buffer
      - .actual_access:  read_only
        .address_space:  global
        .offset:         72
        .size:           8
        .value_kind:     global_buffer
      - .offset:         80
        .size:           8
        .value_kind:     by_value
      - .address_space:  global
        .offset:         88
        .size:           8
        .value_kind:     global_buffer
      - .offset:         96
        .size:           4
        .value_kind:     by_value
      - .offset:         100
        .size:           1
        .value_kind:     by_value
    .group_segment_fixed_size: 0
    .kernarg_segment_align: 8
    .kernarg_segment_size: 104
    .language:       OpenCL C
    .language_version:
      - 2
      - 0
    .max_flat_workgroup_size: 128
    .name:           _ZN9rocsparseL18bsrxmvn_4x4_kernelILj128ELj8Efll18rocsparse_bfloat16S1_fEEvT3_20rocsparse_direction_NS_24const_host_device_scalarIT1_EES2_PKS2_PKT2_SB_S8_PKT4_PKT5_S6_PT6_21rocsparse_index_base_b
    .private_segment_fixed_size: 0
    .sgpr_count:     24
    .sgpr_spill_count: 0
    .symbol:         _ZN9rocsparseL18bsrxmvn_4x4_kernelILj128ELj8Efll18rocsparse_bfloat16S1_fEEvT3_20rocsparse_direction_NS_24const_host_device_scalarIT1_EES2_PKS2_PKT2_SB_S8_PKT4_PKT5_S6_PT6_21rocsparse_index_base_b.kd
    .uniform_work_group_size: 1
    .uses_dynamic_stack: false
    .vgpr_count:     94
    .vgpr_spill_count: 0
    .wavefront_size: 32
    .workgroup_processor_mode: 1
  - .args:
      - .offset:         0
        .size:           8
        .value_kind:     by_value
      - .offset:         8
        .size:           4
        .value_kind:     by_value
      - .offset:         16
        .size:           8
        .value_kind:     by_value
      - .offset:         24
        .size:           8
        .value_kind:     by_value
      - .actual_access:  read_only
        .address_space:  global
        .offset:         32
        .size:           8
        .value_kind:     global_buffer
      - .actual_access:  read_only
        .address_space:  global
        .offset:         40
        .size:           8
        .value_kind:     global_buffer
      - .actual_access:  read_only
        .address_space:  global
        .offset:         48
        .size:           8
        .value_kind:     global_buffer
      - .actual_access:  read_only
        .address_space:  global
        .offset:         56
        .size:           8
        .value_kind:     global_buffer
      - .actual_access:  read_only
        .address_space:  global
        .offset:         64
        .size:           8
        .value_kind:     global_buffer
      - .actual_access:  read_only
        .address_space:  global
        .offset:         72
        .size:           8
        .value_kind:     global_buffer
      - .offset:         80
        .size:           8
        .value_kind:     by_value
      - .address_space:  global
        .offset:         88
        .size:           8
        .value_kind:     global_buffer
      - .offset:         96
        .size:           4
        .value_kind:     by_value
      - .offset:         100
        .size:           1
        .value_kind:     by_value
    .group_segment_fixed_size: 0
    .kernarg_segment_align: 8
    .kernarg_segment_size: 104
    .language:       OpenCL C
    .language_version:
      - 2
      - 0
    .max_flat_workgroup_size: 128
    .name:           _ZN9rocsparseL18bsrxmvn_4x4_kernelILj128ELj16Efll18rocsparse_bfloat16S1_fEEvT3_20rocsparse_direction_NS_24const_host_device_scalarIT1_EES2_PKS2_PKT2_SB_S8_PKT4_PKT5_S6_PT6_21rocsparse_index_base_b
    .private_segment_fixed_size: 0
    .sgpr_count:     24
    .sgpr_spill_count: 0
    .symbol:         _ZN9rocsparseL18bsrxmvn_4x4_kernelILj128ELj16Efll18rocsparse_bfloat16S1_fEEvT3_20rocsparse_direction_NS_24const_host_device_scalarIT1_EES2_PKS2_PKT2_SB_S8_PKT4_PKT5_S6_PT6_21rocsparse_index_base_b.kd
    .uniform_work_group_size: 1
    .uses_dynamic_stack: false
    .vgpr_count:     94
    .vgpr_spill_count: 0
    .wavefront_size: 32
    .workgroup_processor_mode: 1
  - .args:
      - .offset:         0
        .size:           8
        .value_kind:     by_value
      - .offset:         8
        .size:           4
        .value_kind:     by_value
      - .offset:         16
        .size:           8
        .value_kind:     by_value
      - .offset:         24
        .size:           8
        .value_kind:     by_value
      - .actual_access:  read_only
        .address_space:  global
        .offset:         32
        .size:           8
        .value_kind:     global_buffer
      - .actual_access:  read_only
        .address_space:  global
        .offset:         40
        .size:           8
        .value_kind:     global_buffer
      - .actual_access:  read_only
        .address_space:  global
        .offset:         48
        .size:           8
        .value_kind:     global_buffer
      - .actual_access:  read_only
        .address_space:  global
        .offset:         56
        .size:           8
        .value_kind:     global_buffer
      - .actual_access:  read_only
        .address_space:  global
        .offset:         64
        .size:           8
        .value_kind:     global_buffer
      - .actual_access:  read_only
        .address_space:  global
        .offset:         72
        .size:           8
        .value_kind:     global_buffer
      - .offset:         80
        .size:           8
        .value_kind:     by_value
      - .address_space:  global
        .offset:         88
        .size:           8
        .value_kind:     global_buffer
      - .offset:         96
        .size:           4
        .value_kind:     by_value
      - .offset:         100
        .size:           1
        .value_kind:     by_value
    .group_segment_fixed_size: 0
    .kernarg_segment_align: 8
    .kernarg_segment_size: 104
    .language:       OpenCL C
    .language_version:
      - 2
      - 0
    .max_flat_workgroup_size: 128
    .name:           _ZN9rocsparseL18bsrxmvn_4x4_kernelILj128ELj32Efll18rocsparse_bfloat16S1_fEEvT3_20rocsparse_direction_NS_24const_host_device_scalarIT1_EES2_PKS2_PKT2_SB_S8_PKT4_PKT5_S6_PT6_21rocsparse_index_base_b
    .private_segment_fixed_size: 0
    .sgpr_count:     24
    .sgpr_spill_count: 0
    .symbol:         _ZN9rocsparseL18bsrxmvn_4x4_kernelILj128ELj32Efll18rocsparse_bfloat16S1_fEEvT3_20rocsparse_direction_NS_24const_host_device_scalarIT1_EES2_PKS2_PKT2_SB_S8_PKT4_PKT5_S6_PT6_21rocsparse_index_base_b.kd
    .uniform_work_group_size: 1
    .uses_dynamic_stack: false
    .vgpr_count:     94
    .vgpr_spill_count: 0
    .wavefront_size: 32
    .workgroup_processor_mode: 1
  - .args:
      - .offset:         0
        .size:           8
        .value_kind:     by_value
      - .offset:         8
        .size:           4
        .value_kind:     by_value
      - .offset:         16
        .size:           8
        .value_kind:     by_value
      - .offset:         24
        .size:           8
        .value_kind:     by_value
      - .actual_access:  read_only
        .address_space:  global
        .offset:         32
        .size:           8
        .value_kind:     global_buffer
      - .actual_access:  read_only
        .address_space:  global
        .offset:         40
        .size:           8
        .value_kind:     global_buffer
      - .actual_access:  read_only
        .address_space:  global
        .offset:         48
        .size:           8
        .value_kind:     global_buffer
      - .actual_access:  read_only
        .address_space:  global
        .offset:         56
        .size:           8
        .value_kind:     global_buffer
      - .actual_access:  read_only
        .address_space:  global
        .offset:         64
        .size:           8
        .value_kind:     global_buffer
      - .actual_access:  read_only
        .address_space:  global
        .offset:         72
        .size:           8
        .value_kind:     global_buffer
      - .offset:         80
        .size:           8
        .value_kind:     by_value
      - .address_space:  global
        .offset:         88
        .size:           8
        .value_kind:     global_buffer
      - .offset:         96
        .size:           4
        .value_kind:     by_value
      - .offset:         100
        .size:           1
        .value_kind:     by_value
    .group_segment_fixed_size: 0
    .kernarg_segment_align: 8
    .kernarg_segment_size: 104
    .language:       OpenCL C
    .language_version:
      - 2
      - 0
    .max_flat_workgroup_size: 128
    .name:           _ZN9rocsparseL18bsrxmvn_4x4_kernelILj128ELj64Efll18rocsparse_bfloat16S1_fEEvT3_20rocsparse_direction_NS_24const_host_device_scalarIT1_EES2_PKS2_PKT2_SB_S8_PKT4_PKT5_S6_PT6_21rocsparse_index_base_b
    .private_segment_fixed_size: 0
    .sgpr_count:     24
    .sgpr_spill_count: 0
    .symbol:         _ZN9rocsparseL18bsrxmvn_4x4_kernelILj128ELj64Efll18rocsparse_bfloat16S1_fEEvT3_20rocsparse_direction_NS_24const_host_device_scalarIT1_EES2_PKS2_PKT2_SB_S8_PKT4_PKT5_S6_PT6_21rocsparse_index_base_b.kd
    .uniform_work_group_size: 1
    .uses_dynamic_stack: false
    .vgpr_count:     94
    .vgpr_spill_count: 0
    .wavefront_size: 32
    .workgroup_processor_mode: 1
  - .args:
      - .offset:         0
        .size:           4
        .value_kind:     by_value
      - .offset:         4
        .size:           4
        .value_kind:     by_value
      - .offset:         8
        .size:           8
        .value_kind:     by_value
      - .offset:         16
        .size:           4
        .value_kind:     by_value
      - .actual_access:  read_only
        .address_space:  global
        .offset:         24
        .size:           8
        .value_kind:     global_buffer
      - .actual_access:  read_only
        .address_space:  global
        .offset:         32
        .size:           8
        .value_kind:     global_buffer
      - .actual_access:  read_only
        .address_space:  global
        .offset:         40
        .size:           8
        .value_kind:     global_buffer
      - .actual_access:  read_only
        .address_space:  global
        .offset:         48
        .size:           8
        .value_kind:     global_buffer
      - .actual_access:  read_only
        .address_space:  global
        .offset:         56
        .size:           8
        .value_kind:     global_buffer
      - .actual_access:  read_only
        .address_space:  global
        .offset:         64
        .size:           8
        .value_kind:     global_buffer
      - .offset:         72
        .size:           8
        .value_kind:     by_value
      - .address_space:  global
        .offset:         80
        .size:           8
        .value_kind:     global_buffer
      - .offset:         88
        .size:           4
        .value_kind:     by_value
      - .offset:         92
        .size:           1
        .value_kind:     by_value
    .group_segment_fixed_size: 0
    .kernarg_segment_align: 8
    .kernarg_segment_size: 96
    .language:       OpenCL C
    .language_version:
      - 2
      - 0
    .max_flat_workgroup_size: 128
    .name:           _ZN9rocsparseL18bsrxmvn_4x4_kernelILj128ELj4E21rocsparse_complex_numIfEiifS2_S2_EEvT3_20rocsparse_direction_NS_24const_host_device_scalarIT1_EES3_PKS3_PKT2_SC_S9_PKT4_PKT5_S7_PT6_21rocsparse_index_base_b
    .private_segment_fixed_size: 0
    .sgpr_count:     18
    .sgpr_spill_count: 0
    .symbol:         _ZN9rocsparseL18bsrxmvn_4x4_kernelILj128ELj4E21rocsparse_complex_numIfEiifS2_S2_EEvT3_20rocsparse_direction_NS_24const_host_device_scalarIT1_EES3_PKS3_PKT2_SC_S9_PKT4_PKT5_S7_PT6_21rocsparse_index_base_b.kd
    .uniform_work_group_size: 1
    .uses_dynamic_stack: false
    .vgpr_count:     105
    .vgpr_spill_count: 0
    .wavefront_size: 32
    .workgroup_processor_mode: 1
  - .args:
      - .offset:         0
        .size:           4
        .value_kind:     by_value
      - .offset:         4
        .size:           4
        .value_kind:     by_value
      - .offset:         8
        .size:           8
        .value_kind:     by_value
      - .offset:         16
        .size:           4
        .value_kind:     by_value
      - .actual_access:  read_only
        .address_space:  global
        .offset:         24
        .size:           8
        .value_kind:     global_buffer
      - .actual_access:  read_only
        .address_space:  global
        .offset:         32
        .size:           8
        .value_kind:     global_buffer
      - .actual_access:  read_only
        .address_space:  global
        .offset:         40
        .size:           8
        .value_kind:     global_buffer
      - .actual_access:  read_only
        .address_space:  global
        .offset:         48
        .size:           8
        .value_kind:     global_buffer
      - .actual_access:  read_only
        .address_space:  global
        .offset:         56
        .size:           8
        .value_kind:     global_buffer
      - .actual_access:  read_only
        .address_space:  global
        .offset:         64
        .size:           8
        .value_kind:     global_buffer
      - .offset:         72
        .size:           8
        .value_kind:     by_value
      - .address_space:  global
        .offset:         80
        .size:           8
        .value_kind:     global_buffer
      - .offset:         88
        .size:           4
        .value_kind:     by_value
      - .offset:         92
        .size:           1
        .value_kind:     by_value
    .group_segment_fixed_size: 0
    .kernarg_segment_align: 8
    .kernarg_segment_size: 96
    .language:       OpenCL C
    .language_version:
      - 2
      - 0
    .max_flat_workgroup_size: 128
    .name:           _ZN9rocsparseL18bsrxmvn_4x4_kernelILj128ELj8E21rocsparse_complex_numIfEiifS2_S2_EEvT3_20rocsparse_direction_NS_24const_host_device_scalarIT1_EES3_PKS3_PKT2_SC_S9_PKT4_PKT5_S7_PT6_21rocsparse_index_base_b
    .private_segment_fixed_size: 0
    .sgpr_count:     18
    .sgpr_spill_count: 0
    .symbol:         _ZN9rocsparseL18bsrxmvn_4x4_kernelILj128ELj8E21rocsparse_complex_numIfEiifS2_S2_EEvT3_20rocsparse_direction_NS_24const_host_device_scalarIT1_EES3_PKS3_PKT2_SC_S9_PKT4_PKT5_S7_PT6_21rocsparse_index_base_b.kd
    .uniform_work_group_size: 1
    .uses_dynamic_stack: false
    .vgpr_count:     105
    .vgpr_spill_count: 0
    .wavefront_size: 32
    .workgroup_processor_mode: 1
  - .args:
      - .offset:         0
        .size:           4
        .value_kind:     by_value
      - .offset:         4
        .size:           4
        .value_kind:     by_value
      - .offset:         8
        .size:           8
        .value_kind:     by_value
      - .offset:         16
        .size:           4
        .value_kind:     by_value
      - .actual_access:  read_only
        .address_space:  global
        .offset:         24
        .size:           8
        .value_kind:     global_buffer
      - .actual_access:  read_only
        .address_space:  global
        .offset:         32
        .size:           8
        .value_kind:     global_buffer
      - .actual_access:  read_only
        .address_space:  global
        .offset:         40
        .size:           8
        .value_kind:     global_buffer
      - .actual_access:  read_only
        .address_space:  global
        .offset:         48
        .size:           8
        .value_kind:     global_buffer
      - .actual_access:  read_only
        .address_space:  global
        .offset:         56
        .size:           8
        .value_kind:     global_buffer
      - .actual_access:  read_only
        .address_space:  global
        .offset:         64
        .size:           8
        .value_kind:     global_buffer
      - .offset:         72
        .size:           8
        .value_kind:     by_value
      - .address_space:  global
        .offset:         80
        .size:           8
        .value_kind:     global_buffer
      - .offset:         88
        .size:           4
        .value_kind:     by_value
      - .offset:         92
        .size:           1
        .value_kind:     by_value
    .group_segment_fixed_size: 0
    .kernarg_segment_align: 8
    .kernarg_segment_size: 96
    .language:       OpenCL C
    .language_version:
      - 2
      - 0
    .max_flat_workgroup_size: 128
    .name:           _ZN9rocsparseL18bsrxmvn_4x4_kernelILj128ELj16E21rocsparse_complex_numIfEiifS2_S2_EEvT3_20rocsparse_direction_NS_24const_host_device_scalarIT1_EES3_PKS3_PKT2_SC_S9_PKT4_PKT5_S7_PT6_21rocsparse_index_base_b
    .private_segment_fixed_size: 0
    .sgpr_count:     18
    .sgpr_spill_count: 0
    .symbol:         _ZN9rocsparseL18bsrxmvn_4x4_kernelILj128ELj16E21rocsparse_complex_numIfEiifS2_S2_EEvT3_20rocsparse_direction_NS_24const_host_device_scalarIT1_EES3_PKS3_PKT2_SC_S9_PKT4_PKT5_S7_PT6_21rocsparse_index_base_b.kd
    .uniform_work_group_size: 1
    .uses_dynamic_stack: false
    .vgpr_count:     105
    .vgpr_spill_count: 0
    .wavefront_size: 32
    .workgroup_processor_mode: 1
  - .args:
      - .offset:         0
        .size:           4
        .value_kind:     by_value
      - .offset:         4
        .size:           4
        .value_kind:     by_value
      - .offset:         8
        .size:           8
        .value_kind:     by_value
      - .offset:         16
        .size:           4
        .value_kind:     by_value
      - .actual_access:  read_only
        .address_space:  global
        .offset:         24
        .size:           8
        .value_kind:     global_buffer
      - .actual_access:  read_only
        .address_space:  global
        .offset:         32
        .size:           8
        .value_kind:     global_buffer
      - .actual_access:  read_only
        .address_space:  global
        .offset:         40
        .size:           8
        .value_kind:     global_buffer
      - .actual_access:  read_only
        .address_space:  global
        .offset:         48
        .size:           8
        .value_kind:     global_buffer
      - .actual_access:  read_only
        .address_space:  global
        .offset:         56
        .size:           8
        .value_kind:     global_buffer
      - .actual_access:  read_only
        .address_space:  global
        .offset:         64
        .size:           8
        .value_kind:     global_buffer
      - .offset:         72
        .size:           8
        .value_kind:     by_value
      - .address_space:  global
        .offset:         80
        .size:           8
        .value_kind:     global_buffer
      - .offset:         88
        .size:           4
        .value_kind:     by_value
      - .offset:         92
        .size:           1
        .value_kind:     by_value
    .group_segment_fixed_size: 0
    .kernarg_segment_align: 8
    .kernarg_segment_size: 96
    .language:       OpenCL C
    .language_version:
      - 2
      - 0
    .max_flat_workgroup_size: 128
    .name:           _ZN9rocsparseL18bsrxmvn_4x4_kernelILj128ELj32E21rocsparse_complex_numIfEiifS2_S2_EEvT3_20rocsparse_direction_NS_24const_host_device_scalarIT1_EES3_PKS3_PKT2_SC_S9_PKT4_PKT5_S7_PT6_21rocsparse_index_base_b
    .private_segment_fixed_size: 0
    .sgpr_count:     18
    .sgpr_spill_count: 0
    .symbol:         _ZN9rocsparseL18bsrxmvn_4x4_kernelILj128ELj32E21rocsparse_complex_numIfEiifS2_S2_EEvT3_20rocsparse_direction_NS_24const_host_device_scalarIT1_EES3_PKS3_PKT2_SC_S9_PKT4_PKT5_S7_PT6_21rocsparse_index_base_b.kd
    .uniform_work_group_size: 1
    .uses_dynamic_stack: false
    .vgpr_count:     125
    .vgpr_spill_count: 0
    .wavefront_size: 32
    .workgroup_processor_mode: 1
  - .args:
      - .offset:         0
        .size:           4
        .value_kind:     by_value
      - .offset:         4
        .size:           4
        .value_kind:     by_value
      - .offset:         8
        .size:           8
        .value_kind:     by_value
      - .offset:         16
        .size:           4
        .value_kind:     by_value
      - .actual_access:  read_only
        .address_space:  global
        .offset:         24
        .size:           8
        .value_kind:     global_buffer
      - .actual_access:  read_only
        .address_space:  global
        .offset:         32
        .size:           8
        .value_kind:     global_buffer
      - .actual_access:  read_only
        .address_space:  global
        .offset:         40
        .size:           8
        .value_kind:     global_buffer
      - .actual_access:  read_only
        .address_space:  global
        .offset:         48
        .size:           8
        .value_kind:     global_buffer
      - .actual_access:  read_only
        .address_space:  global
        .offset:         56
        .size:           8
        .value_kind:     global_buffer
      - .actual_access:  read_only
        .address_space:  global
        .offset:         64
        .size:           8
        .value_kind:     global_buffer
      - .offset:         72
        .size:           8
        .value_kind:     by_value
      - .address_space:  global
        .offset:         80
        .size:           8
        .value_kind:     global_buffer
      - .offset:         88
        .size:           4
        .value_kind:     by_value
      - .offset:         92
        .size:           1
        .value_kind:     by_value
    .group_segment_fixed_size: 0
    .kernarg_segment_align: 8
    .kernarg_segment_size: 96
    .language:       OpenCL C
    .language_version:
      - 2
      - 0
    .max_flat_workgroup_size: 128
    .name:           _ZN9rocsparseL18bsrxmvn_4x4_kernelILj128ELj64E21rocsparse_complex_numIfEiifS2_S2_EEvT3_20rocsparse_direction_NS_24const_host_device_scalarIT1_EES3_PKS3_PKT2_SC_S9_PKT4_PKT5_S7_PT6_21rocsparse_index_base_b
    .private_segment_fixed_size: 0
    .sgpr_count:     18
    .sgpr_spill_count: 0
    .symbol:         _ZN9rocsparseL18bsrxmvn_4x4_kernelILj128ELj64E21rocsparse_complex_numIfEiifS2_S2_EEvT3_20rocsparse_direction_NS_24const_host_device_scalarIT1_EES3_PKS3_PKT2_SC_S9_PKT4_PKT5_S7_PT6_21rocsparse_index_base_b.kd
    .uniform_work_group_size: 1
    .uses_dynamic_stack: false
    .vgpr_count:     123
    .vgpr_spill_count: 0
    .wavefront_size: 32
    .workgroup_processor_mode: 1
  - .args:
      - .offset:         0
        .size:           4
        .value_kind:     by_value
      - .offset:         4
        .size:           4
        .value_kind:     by_value
      - .offset:         8
        .size:           8
        .value_kind:     by_value
      - .offset:         16
        .size:           4
        .value_kind:     by_value
      - .actual_access:  read_only
        .address_space:  global
        .offset:         24
        .size:           8
        .value_kind:     global_buffer
      - .actual_access:  read_only
        .address_space:  global
        .offset:         32
        .size:           8
        .value_kind:     global_buffer
      - .actual_access:  read_only
        .address_space:  global
        .offset:         40
        .size:           8
        .value_kind:     global_buffer
      - .actual_access:  read_only
        .address_space:  global
        .offset:         48
        .size:           8
        .value_kind:     global_buffer
      - .actual_access:  read_only
        .address_space:  global
        .offset:         56
        .size:           8
        .value_kind:     global_buffer
      - .actual_access:  read_only
        .address_space:  global
        .offset:         64
        .size:           8
        .value_kind:     global_buffer
      - .offset:         72
        .size:           8
        .value_kind:     by_value
      - .address_space:  global
        .offset:         80
        .size:           8
        .value_kind:     global_buffer
      - .offset:         88
        .size:           4
        .value_kind:     by_value
      - .offset:         92
        .size:           1
        .value_kind:     by_value
    .group_segment_fixed_size: 0
    .kernarg_segment_align: 8
    .kernarg_segment_size: 96
    .language:       OpenCL C
    .language_version:
      - 2
      - 0
    .max_flat_workgroup_size: 128
    .name:           _ZN9rocsparseL18bsrxmvn_4x4_kernelILj128ELj4E21rocsparse_complex_numIfElifS2_S2_EEvT3_20rocsparse_direction_NS_24const_host_device_scalarIT1_EES3_PKS3_PKT2_SC_S9_PKT4_PKT5_S7_PT6_21rocsparse_index_base_b
    .private_segment_fixed_size: 0
    .sgpr_count:     18
    .sgpr_spill_count: 0
    .symbol:         _ZN9rocsparseL18bsrxmvn_4x4_kernelILj128ELj4E21rocsparse_complex_numIfElifS2_S2_EEvT3_20rocsparse_direction_NS_24const_host_device_scalarIT1_EES3_PKS3_PKT2_SC_S9_PKT4_PKT5_S7_PT6_21rocsparse_index_base_b.kd
    .uniform_work_group_size: 1
    .uses_dynamic_stack: false
    .vgpr_count:     124
    .vgpr_spill_count: 0
    .wavefront_size: 32
    .workgroup_processor_mode: 1
  - .args:
      - .offset:         0
        .size:           4
        .value_kind:     by_value
      - .offset:         4
        .size:           4
        .value_kind:     by_value
      - .offset:         8
        .size:           8
        .value_kind:     by_value
      - .offset:         16
        .size:           4
        .value_kind:     by_value
      - .actual_access:  read_only
        .address_space:  global
        .offset:         24
        .size:           8
        .value_kind:     global_buffer
      - .actual_access:  read_only
        .address_space:  global
        .offset:         32
        .size:           8
        .value_kind:     global_buffer
      - .actual_access:  read_only
        .address_space:  global
        .offset:         40
        .size:           8
        .value_kind:     global_buffer
      - .actual_access:  read_only
        .address_space:  global
        .offset:         48
        .size:           8
        .value_kind:     global_buffer
      - .actual_access:  read_only
        .address_space:  global
        .offset:         56
        .size:           8
        .value_kind:     global_buffer
      - .actual_access:  read_only
        .address_space:  global
        .offset:         64
        .size:           8
        .value_kind:     global_buffer
      - .offset:         72
        .size:           8
        .value_kind:     by_value
      - .address_space:  global
        .offset:         80
        .size:           8
        .value_kind:     global_buffer
      - .offset:         88
        .size:           4
        .value_kind:     by_value
      - .offset:         92
        .size:           1
        .value_kind:     by_value
    .group_segment_fixed_size: 0
    .kernarg_segment_align: 8
    .kernarg_segment_size: 96
    .language:       OpenCL C
    .language_version:
      - 2
      - 0
    .max_flat_workgroup_size: 128
    .name:           _ZN9rocsparseL18bsrxmvn_4x4_kernelILj128ELj8E21rocsparse_complex_numIfElifS2_S2_EEvT3_20rocsparse_direction_NS_24const_host_device_scalarIT1_EES3_PKS3_PKT2_SC_S9_PKT4_PKT5_S7_PT6_21rocsparse_index_base_b
    .private_segment_fixed_size: 0
    .sgpr_count:     18
    .sgpr_spill_count: 0
    .symbol:         _ZN9rocsparseL18bsrxmvn_4x4_kernelILj128ELj8E21rocsparse_complex_numIfElifS2_S2_EEvT3_20rocsparse_direction_NS_24const_host_device_scalarIT1_EES3_PKS3_PKT2_SC_S9_PKT4_PKT5_S7_PT6_21rocsparse_index_base_b.kd
    .uniform_work_group_size: 1
    .uses_dynamic_stack: false
    .vgpr_count:     124
    .vgpr_spill_count: 0
    .wavefront_size: 32
    .workgroup_processor_mode: 1
  - .args:
      - .offset:         0
        .size:           4
        .value_kind:     by_value
      - .offset:         4
        .size:           4
        .value_kind:     by_value
      - .offset:         8
        .size:           8
        .value_kind:     by_value
      - .offset:         16
        .size:           4
        .value_kind:     by_value
      - .actual_access:  read_only
        .address_space:  global
        .offset:         24
        .size:           8
        .value_kind:     global_buffer
      - .actual_access:  read_only
        .address_space:  global
        .offset:         32
        .size:           8
        .value_kind:     global_buffer
      - .actual_access:  read_only
        .address_space:  global
        .offset:         40
        .size:           8
        .value_kind:     global_buffer
      - .actual_access:  read_only
        .address_space:  global
        .offset:         48
        .size:           8
        .value_kind:     global_buffer
      - .actual_access:  read_only
        .address_space:  global
        .offset:         56
        .size:           8
        .value_kind:     global_buffer
      - .actual_access:  read_only
        .address_space:  global
        .offset:         64
        .size:           8
        .value_kind:     global_buffer
      - .offset:         72
        .size:           8
        .value_kind:     by_value
      - .address_space:  global
        .offset:         80
        .size:           8
        .value_kind:     global_buffer
      - .offset:         88
        .size:           4
        .value_kind:     by_value
      - .offset:         92
        .size:           1
        .value_kind:     by_value
    .group_segment_fixed_size: 0
    .kernarg_segment_align: 8
    .kernarg_segment_size: 96
    .language:       OpenCL C
    .language_version:
      - 2
      - 0
    .max_flat_workgroup_size: 128
    .name:           _ZN9rocsparseL18bsrxmvn_4x4_kernelILj128ELj16E21rocsparse_complex_numIfElifS2_S2_EEvT3_20rocsparse_direction_NS_24const_host_device_scalarIT1_EES3_PKS3_PKT2_SC_S9_PKT4_PKT5_S7_PT6_21rocsparse_index_base_b
    .private_segment_fixed_size: 0
    .sgpr_count:     18
    .sgpr_spill_count: 0
    .symbol:         _ZN9rocsparseL18bsrxmvn_4x4_kernelILj128ELj16E21rocsparse_complex_numIfElifS2_S2_EEvT3_20rocsparse_direction_NS_24const_host_device_scalarIT1_EES3_PKS3_PKT2_SC_S9_PKT4_PKT5_S7_PT6_21rocsparse_index_base_b.kd
    .uniform_work_group_size: 1
    .uses_dynamic_stack: false
    .vgpr_count:     124
    .vgpr_spill_count: 0
    .wavefront_size: 32
    .workgroup_processor_mode: 1
  - .args:
      - .offset:         0
        .size:           4
        .value_kind:     by_value
      - .offset:         4
        .size:           4
        .value_kind:     by_value
      - .offset:         8
        .size:           8
        .value_kind:     by_value
      - .offset:         16
        .size:           4
        .value_kind:     by_value
      - .actual_access:  read_only
        .address_space:  global
        .offset:         24
        .size:           8
        .value_kind:     global_buffer
      - .actual_access:  read_only
        .address_space:  global
        .offset:         32
        .size:           8
        .value_kind:     global_buffer
      - .actual_access:  read_only
        .address_space:  global
        .offset:         40
        .size:           8
        .value_kind:     global_buffer
      - .actual_access:  read_only
        .address_space:  global
        .offset:         48
        .size:           8
        .value_kind:     global_buffer
      - .actual_access:  read_only
        .address_space:  global
        .offset:         56
        .size:           8
        .value_kind:     global_buffer
      - .actual_access:  read_only
        .address_space:  global
        .offset:         64
        .size:           8
        .value_kind:     global_buffer
      - .offset:         72
        .size:           8
        .value_kind:     by_value
      - .address_space:  global
        .offset:         80
        .size:           8
        .value_kind:     global_buffer
      - .offset:         88
        .size:           4
        .value_kind:     by_value
      - .offset:         92
        .size:           1
        .value_kind:     by_value
    .group_segment_fixed_size: 0
    .kernarg_segment_align: 8
    .kernarg_segment_size: 96
    .language:       OpenCL C
    .language_version:
      - 2
      - 0
    .max_flat_workgroup_size: 128
    .name:           _ZN9rocsparseL18bsrxmvn_4x4_kernelILj128ELj32E21rocsparse_complex_numIfElifS2_S2_EEvT3_20rocsparse_direction_NS_24const_host_device_scalarIT1_EES3_PKS3_PKT2_SC_S9_PKT4_PKT5_S7_PT6_21rocsparse_index_base_b
    .private_segment_fixed_size: 0
    .sgpr_count:     18
    .sgpr_spill_count: 0
    .symbol:         _ZN9rocsparseL18bsrxmvn_4x4_kernelILj128ELj32E21rocsparse_complex_numIfElifS2_S2_EEvT3_20rocsparse_direction_NS_24const_host_device_scalarIT1_EES3_PKS3_PKT2_SC_S9_PKT4_PKT5_S7_PT6_21rocsparse_index_base_b.kd
    .uniform_work_group_size: 1
    .uses_dynamic_stack: false
    .vgpr_count:     124
    .vgpr_spill_count: 0
    .wavefront_size: 32
    .workgroup_processor_mode: 1
  - .args:
      - .offset:         0
        .size:           4
        .value_kind:     by_value
      - .offset:         4
        .size:           4
        .value_kind:     by_value
      - .offset:         8
        .size:           8
        .value_kind:     by_value
      - .offset:         16
        .size:           4
        .value_kind:     by_value
      - .actual_access:  read_only
        .address_space:  global
        .offset:         24
        .size:           8
        .value_kind:     global_buffer
      - .actual_access:  read_only
        .address_space:  global
        .offset:         32
        .size:           8
        .value_kind:     global_buffer
      - .actual_access:  read_only
        .address_space:  global
        .offset:         40
        .size:           8
        .value_kind:     global_buffer
      - .actual_access:  read_only
        .address_space:  global
        .offset:         48
        .size:           8
        .value_kind:     global_buffer
      - .actual_access:  read_only
        .address_space:  global
        .offset:         56
        .size:           8
        .value_kind:     global_buffer
      - .actual_access:  read_only
        .address_space:  global
        .offset:         64
        .size:           8
        .value_kind:     global_buffer
      - .offset:         72
        .size:           8
        .value_kind:     by_value
      - .address_space:  global
        .offset:         80
        .size:           8
        .value_kind:     global_buffer
      - .offset:         88
        .size:           4
        .value_kind:     by_value
      - .offset:         92
        .size:           1
        .value_kind:     by_value
    .group_segment_fixed_size: 0
    .kernarg_segment_align: 8
    .kernarg_segment_size: 96
    .language:       OpenCL C
    .language_version:
      - 2
      - 0
    .max_flat_workgroup_size: 128
    .name:           _ZN9rocsparseL18bsrxmvn_4x4_kernelILj128ELj64E21rocsparse_complex_numIfElifS2_S2_EEvT3_20rocsparse_direction_NS_24const_host_device_scalarIT1_EES3_PKS3_PKT2_SC_S9_PKT4_PKT5_S7_PT6_21rocsparse_index_base_b
    .private_segment_fixed_size: 0
    .sgpr_count:     18
    .sgpr_spill_count: 0
    .symbol:         _ZN9rocsparseL18bsrxmvn_4x4_kernelILj128ELj64E21rocsparse_complex_numIfElifS2_S2_EEvT3_20rocsparse_direction_NS_24const_host_device_scalarIT1_EES3_PKS3_PKT2_SC_S9_PKT4_PKT5_S7_PT6_21rocsparse_index_base_b.kd
    .uniform_work_group_size: 1
    .uses_dynamic_stack: false
    .vgpr_count:     124
    .vgpr_spill_count: 0
    .wavefront_size: 32
    .workgroup_processor_mode: 1
  - .args:
      - .offset:         0
        .size:           8
        .value_kind:     by_value
      - .offset:         8
        .size:           4
        .value_kind:     by_value
      - .offset:         16
        .size:           8
        .value_kind:     by_value
      - .offset:         24
        .size:           8
        .value_kind:     by_value
      - .actual_access:  read_only
        .address_space:  global
        .offset:         32
        .size:           8
        .value_kind:     global_buffer
      - .actual_access:  read_only
        .address_space:  global
        .offset:         40
        .size:           8
        .value_kind:     global_buffer
      - .actual_access:  read_only
        .address_space:  global
        .offset:         48
        .size:           8
        .value_kind:     global_buffer
      - .actual_access:  read_only
        .address_space:  global
        .offset:         56
        .size:           8
        .value_kind:     global_buffer
      - .actual_access:  read_only
        .address_space:  global
        .offset:         64
        .size:           8
        .value_kind:     global_buffer
      - .actual_access:  read_only
        .address_space:  global
        .offset:         72
        .size:           8
        .value_kind:     global_buffer
      - .offset:         80
        .size:           8
        .value_kind:     by_value
      - .address_space:  global
        .offset:         88
        .size:           8
        .value_kind:     global_buffer
      - .offset:         96
        .size:           4
        .value_kind:     by_value
      - .offset:         100
        .size:           1
        .value_kind:     by_value
    .group_segment_fixed_size: 0
    .kernarg_segment_align: 8
    .kernarg_segment_size: 104
    .language:       OpenCL C
    .language_version:
      - 2
      - 0
    .max_flat_workgroup_size: 128
    .name:           _ZN9rocsparseL18bsrxmvn_4x4_kernelILj128ELj4E21rocsparse_complex_numIfEllfS2_S2_EEvT3_20rocsparse_direction_NS_24const_host_device_scalarIT1_EES3_PKS3_PKT2_SC_S9_PKT4_PKT5_S7_PT6_21rocsparse_index_base_b
    .private_segment_fixed_size: 0
    .sgpr_count:     18
    .sgpr_spill_count: 0
    .symbol:         _ZN9rocsparseL18bsrxmvn_4x4_kernelILj128ELj4E21rocsparse_complex_numIfEllfS2_S2_EEvT3_20rocsparse_direction_NS_24const_host_device_scalarIT1_EES3_PKS3_PKT2_SC_S9_PKT4_PKT5_S7_PT6_21rocsparse_index_base_b.kd
    .uniform_work_group_size: 1
    .uses_dynamic_stack: false
    .vgpr_count:     125
    .vgpr_spill_count: 0
    .wavefront_size: 32
    .workgroup_processor_mode: 1
  - .args:
      - .offset:         0
        .size:           8
        .value_kind:     by_value
      - .offset:         8
        .size:           4
        .value_kind:     by_value
      - .offset:         16
        .size:           8
        .value_kind:     by_value
      - .offset:         24
        .size:           8
        .value_kind:     by_value
      - .actual_access:  read_only
        .address_space:  global
        .offset:         32
        .size:           8
        .value_kind:     global_buffer
      - .actual_access:  read_only
        .address_space:  global
        .offset:         40
        .size:           8
        .value_kind:     global_buffer
      - .actual_access:  read_only
        .address_space:  global
        .offset:         48
        .size:           8
        .value_kind:     global_buffer
      - .actual_access:  read_only
        .address_space:  global
        .offset:         56
        .size:           8
        .value_kind:     global_buffer
      - .actual_access:  read_only
        .address_space:  global
        .offset:         64
        .size:           8
        .value_kind:     global_buffer
      - .actual_access:  read_only
        .address_space:  global
        .offset:         72
        .size:           8
        .value_kind:     global_buffer
      - .offset:         80
        .size:           8
        .value_kind:     by_value
      - .address_space:  global
        .offset:         88
        .size:           8
        .value_kind:     global_buffer
      - .offset:         96
        .size:           4
        .value_kind:     by_value
      - .offset:         100
        .size:           1
        .value_kind:     by_value
    .group_segment_fixed_size: 0
    .kernarg_segment_align: 8
    .kernarg_segment_size: 104
    .language:       OpenCL C
    .language_version:
      - 2
      - 0
    .max_flat_workgroup_size: 128
    .name:           _ZN9rocsparseL18bsrxmvn_4x4_kernelILj128ELj8E21rocsparse_complex_numIfEllfS2_S2_EEvT3_20rocsparse_direction_NS_24const_host_device_scalarIT1_EES3_PKS3_PKT2_SC_S9_PKT4_PKT5_S7_PT6_21rocsparse_index_base_b
    .private_segment_fixed_size: 0
    .sgpr_count:     18
    .sgpr_spill_count: 0
    .symbol:         _ZN9rocsparseL18bsrxmvn_4x4_kernelILj128ELj8E21rocsparse_complex_numIfEllfS2_S2_EEvT3_20rocsparse_direction_NS_24const_host_device_scalarIT1_EES3_PKS3_PKT2_SC_S9_PKT4_PKT5_S7_PT6_21rocsparse_index_base_b.kd
    .uniform_work_group_size: 1
    .uses_dynamic_stack: false
    .vgpr_count:     125
    .vgpr_spill_count: 0
    .wavefront_size: 32
    .workgroup_processor_mode: 1
  - .args:
      - .offset:         0
        .size:           8
        .value_kind:     by_value
      - .offset:         8
        .size:           4
        .value_kind:     by_value
      - .offset:         16
        .size:           8
        .value_kind:     by_value
      - .offset:         24
        .size:           8
        .value_kind:     by_value
      - .actual_access:  read_only
        .address_space:  global
        .offset:         32
        .size:           8
        .value_kind:     global_buffer
      - .actual_access:  read_only
        .address_space:  global
        .offset:         40
        .size:           8
        .value_kind:     global_buffer
      - .actual_access:  read_only
        .address_space:  global
        .offset:         48
        .size:           8
        .value_kind:     global_buffer
      - .actual_access:  read_only
        .address_space:  global
        .offset:         56
        .size:           8
        .value_kind:     global_buffer
      - .actual_access:  read_only
        .address_space:  global
        .offset:         64
        .size:           8
        .value_kind:     global_buffer
      - .actual_access:  read_only
        .address_space:  global
        .offset:         72
        .size:           8
        .value_kind:     global_buffer
      - .offset:         80
        .size:           8
        .value_kind:     by_value
      - .address_space:  global
        .offset:         88
        .size:           8
        .value_kind:     global_buffer
      - .offset:         96
        .size:           4
        .value_kind:     by_value
      - .offset:         100
        .size:           1
        .value_kind:     by_value
    .group_segment_fixed_size: 0
    .kernarg_segment_align: 8
    .kernarg_segment_size: 104
    .language:       OpenCL C
    .language_version:
      - 2
      - 0
    .max_flat_workgroup_size: 128
    .name:           _ZN9rocsparseL18bsrxmvn_4x4_kernelILj128ELj16E21rocsparse_complex_numIfEllfS2_S2_EEvT3_20rocsparse_direction_NS_24const_host_device_scalarIT1_EES3_PKS3_PKT2_SC_S9_PKT4_PKT5_S7_PT6_21rocsparse_index_base_b
    .private_segment_fixed_size: 0
    .sgpr_count:     18
    .sgpr_spill_count: 0
    .symbol:         _ZN9rocsparseL18bsrxmvn_4x4_kernelILj128ELj16E21rocsparse_complex_numIfEllfS2_S2_EEvT3_20rocsparse_direction_NS_24const_host_device_scalarIT1_EES3_PKS3_PKT2_SC_S9_PKT4_PKT5_S7_PT6_21rocsparse_index_base_b.kd
    .uniform_work_group_size: 1
    .uses_dynamic_stack: false
    .vgpr_count:     125
    .vgpr_spill_count: 0
    .wavefront_size: 32
    .workgroup_processor_mode: 1
  - .args:
      - .offset:         0
        .size:           8
        .value_kind:     by_value
      - .offset:         8
        .size:           4
        .value_kind:     by_value
      - .offset:         16
        .size:           8
        .value_kind:     by_value
      - .offset:         24
        .size:           8
        .value_kind:     by_value
      - .actual_access:  read_only
        .address_space:  global
        .offset:         32
        .size:           8
        .value_kind:     global_buffer
      - .actual_access:  read_only
        .address_space:  global
        .offset:         40
        .size:           8
        .value_kind:     global_buffer
      - .actual_access:  read_only
        .address_space:  global
        .offset:         48
        .size:           8
        .value_kind:     global_buffer
      - .actual_access:  read_only
        .address_space:  global
        .offset:         56
        .size:           8
        .value_kind:     global_buffer
      - .actual_access:  read_only
        .address_space:  global
        .offset:         64
        .size:           8
        .value_kind:     global_buffer
      - .actual_access:  read_only
        .address_space:  global
        .offset:         72
        .size:           8
        .value_kind:     global_buffer
      - .offset:         80
        .size:           8
        .value_kind:     by_value
      - .address_space:  global
        .offset:         88
        .size:           8
        .value_kind:     global_buffer
      - .offset:         96
        .size:           4
        .value_kind:     by_value
      - .offset:         100
        .size:           1
        .value_kind:     by_value
    .group_segment_fixed_size: 0
    .kernarg_segment_align: 8
    .kernarg_segment_size: 104
    .language:       OpenCL C
    .language_version:
      - 2
      - 0
    .max_flat_workgroup_size: 128
    .name:           _ZN9rocsparseL18bsrxmvn_4x4_kernelILj128ELj32E21rocsparse_complex_numIfEllfS2_S2_EEvT3_20rocsparse_direction_NS_24const_host_device_scalarIT1_EES3_PKS3_PKT2_SC_S9_PKT4_PKT5_S7_PT6_21rocsparse_index_base_b
    .private_segment_fixed_size: 0
    .sgpr_count:     18
    .sgpr_spill_count: 0
    .symbol:         _ZN9rocsparseL18bsrxmvn_4x4_kernelILj128ELj32E21rocsparse_complex_numIfEllfS2_S2_EEvT3_20rocsparse_direction_NS_24const_host_device_scalarIT1_EES3_PKS3_PKT2_SC_S9_PKT4_PKT5_S7_PT6_21rocsparse_index_base_b.kd
    .uniform_work_group_size: 1
    .uses_dynamic_stack: false
    .vgpr_count:     125
    .vgpr_spill_count: 0
    .wavefront_size: 32
    .workgroup_processor_mode: 1
  - .args:
      - .offset:         0
        .size:           8
        .value_kind:     by_value
      - .offset:         8
        .size:           4
        .value_kind:     by_value
      - .offset:         16
        .size:           8
        .value_kind:     by_value
      - .offset:         24
        .size:           8
        .value_kind:     by_value
      - .actual_access:  read_only
        .address_space:  global
        .offset:         32
        .size:           8
        .value_kind:     global_buffer
      - .actual_access:  read_only
        .address_space:  global
        .offset:         40
        .size:           8
        .value_kind:     global_buffer
      - .actual_access:  read_only
        .address_space:  global
        .offset:         48
        .size:           8
        .value_kind:     global_buffer
      - .actual_access:  read_only
        .address_space:  global
        .offset:         56
        .size:           8
        .value_kind:     global_buffer
      - .actual_access:  read_only
        .address_space:  global
        .offset:         64
        .size:           8
        .value_kind:     global_buffer
      - .actual_access:  read_only
        .address_space:  global
        .offset:         72
        .size:           8
        .value_kind:     global_buffer
      - .offset:         80
        .size:           8
        .value_kind:     by_value
      - .address_space:  global
        .offset:         88
        .size:           8
        .value_kind:     global_buffer
      - .offset:         96
        .size:           4
        .value_kind:     by_value
      - .offset:         100
        .size:           1
        .value_kind:     by_value
    .group_segment_fixed_size: 0
    .kernarg_segment_align: 8
    .kernarg_segment_size: 104
    .language:       OpenCL C
    .language_version:
      - 2
      - 0
    .max_flat_workgroup_size: 128
    .name:           _ZN9rocsparseL18bsrxmvn_4x4_kernelILj128ELj64E21rocsparse_complex_numIfEllfS2_S2_EEvT3_20rocsparse_direction_NS_24const_host_device_scalarIT1_EES3_PKS3_PKT2_SC_S9_PKT4_PKT5_S7_PT6_21rocsparse_index_base_b
    .private_segment_fixed_size: 0
    .sgpr_count:     18
    .sgpr_spill_count: 0
    .symbol:         _ZN9rocsparseL18bsrxmvn_4x4_kernelILj128ELj64E21rocsparse_complex_numIfEllfS2_S2_EEvT3_20rocsparse_direction_NS_24const_host_device_scalarIT1_EES3_PKS3_PKT2_SC_S9_PKT4_PKT5_S7_PT6_21rocsparse_index_base_b.kd
    .uniform_work_group_size: 1
    .uses_dynamic_stack: false
    .vgpr_count:     125
    .vgpr_spill_count: 0
    .wavefront_size: 32
    .workgroup_processor_mode: 1
  - .args:
      - .offset:         0
        .size:           4
        .value_kind:     by_value
      - .offset:         4
        .size:           4
        .value_kind:     by_value
      - .offset:         8
        .size:           16
        .value_kind:     by_value
      - .offset:         24
        .size:           4
        .value_kind:     by_value
      - .actual_access:  read_only
        .address_space:  global
        .offset:         32
        .size:           8
        .value_kind:     global_buffer
      - .actual_access:  read_only
        .address_space:  global
        .offset:         40
        .size:           8
        .value_kind:     global_buffer
      - .actual_access:  read_only
        .address_space:  global
        .offset:         48
        .size:           8
        .value_kind:     global_buffer
      - .actual_access:  read_only
        .address_space:  global
        .offset:         56
        .size:           8
        .value_kind:     global_buffer
      - .actual_access:  read_only
        .address_space:  global
        .offset:         64
        .size:           8
        .value_kind:     global_buffer
      - .actual_access:  read_only
        .address_space:  global
        .offset:         72
        .size:           8
        .value_kind:     global_buffer
      - .offset:         80
        .size:           16
        .value_kind:     by_value
      - .address_space:  global
        .offset:         96
        .size:           8
        .value_kind:     global_buffer
      - .offset:         104
        .size:           4
        .value_kind:     by_value
      - .offset:         108
        .size:           1
        .value_kind:     by_value
    .group_segment_fixed_size: 2048
    .kernarg_segment_align: 8
    .kernarg_segment_size: 112
    .language:       OpenCL C
    .language_version:
      - 2
      - 0
    .max_flat_workgroup_size: 128
    .name:           _ZN9rocsparseL18bsrxmvn_4x4_kernelILj128ELj4E21rocsparse_complex_numIdEiidS2_S2_EEvT3_20rocsparse_direction_NS_24const_host_device_scalarIT1_EES3_PKS3_PKT2_SC_S9_PKT4_PKT5_S7_PT6_21rocsparse_index_base_b
    .private_segment_fixed_size: 0
    .sgpr_count:     20
    .sgpr_spill_count: 0
    .symbol:         _ZN9rocsparseL18bsrxmvn_4x4_kernelILj128ELj4E21rocsparse_complex_numIdEiidS2_S2_EEvT3_20rocsparse_direction_NS_24const_host_device_scalarIT1_EES3_PKS3_PKT2_SC_S9_PKT4_PKT5_S7_PT6_21rocsparse_index_base_b.kd
    .uniform_work_group_size: 1
    .uses_dynamic_stack: false
    .vgpr_count:     112
    .vgpr_spill_count: 0
    .wavefront_size: 32
    .workgroup_processor_mode: 1
  - .args:
      - .offset:         0
        .size:           4
        .value_kind:     by_value
      - .offset:         4
        .size:           4
        .value_kind:     by_value
      - .offset:         8
        .size:           16
        .value_kind:     by_value
      - .offset:         24
        .size:           4
        .value_kind:     by_value
      - .actual_access:  read_only
        .address_space:  global
        .offset:         32
        .size:           8
        .value_kind:     global_buffer
      - .actual_access:  read_only
        .address_space:  global
        .offset:         40
        .size:           8
        .value_kind:     global_buffer
      - .actual_access:  read_only
        .address_space:  global
        .offset:         48
        .size:           8
        .value_kind:     global_buffer
      - .actual_access:  read_only
        .address_space:  global
        .offset:         56
        .size:           8
        .value_kind:     global_buffer
      - .actual_access:  read_only
        .address_space:  global
        .offset:         64
        .size:           8
        .value_kind:     global_buffer
      - .actual_access:  read_only
        .address_space:  global
        .offset:         72
        .size:           8
        .value_kind:     global_buffer
      - .offset:         80
        .size:           16
        .value_kind:     by_value
      - .address_space:  global
        .offset:         96
        .size:           8
        .value_kind:     global_buffer
      - .offset:         104
        .size:           4
        .value_kind:     by_value
      - .offset:         108
        .size:           1
        .value_kind:     by_value
    .group_segment_fixed_size: 2048
    .kernarg_segment_align: 8
    .kernarg_segment_size: 112
    .language:       OpenCL C
    .language_version:
      - 2
      - 0
    .max_flat_workgroup_size: 128
    .name:           _ZN9rocsparseL18bsrxmvn_4x4_kernelILj128ELj8E21rocsparse_complex_numIdEiidS2_S2_EEvT3_20rocsparse_direction_NS_24const_host_device_scalarIT1_EES3_PKS3_PKT2_SC_S9_PKT4_PKT5_S7_PT6_21rocsparse_index_base_b
    .private_segment_fixed_size: 0
    .sgpr_count:     20
    .sgpr_spill_count: 0
    .symbol:         _ZN9rocsparseL18bsrxmvn_4x4_kernelILj128ELj8E21rocsparse_complex_numIdEiidS2_S2_EEvT3_20rocsparse_direction_NS_24const_host_device_scalarIT1_EES3_PKS3_PKT2_SC_S9_PKT4_PKT5_S7_PT6_21rocsparse_index_base_b.kd
    .uniform_work_group_size: 1
    .uses_dynamic_stack: false
    .vgpr_count:     112
    .vgpr_spill_count: 0
    .wavefront_size: 32
    .workgroup_processor_mode: 1
  - .args:
      - .offset:         0
        .size:           4
        .value_kind:     by_value
      - .offset:         4
        .size:           4
        .value_kind:     by_value
      - .offset:         8
        .size:           16
        .value_kind:     by_value
      - .offset:         24
        .size:           4
        .value_kind:     by_value
      - .actual_access:  read_only
        .address_space:  global
        .offset:         32
        .size:           8
        .value_kind:     global_buffer
      - .actual_access:  read_only
        .address_space:  global
        .offset:         40
        .size:           8
        .value_kind:     global_buffer
      - .actual_access:  read_only
        .address_space:  global
        .offset:         48
        .size:           8
        .value_kind:     global_buffer
      - .actual_access:  read_only
        .address_space:  global
        .offset:         56
        .size:           8
        .value_kind:     global_buffer
      - .actual_access:  read_only
        .address_space:  global
        .offset:         64
        .size:           8
        .value_kind:     global_buffer
      - .actual_access:  read_only
        .address_space:  global
        .offset:         72
        .size:           8
        .value_kind:     global_buffer
      - .offset:         80
        .size:           16
        .value_kind:     by_value
      - .address_space:  global
        .offset:         96
        .size:           8
        .value_kind:     global_buffer
      - .offset:         104
        .size:           4
        .value_kind:     by_value
      - .offset:         108
        .size:           1
        .value_kind:     by_value
    .group_segment_fixed_size: 2048
    .kernarg_segment_align: 8
    .kernarg_segment_size: 112
    .language:       OpenCL C
    .language_version:
      - 2
      - 0
    .max_flat_workgroup_size: 128
    .name:           _ZN9rocsparseL18bsrxmvn_4x4_kernelILj128ELj16E21rocsparse_complex_numIdEiidS2_S2_EEvT3_20rocsparse_direction_NS_24const_host_device_scalarIT1_EES3_PKS3_PKT2_SC_S9_PKT4_PKT5_S7_PT6_21rocsparse_index_base_b
    .private_segment_fixed_size: 0
    .sgpr_count:     20
    .sgpr_spill_count: 0
    .symbol:         _ZN9rocsparseL18bsrxmvn_4x4_kernelILj128ELj16E21rocsparse_complex_numIdEiidS2_S2_EEvT3_20rocsparse_direction_NS_24const_host_device_scalarIT1_EES3_PKS3_PKT2_SC_S9_PKT4_PKT5_S7_PT6_21rocsparse_index_base_b.kd
    .uniform_work_group_size: 1
    .uses_dynamic_stack: false
    .vgpr_count:     114
    .vgpr_spill_count: 0
    .wavefront_size: 32
    .workgroup_processor_mode: 1
  - .args:
      - .offset:         0
        .size:           4
        .value_kind:     by_value
      - .offset:         4
        .size:           4
        .value_kind:     by_value
      - .offset:         8
        .size:           16
        .value_kind:     by_value
      - .offset:         24
        .size:           4
        .value_kind:     by_value
      - .actual_access:  read_only
        .address_space:  global
        .offset:         32
        .size:           8
        .value_kind:     global_buffer
      - .actual_access:  read_only
        .address_space:  global
        .offset:         40
        .size:           8
        .value_kind:     global_buffer
      - .actual_access:  read_only
        .address_space:  global
        .offset:         48
        .size:           8
        .value_kind:     global_buffer
      - .actual_access:  read_only
        .address_space:  global
        .offset:         56
        .size:           8
        .value_kind:     global_buffer
      - .actual_access:  read_only
        .address_space:  global
        .offset:         64
        .size:           8
        .value_kind:     global_buffer
      - .actual_access:  read_only
        .address_space:  global
        .offset:         72
        .size:           8
        .value_kind:     global_buffer
      - .offset:         80
        .size:           16
        .value_kind:     by_value
      - .address_space:  global
        .offset:         96
        .size:           8
        .value_kind:     global_buffer
      - .offset:         104
        .size:           4
        .value_kind:     by_value
      - .offset:         108
        .size:           1
        .value_kind:     by_value
    .group_segment_fixed_size: 2048
    .kernarg_segment_align: 8
    .kernarg_segment_size: 112
    .language:       OpenCL C
    .language_version:
      - 2
      - 0
    .max_flat_workgroup_size: 128
    .name:           _ZN9rocsparseL18bsrxmvn_4x4_kernelILj128ELj32E21rocsparse_complex_numIdEiidS2_S2_EEvT3_20rocsparse_direction_NS_24const_host_device_scalarIT1_EES3_PKS3_PKT2_SC_S9_PKT4_PKT5_S7_PT6_21rocsparse_index_base_b
    .private_segment_fixed_size: 0
    .sgpr_count:     20
    .sgpr_spill_count: 0
    .symbol:         _ZN9rocsparseL18bsrxmvn_4x4_kernelILj128ELj32E21rocsparse_complex_numIdEiidS2_S2_EEvT3_20rocsparse_direction_NS_24const_host_device_scalarIT1_EES3_PKS3_PKT2_SC_S9_PKT4_PKT5_S7_PT6_21rocsparse_index_base_b.kd
    .uniform_work_group_size: 1
    .uses_dynamic_stack: false
    .vgpr_count:     115
    .vgpr_spill_count: 0
    .wavefront_size: 32
    .workgroup_processor_mode: 1
  - .args:
      - .offset:         0
        .size:           4
        .value_kind:     by_value
      - .offset:         4
        .size:           4
        .value_kind:     by_value
      - .offset:         8
        .size:           16
        .value_kind:     by_value
      - .offset:         24
        .size:           4
        .value_kind:     by_value
      - .actual_access:  read_only
        .address_space:  global
        .offset:         32
        .size:           8
        .value_kind:     global_buffer
      - .actual_access:  read_only
        .address_space:  global
        .offset:         40
        .size:           8
        .value_kind:     global_buffer
      - .actual_access:  read_only
        .address_space:  global
        .offset:         48
        .size:           8
        .value_kind:     global_buffer
      - .actual_access:  read_only
        .address_space:  global
        .offset:         56
        .size:           8
        .value_kind:     global_buffer
      - .actual_access:  read_only
        .address_space:  global
        .offset:         64
        .size:           8
        .value_kind:     global_buffer
      - .actual_access:  read_only
        .address_space:  global
        .offset:         72
        .size:           8
        .value_kind:     global_buffer
      - .offset:         80
        .size:           16
        .value_kind:     by_value
      - .address_space:  global
        .offset:         96
        .size:           8
        .value_kind:     global_buffer
      - .offset:         104
        .size:           4
        .value_kind:     by_value
      - .offset:         108
        .size:           1
        .value_kind:     by_value
    .group_segment_fixed_size: 2048
    .kernarg_segment_align: 8
    .kernarg_segment_size: 112
    .language:       OpenCL C
    .language_version:
      - 2
      - 0
    .max_flat_workgroup_size: 128
    .name:           _ZN9rocsparseL18bsrxmvn_4x4_kernelILj128ELj64E21rocsparse_complex_numIdEiidS2_S2_EEvT3_20rocsparse_direction_NS_24const_host_device_scalarIT1_EES3_PKS3_PKT2_SC_S9_PKT4_PKT5_S7_PT6_21rocsparse_index_base_b
    .private_segment_fixed_size: 0
    .sgpr_count:     20
    .sgpr_spill_count: 0
    .symbol:         _ZN9rocsparseL18bsrxmvn_4x4_kernelILj128ELj64E21rocsparse_complex_numIdEiidS2_S2_EEvT3_20rocsparse_direction_NS_24const_host_device_scalarIT1_EES3_PKS3_PKT2_SC_S9_PKT4_PKT5_S7_PT6_21rocsparse_index_base_b.kd
    .uniform_work_group_size: 1
    .uses_dynamic_stack: false
    .vgpr_count:     114
    .vgpr_spill_count: 0
    .wavefront_size: 32
    .workgroup_processor_mode: 1
  - .args:
      - .offset:         0
        .size:           4
        .value_kind:     by_value
      - .offset:         4
        .size:           4
        .value_kind:     by_value
      - .offset:         8
        .size:           16
        .value_kind:     by_value
      - .offset:         24
        .size:           4
        .value_kind:     by_value
      - .actual_access:  read_only
        .address_space:  global
        .offset:         32
        .size:           8
        .value_kind:     global_buffer
      - .actual_access:  read_only
        .address_space:  global
        .offset:         40
        .size:           8
        .value_kind:     global_buffer
      - .actual_access:  read_only
        .address_space:  global
        .offset:         48
        .size:           8
        .value_kind:     global_buffer
      - .actual_access:  read_only
        .address_space:  global
        .offset:         56
        .size:           8
        .value_kind:     global_buffer
      - .actual_access:  read_only
        .address_space:  global
        .offset:         64
        .size:           8
        .value_kind:     global_buffer
      - .actual_access:  read_only
        .address_space:  global
        .offset:         72
        .size:           8
        .value_kind:     global_buffer
      - .offset:         80
        .size:           16
        .value_kind:     by_value
      - .address_space:  global
        .offset:         96
        .size:           8
        .value_kind:     global_buffer
      - .offset:         104
        .size:           4
        .value_kind:     by_value
      - .offset:         108
        .size:           1
        .value_kind:     by_value
    .group_segment_fixed_size: 2048
    .kernarg_segment_align: 8
    .kernarg_segment_size: 112
    .language:       OpenCL C
    .language_version:
      - 2
      - 0
    .max_flat_workgroup_size: 128
    .name:           _ZN9rocsparseL18bsrxmvn_4x4_kernelILj128ELj4E21rocsparse_complex_numIdElidS2_S2_EEvT3_20rocsparse_direction_NS_24const_host_device_scalarIT1_EES3_PKS3_PKT2_SC_S9_PKT4_PKT5_S7_PT6_21rocsparse_index_base_b
    .private_segment_fixed_size: 0
    .sgpr_count:     20
    .sgpr_spill_count: 0
    .symbol:         _ZN9rocsparseL18bsrxmvn_4x4_kernelILj128ELj4E21rocsparse_complex_numIdElidS2_S2_EEvT3_20rocsparse_direction_NS_24const_host_device_scalarIT1_EES3_PKS3_PKT2_SC_S9_PKT4_PKT5_S7_PT6_21rocsparse_index_base_b.kd
    .uniform_work_group_size: 1
    .uses_dynamic_stack: false
    .vgpr_count:     117
    .vgpr_spill_count: 0
    .wavefront_size: 32
    .workgroup_processor_mode: 1
  - .args:
      - .offset:         0
        .size:           4
        .value_kind:     by_value
      - .offset:         4
        .size:           4
        .value_kind:     by_value
      - .offset:         8
        .size:           16
        .value_kind:     by_value
      - .offset:         24
        .size:           4
        .value_kind:     by_value
      - .actual_access:  read_only
        .address_space:  global
        .offset:         32
        .size:           8
        .value_kind:     global_buffer
      - .actual_access:  read_only
        .address_space:  global
        .offset:         40
        .size:           8
        .value_kind:     global_buffer
      - .actual_access:  read_only
        .address_space:  global
        .offset:         48
        .size:           8
        .value_kind:     global_buffer
      - .actual_access:  read_only
        .address_space:  global
        .offset:         56
        .size:           8
        .value_kind:     global_buffer
      - .actual_access:  read_only
        .address_space:  global
        .offset:         64
        .size:           8
        .value_kind:     global_buffer
      - .actual_access:  read_only
        .address_space:  global
        .offset:         72
        .size:           8
        .value_kind:     global_buffer
      - .offset:         80
        .size:           16
        .value_kind:     by_value
      - .address_space:  global
        .offset:         96
        .size:           8
        .value_kind:     global_buffer
      - .offset:         104
        .size:           4
        .value_kind:     by_value
      - .offset:         108
        .size:           1
        .value_kind:     by_value
    .group_segment_fixed_size: 2048
    .kernarg_segment_align: 8
    .kernarg_segment_size: 112
    .language:       OpenCL C
    .language_version:
      - 2
      - 0
    .max_flat_workgroup_size: 128
    .name:           _ZN9rocsparseL18bsrxmvn_4x4_kernelILj128ELj8E21rocsparse_complex_numIdElidS2_S2_EEvT3_20rocsparse_direction_NS_24const_host_device_scalarIT1_EES3_PKS3_PKT2_SC_S9_PKT4_PKT5_S7_PT6_21rocsparse_index_base_b
    .private_segment_fixed_size: 0
    .sgpr_count:     20
    .sgpr_spill_count: 0
    .symbol:         _ZN9rocsparseL18bsrxmvn_4x4_kernelILj128ELj8E21rocsparse_complex_numIdElidS2_S2_EEvT3_20rocsparse_direction_NS_24const_host_device_scalarIT1_EES3_PKS3_PKT2_SC_S9_PKT4_PKT5_S7_PT6_21rocsparse_index_base_b.kd
    .uniform_work_group_size: 1
    .uses_dynamic_stack: false
    .vgpr_count:     117
    .vgpr_spill_count: 0
    .wavefront_size: 32
    .workgroup_processor_mode: 1
  - .args:
      - .offset:         0
        .size:           4
        .value_kind:     by_value
      - .offset:         4
        .size:           4
        .value_kind:     by_value
      - .offset:         8
        .size:           16
        .value_kind:     by_value
      - .offset:         24
        .size:           4
        .value_kind:     by_value
      - .actual_access:  read_only
        .address_space:  global
        .offset:         32
        .size:           8
        .value_kind:     global_buffer
      - .actual_access:  read_only
        .address_space:  global
        .offset:         40
        .size:           8
        .value_kind:     global_buffer
      - .actual_access:  read_only
        .address_space:  global
        .offset:         48
        .size:           8
        .value_kind:     global_buffer
      - .actual_access:  read_only
        .address_space:  global
        .offset:         56
        .size:           8
        .value_kind:     global_buffer
      - .actual_access:  read_only
        .address_space:  global
        .offset:         64
        .size:           8
        .value_kind:     global_buffer
      - .actual_access:  read_only
        .address_space:  global
        .offset:         72
        .size:           8
        .value_kind:     global_buffer
      - .offset:         80
        .size:           16
        .value_kind:     by_value
      - .address_space:  global
        .offset:         96
        .size:           8
        .value_kind:     global_buffer
      - .offset:         104
        .size:           4
        .value_kind:     by_value
      - .offset:         108
        .size:           1
        .value_kind:     by_value
    .group_segment_fixed_size: 2048
    .kernarg_segment_align: 8
    .kernarg_segment_size: 112
    .language:       OpenCL C
    .language_version:
      - 2
      - 0
    .max_flat_workgroup_size: 128
    .name:           _ZN9rocsparseL18bsrxmvn_4x4_kernelILj128ELj16E21rocsparse_complex_numIdElidS2_S2_EEvT3_20rocsparse_direction_NS_24const_host_device_scalarIT1_EES3_PKS3_PKT2_SC_S9_PKT4_PKT5_S7_PT6_21rocsparse_index_base_b
    .private_segment_fixed_size: 0
    .sgpr_count:     20
    .sgpr_spill_count: 0
    .symbol:         _ZN9rocsparseL18bsrxmvn_4x4_kernelILj128ELj16E21rocsparse_complex_numIdElidS2_S2_EEvT3_20rocsparse_direction_NS_24const_host_device_scalarIT1_EES3_PKS3_PKT2_SC_S9_PKT4_PKT5_S7_PT6_21rocsparse_index_base_b.kd
    .uniform_work_group_size: 1
    .uses_dynamic_stack: false
    .vgpr_count:     119
    .vgpr_spill_count: 0
    .wavefront_size: 32
    .workgroup_processor_mode: 1
  - .args:
      - .offset:         0
        .size:           4
        .value_kind:     by_value
      - .offset:         4
        .size:           4
        .value_kind:     by_value
      - .offset:         8
        .size:           16
        .value_kind:     by_value
      - .offset:         24
        .size:           4
        .value_kind:     by_value
      - .actual_access:  read_only
        .address_space:  global
        .offset:         32
        .size:           8
        .value_kind:     global_buffer
      - .actual_access:  read_only
        .address_space:  global
        .offset:         40
        .size:           8
        .value_kind:     global_buffer
      - .actual_access:  read_only
        .address_space:  global
        .offset:         48
        .size:           8
        .value_kind:     global_buffer
      - .actual_access:  read_only
        .address_space:  global
        .offset:         56
        .size:           8
        .value_kind:     global_buffer
      - .actual_access:  read_only
        .address_space:  global
        .offset:         64
        .size:           8
        .value_kind:     global_buffer
      - .actual_access:  read_only
        .address_space:  global
        .offset:         72
        .size:           8
        .value_kind:     global_buffer
      - .offset:         80
        .size:           16
        .value_kind:     by_value
      - .address_space:  global
        .offset:         96
        .size:           8
        .value_kind:     global_buffer
      - .offset:         104
        .size:           4
        .value_kind:     by_value
      - .offset:         108
        .size:           1
        .value_kind:     by_value
    .group_segment_fixed_size: 2048
    .kernarg_segment_align: 8
    .kernarg_segment_size: 112
    .language:       OpenCL C
    .language_version:
      - 2
      - 0
    .max_flat_workgroup_size: 128
    .name:           _ZN9rocsparseL18bsrxmvn_4x4_kernelILj128ELj32E21rocsparse_complex_numIdElidS2_S2_EEvT3_20rocsparse_direction_NS_24const_host_device_scalarIT1_EES3_PKS3_PKT2_SC_S9_PKT4_PKT5_S7_PT6_21rocsparse_index_base_b
    .private_segment_fixed_size: 0
    .sgpr_count:     20
    .sgpr_spill_count: 0
    .symbol:         _ZN9rocsparseL18bsrxmvn_4x4_kernelILj128ELj32E21rocsparse_complex_numIdElidS2_S2_EEvT3_20rocsparse_direction_NS_24const_host_device_scalarIT1_EES3_PKS3_PKT2_SC_S9_PKT4_PKT5_S7_PT6_21rocsparse_index_base_b.kd
    .uniform_work_group_size: 1
    .uses_dynamic_stack: false
    .vgpr_count:     120
    .vgpr_spill_count: 0
    .wavefront_size: 32
    .workgroup_processor_mode: 1
  - .args:
      - .offset:         0
        .size:           4
        .value_kind:     by_value
      - .offset:         4
        .size:           4
        .value_kind:     by_value
      - .offset:         8
        .size:           16
        .value_kind:     by_value
      - .offset:         24
        .size:           4
        .value_kind:     by_value
      - .actual_access:  read_only
        .address_space:  global
        .offset:         32
        .size:           8
        .value_kind:     global_buffer
      - .actual_access:  read_only
        .address_space:  global
        .offset:         40
        .size:           8
        .value_kind:     global_buffer
      - .actual_access:  read_only
        .address_space:  global
        .offset:         48
        .size:           8
        .value_kind:     global_buffer
      - .actual_access:  read_only
        .address_space:  global
        .offset:         56
        .size:           8
        .value_kind:     global_buffer
      - .actual_access:  read_only
        .address_space:  global
        .offset:         64
        .size:           8
        .value_kind:     global_buffer
      - .actual_access:  read_only
        .address_space:  global
        .offset:         72
        .size:           8
        .value_kind:     global_buffer
      - .offset:         80
        .size:           16
        .value_kind:     by_value
      - .address_space:  global
        .offset:         96
        .size:           8
        .value_kind:     global_buffer
      - .offset:         104
        .size:           4
        .value_kind:     by_value
      - .offset:         108
        .size:           1
        .value_kind:     by_value
    .group_segment_fixed_size: 2048
    .kernarg_segment_align: 8
    .kernarg_segment_size: 112
    .language:       OpenCL C
    .language_version:
      - 2
      - 0
    .max_flat_workgroup_size: 128
    .name:           _ZN9rocsparseL18bsrxmvn_4x4_kernelILj128ELj64E21rocsparse_complex_numIdElidS2_S2_EEvT3_20rocsparse_direction_NS_24const_host_device_scalarIT1_EES3_PKS3_PKT2_SC_S9_PKT4_PKT5_S7_PT6_21rocsparse_index_base_b
    .private_segment_fixed_size: 0
    .sgpr_count:     20
    .sgpr_spill_count: 0
    .symbol:         _ZN9rocsparseL18bsrxmvn_4x4_kernelILj128ELj64E21rocsparse_complex_numIdElidS2_S2_EEvT3_20rocsparse_direction_NS_24const_host_device_scalarIT1_EES3_PKS3_PKT2_SC_S9_PKT4_PKT5_S7_PT6_21rocsparse_index_base_b.kd
    .uniform_work_group_size: 1
    .uses_dynamic_stack: false
    .vgpr_count:     119
    .vgpr_spill_count: 0
    .wavefront_size: 32
    .workgroup_processor_mode: 1
  - .args:
      - .offset:         0
        .size:           8
        .value_kind:     by_value
      - .offset:         8
        .size:           4
        .value_kind:     by_value
      - .offset:         16
        .size:           16
        .value_kind:     by_value
      - .offset:         32
        .size:           8
        .value_kind:     by_value
      - .actual_access:  read_only
        .address_space:  global
        .offset:         40
        .size:           8
        .value_kind:     global_buffer
      - .actual_access:  read_only
        .address_space:  global
        .offset:         48
        .size:           8
        .value_kind:     global_buffer
      - .actual_access:  read_only
        .address_space:  global
        .offset:         56
        .size:           8
        .value_kind:     global_buffer
      - .actual_access:  read_only
        .address_space:  global
        .offset:         64
        .size:           8
        .value_kind:     global_buffer
      - .actual_access:  read_only
        .address_space:  global
        .offset:         72
        .size:           8
        .value_kind:     global_buffer
      - .actual_access:  read_only
        .address_space:  global
        .offset:         80
        .size:           8
        .value_kind:     global_buffer
      - .offset:         88
        .size:           16
        .value_kind:     by_value
      - .address_space:  global
        .offset:         104
        .size:           8
        .value_kind:     global_buffer
      - .offset:         112
        .size:           4
        .value_kind:     by_value
      - .offset:         116
        .size:           1
        .value_kind:     by_value
    .group_segment_fixed_size: 2048
    .kernarg_segment_align: 8
    .kernarg_segment_size: 120
    .language:       OpenCL C
    .language_version:
      - 2
      - 0
    .max_flat_workgroup_size: 128
    .name:           _ZN9rocsparseL18bsrxmvn_4x4_kernelILj128ELj4E21rocsparse_complex_numIdElldS2_S2_EEvT3_20rocsparse_direction_NS_24const_host_device_scalarIT1_EES3_PKS3_PKT2_SC_S9_PKT4_PKT5_S7_PT6_21rocsparse_index_base_b
    .private_segment_fixed_size: 0
    .sgpr_count:     20
    .sgpr_spill_count: 0
    .symbol:         _ZN9rocsparseL18bsrxmvn_4x4_kernelILj128ELj4E21rocsparse_complex_numIdElldS2_S2_EEvT3_20rocsparse_direction_NS_24const_host_device_scalarIT1_EES3_PKS3_PKT2_SC_S9_PKT4_PKT5_S7_PT6_21rocsparse_index_base_b.kd
    .uniform_work_group_size: 1
    .uses_dynamic_stack: false
    .vgpr_count:     119
    .vgpr_spill_count: 0
    .wavefront_size: 32
    .workgroup_processor_mode: 1
  - .args:
      - .offset:         0
        .size:           8
        .value_kind:     by_value
      - .offset:         8
        .size:           4
        .value_kind:     by_value
      - .offset:         16
        .size:           16
        .value_kind:     by_value
      - .offset:         32
        .size:           8
        .value_kind:     by_value
      - .actual_access:  read_only
        .address_space:  global
        .offset:         40
        .size:           8
        .value_kind:     global_buffer
      - .actual_access:  read_only
        .address_space:  global
        .offset:         48
        .size:           8
        .value_kind:     global_buffer
      - .actual_access:  read_only
        .address_space:  global
        .offset:         56
        .size:           8
        .value_kind:     global_buffer
      - .actual_access:  read_only
        .address_space:  global
        .offset:         64
        .size:           8
        .value_kind:     global_buffer
      - .actual_access:  read_only
        .address_space:  global
        .offset:         72
        .size:           8
        .value_kind:     global_buffer
      - .actual_access:  read_only
        .address_space:  global
        .offset:         80
        .size:           8
        .value_kind:     global_buffer
      - .offset:         88
        .size:           16
        .value_kind:     by_value
      - .address_space:  global
        .offset:         104
        .size:           8
        .value_kind:     global_buffer
      - .offset:         112
        .size:           4
        .value_kind:     by_value
      - .offset:         116
        .size:           1
        .value_kind:     by_value
    .group_segment_fixed_size: 2048
    .kernarg_segment_align: 8
    .kernarg_segment_size: 120
    .language:       OpenCL C
    .language_version:
      - 2
      - 0
    .max_flat_workgroup_size: 128
    .name:           _ZN9rocsparseL18bsrxmvn_4x4_kernelILj128ELj8E21rocsparse_complex_numIdElldS2_S2_EEvT3_20rocsparse_direction_NS_24const_host_device_scalarIT1_EES3_PKS3_PKT2_SC_S9_PKT4_PKT5_S7_PT6_21rocsparse_index_base_b
    .private_segment_fixed_size: 0
    .sgpr_count:     20
    .sgpr_spill_count: 0
    .symbol:         _ZN9rocsparseL18bsrxmvn_4x4_kernelILj128ELj8E21rocsparse_complex_numIdElldS2_S2_EEvT3_20rocsparse_direction_NS_24const_host_device_scalarIT1_EES3_PKS3_PKT2_SC_S9_PKT4_PKT5_S7_PT6_21rocsparse_index_base_b.kd
    .uniform_work_group_size: 1
    .uses_dynamic_stack: false
    .vgpr_count:     119
    .vgpr_spill_count: 0
    .wavefront_size: 32
    .workgroup_processor_mode: 1
  - .args:
      - .offset:         0
        .size:           8
        .value_kind:     by_value
      - .offset:         8
        .size:           4
        .value_kind:     by_value
      - .offset:         16
        .size:           16
        .value_kind:     by_value
      - .offset:         32
        .size:           8
        .value_kind:     by_value
      - .actual_access:  read_only
        .address_space:  global
        .offset:         40
        .size:           8
        .value_kind:     global_buffer
      - .actual_access:  read_only
        .address_space:  global
        .offset:         48
        .size:           8
        .value_kind:     global_buffer
      - .actual_access:  read_only
        .address_space:  global
        .offset:         56
        .size:           8
        .value_kind:     global_buffer
      - .actual_access:  read_only
        .address_space:  global
        .offset:         64
        .size:           8
        .value_kind:     global_buffer
      - .actual_access:  read_only
        .address_space:  global
        .offset:         72
        .size:           8
        .value_kind:     global_buffer
      - .actual_access:  read_only
        .address_space:  global
        .offset:         80
        .size:           8
        .value_kind:     global_buffer
      - .offset:         88
        .size:           16
        .value_kind:     by_value
      - .address_space:  global
        .offset:         104
        .size:           8
        .value_kind:     global_buffer
      - .offset:         112
        .size:           4
        .value_kind:     by_value
      - .offset:         116
        .size:           1
        .value_kind:     by_value
    .group_segment_fixed_size: 2048
    .kernarg_segment_align: 8
    .kernarg_segment_size: 120
    .language:       OpenCL C
    .language_version:
      - 2
      - 0
    .max_flat_workgroup_size: 128
    .name:           _ZN9rocsparseL18bsrxmvn_4x4_kernelILj128ELj16E21rocsparse_complex_numIdElldS2_S2_EEvT3_20rocsparse_direction_NS_24const_host_device_scalarIT1_EES3_PKS3_PKT2_SC_S9_PKT4_PKT5_S7_PT6_21rocsparse_index_base_b
    .private_segment_fixed_size: 0
    .sgpr_count:     20
    .sgpr_spill_count: 0
    .symbol:         _ZN9rocsparseL18bsrxmvn_4x4_kernelILj128ELj16E21rocsparse_complex_numIdElldS2_S2_EEvT3_20rocsparse_direction_NS_24const_host_device_scalarIT1_EES3_PKS3_PKT2_SC_S9_PKT4_PKT5_S7_PT6_21rocsparse_index_base_b.kd
    .uniform_work_group_size: 1
    .uses_dynamic_stack: false
    .vgpr_count:     121
    .vgpr_spill_count: 0
    .wavefront_size: 32
    .workgroup_processor_mode: 1
  - .args:
      - .offset:         0
        .size:           8
        .value_kind:     by_value
      - .offset:         8
        .size:           4
        .value_kind:     by_value
      - .offset:         16
        .size:           16
        .value_kind:     by_value
      - .offset:         32
        .size:           8
        .value_kind:     by_value
      - .actual_access:  read_only
        .address_space:  global
        .offset:         40
        .size:           8
        .value_kind:     global_buffer
      - .actual_access:  read_only
        .address_space:  global
        .offset:         48
        .size:           8
        .value_kind:     global_buffer
      - .actual_access:  read_only
        .address_space:  global
        .offset:         56
        .size:           8
        .value_kind:     global_buffer
      - .actual_access:  read_only
        .address_space:  global
        .offset:         64
        .size:           8
        .value_kind:     global_buffer
      - .actual_access:  read_only
        .address_space:  global
        .offset:         72
        .size:           8
        .value_kind:     global_buffer
      - .actual_access:  read_only
        .address_space:  global
        .offset:         80
        .size:           8
        .value_kind:     global_buffer
      - .offset:         88
        .size:           16
        .value_kind:     by_value
      - .address_space:  global
        .offset:         104
        .size:           8
        .value_kind:     global_buffer
      - .offset:         112
        .size:           4
        .value_kind:     by_value
      - .offset:         116
        .size:           1
        .value_kind:     by_value
    .group_segment_fixed_size: 2048
    .kernarg_segment_align: 8
    .kernarg_segment_size: 120
    .language:       OpenCL C
    .language_version:
      - 2
      - 0
    .max_flat_workgroup_size: 128
    .name:           _ZN9rocsparseL18bsrxmvn_4x4_kernelILj128ELj32E21rocsparse_complex_numIdElldS2_S2_EEvT3_20rocsparse_direction_NS_24const_host_device_scalarIT1_EES3_PKS3_PKT2_SC_S9_PKT4_PKT5_S7_PT6_21rocsparse_index_base_b
    .private_segment_fixed_size: 0
    .sgpr_count:     20
    .sgpr_spill_count: 0
    .symbol:         _ZN9rocsparseL18bsrxmvn_4x4_kernelILj128ELj32E21rocsparse_complex_numIdElldS2_S2_EEvT3_20rocsparse_direction_NS_24const_host_device_scalarIT1_EES3_PKS3_PKT2_SC_S9_PKT4_PKT5_S7_PT6_21rocsparse_index_base_b.kd
    .uniform_work_group_size: 1
    .uses_dynamic_stack: false
    .vgpr_count:     123
    .vgpr_spill_count: 0
    .wavefront_size: 32
    .workgroup_processor_mode: 1
  - .args:
      - .offset:         0
        .size:           8
        .value_kind:     by_value
      - .offset:         8
        .size:           4
        .value_kind:     by_value
      - .offset:         16
        .size:           16
        .value_kind:     by_value
      - .offset:         32
        .size:           8
        .value_kind:     by_value
      - .actual_access:  read_only
        .address_space:  global
        .offset:         40
        .size:           8
        .value_kind:     global_buffer
      - .actual_access:  read_only
        .address_space:  global
        .offset:         48
        .size:           8
        .value_kind:     global_buffer
      - .actual_access:  read_only
        .address_space:  global
        .offset:         56
        .size:           8
        .value_kind:     global_buffer
      - .actual_access:  read_only
        .address_space:  global
        .offset:         64
        .size:           8
        .value_kind:     global_buffer
      - .actual_access:  read_only
        .address_space:  global
        .offset:         72
        .size:           8
        .value_kind:     global_buffer
      - .actual_access:  read_only
        .address_space:  global
        .offset:         80
        .size:           8
        .value_kind:     global_buffer
      - .offset:         88
        .size:           16
        .value_kind:     by_value
      - .address_space:  global
        .offset:         104
        .size:           8
        .value_kind:     global_buffer
      - .offset:         112
        .size:           4
        .value_kind:     by_value
      - .offset:         116
        .size:           1
        .value_kind:     by_value
    .group_segment_fixed_size: 2048
    .kernarg_segment_align: 8
    .kernarg_segment_size: 120
    .language:       OpenCL C
    .language_version:
      - 2
      - 0
    .max_flat_workgroup_size: 128
    .name:           _ZN9rocsparseL18bsrxmvn_4x4_kernelILj128ELj64E21rocsparse_complex_numIdElldS2_S2_EEvT3_20rocsparse_direction_NS_24const_host_device_scalarIT1_EES3_PKS3_PKT2_SC_S9_PKT4_PKT5_S7_PT6_21rocsparse_index_base_b
    .private_segment_fixed_size: 0
    .sgpr_count:     20
    .sgpr_spill_count: 0
    .symbol:         _ZN9rocsparseL18bsrxmvn_4x4_kernelILj128ELj64E21rocsparse_complex_numIdElldS2_S2_EEvT3_20rocsparse_direction_NS_24const_host_device_scalarIT1_EES3_PKS3_PKT2_SC_S9_PKT4_PKT5_S7_PT6_21rocsparse_index_base_b.kd
    .uniform_work_group_size: 1
    .uses_dynamic_stack: false
    .vgpr_count:     121
    .vgpr_spill_count: 0
    .wavefront_size: 32
    .workgroup_processor_mode: 1
  - .args:
      - .offset:         0
        .size:           4
        .value_kind:     by_value
      - .offset:         4
        .size:           4
        .value_kind:     by_value
      - .offset:         8
        .size:           8
        .value_kind:     by_value
      - .offset:         16
        .size:           4
        .value_kind:     by_value
      - .actual_access:  read_only
        .address_space:  global
        .offset:         24
        .size:           8
        .value_kind:     global_buffer
      - .actual_access:  read_only
        .address_space:  global
        .offset:         32
        .size:           8
        .value_kind:     global_buffer
      - .actual_access:  read_only
        .address_space:  global
        .offset:         40
        .size:           8
        .value_kind:     global_buffer
      - .actual_access:  read_only
        .address_space:  global
        .offset:         48
        .size:           8
        .value_kind:     global_buffer
      - .actual_access:  read_only
        .address_space:  global
        .offset:         56
        .size:           8
        .value_kind:     global_buffer
      - .actual_access:  read_only
        .address_space:  global
        .offset:         64
        .size:           8
        .value_kind:     global_buffer
      - .offset:         72
        .size:           8
        .value_kind:     by_value
      - .address_space:  global
        .offset:         80
        .size:           8
        .value_kind:     global_buffer
      - .offset:         88
        .size:           4
        .value_kind:     by_value
      - .offset:         92
        .size:           1
        .value_kind:     by_value
    .group_segment_fixed_size: 0
    .kernarg_segment_align: 8
    .kernarg_segment_size: 96
    .language:       OpenCL C
    .language_version:
      - 2
      - 0
    .max_flat_workgroup_size: 128
    .name:           _ZN9rocsparseL18bsrxmvn_4x4_kernelILj128ELj4EdiifddEEvT3_20rocsparse_direction_NS_24const_host_device_scalarIT1_EES1_PKS1_PKT2_SA_S7_PKT4_PKT5_S5_PT6_21rocsparse_index_base_b
    .private_segment_fixed_size: 0
    .sgpr_count:     18
    .sgpr_spill_count: 0
    .symbol:         _ZN9rocsparseL18bsrxmvn_4x4_kernelILj128ELj4EdiifddEEvT3_20rocsparse_direction_NS_24const_host_device_scalarIT1_EES1_PKS1_PKT2_SA_S7_PKT4_PKT5_S5_PT6_21rocsparse_index_base_b.kd
    .uniform_work_group_size: 1
    .uses_dynamic_stack: false
    .vgpr_count:     105
    .vgpr_spill_count: 0
    .wavefront_size: 32
    .workgroup_processor_mode: 1
  - .args:
      - .offset:         0
        .size:           4
        .value_kind:     by_value
      - .offset:         4
        .size:           4
        .value_kind:     by_value
      - .offset:         8
        .size:           8
        .value_kind:     by_value
      - .offset:         16
        .size:           4
        .value_kind:     by_value
      - .actual_access:  read_only
        .address_space:  global
        .offset:         24
        .size:           8
        .value_kind:     global_buffer
      - .actual_access:  read_only
        .address_space:  global
        .offset:         32
        .size:           8
        .value_kind:     global_buffer
      - .actual_access:  read_only
        .address_space:  global
        .offset:         40
        .size:           8
        .value_kind:     global_buffer
      - .actual_access:  read_only
        .address_space:  global
        .offset:         48
        .size:           8
        .value_kind:     global_buffer
      - .actual_access:  read_only
        .address_space:  global
        .offset:         56
        .size:           8
        .value_kind:     global_buffer
      - .actual_access:  read_only
        .address_space:  global
        .offset:         64
        .size:           8
        .value_kind:     global_buffer
      - .offset:         72
        .size:           8
        .value_kind:     by_value
      - .address_space:  global
        .offset:         80
        .size:           8
        .value_kind:     global_buffer
      - .offset:         88
        .size:           4
        .value_kind:     by_value
      - .offset:         92
        .size:           1
        .value_kind:     by_value
    .group_segment_fixed_size: 0
    .kernarg_segment_align: 8
    .kernarg_segment_size: 96
    .language:       OpenCL C
    .language_version:
      - 2
      - 0
    .max_flat_workgroup_size: 128
    .name:           _ZN9rocsparseL18bsrxmvn_4x4_kernelILj128ELj8EdiifddEEvT3_20rocsparse_direction_NS_24const_host_device_scalarIT1_EES1_PKS1_PKT2_SA_S7_PKT4_PKT5_S5_PT6_21rocsparse_index_base_b
    .private_segment_fixed_size: 0
    .sgpr_count:     18
    .sgpr_spill_count: 0
    .symbol:         _ZN9rocsparseL18bsrxmvn_4x4_kernelILj128ELj8EdiifddEEvT3_20rocsparse_direction_NS_24const_host_device_scalarIT1_EES1_PKS1_PKT2_SA_S7_PKT4_PKT5_S5_PT6_21rocsparse_index_base_b.kd
    .uniform_work_group_size: 1
    .uses_dynamic_stack: false
    .vgpr_count:     105
    .vgpr_spill_count: 0
    .wavefront_size: 32
    .workgroup_processor_mode: 1
  - .args:
      - .offset:         0
        .size:           4
        .value_kind:     by_value
      - .offset:         4
        .size:           4
        .value_kind:     by_value
      - .offset:         8
        .size:           8
        .value_kind:     by_value
      - .offset:         16
        .size:           4
        .value_kind:     by_value
      - .actual_access:  read_only
        .address_space:  global
        .offset:         24
        .size:           8
        .value_kind:     global_buffer
      - .actual_access:  read_only
        .address_space:  global
        .offset:         32
        .size:           8
        .value_kind:     global_buffer
      - .actual_access:  read_only
        .address_space:  global
        .offset:         40
        .size:           8
        .value_kind:     global_buffer
      - .actual_access:  read_only
        .address_space:  global
        .offset:         48
        .size:           8
        .value_kind:     global_buffer
      - .actual_access:  read_only
        .address_space:  global
        .offset:         56
        .size:           8
        .value_kind:     global_buffer
      - .actual_access:  read_only
        .address_space:  global
        .offset:         64
        .size:           8
        .value_kind:     global_buffer
      - .offset:         72
        .size:           8
        .value_kind:     by_value
      - .address_space:  global
        .offset:         80
        .size:           8
        .value_kind:     global_buffer
      - .offset:         88
        .size:           4
        .value_kind:     by_value
      - .offset:         92
        .size:           1
        .value_kind:     by_value
    .group_segment_fixed_size: 0
    .kernarg_segment_align: 8
    .kernarg_segment_size: 96
    .language:       OpenCL C
    .language_version:
      - 2
      - 0
    .max_flat_workgroup_size: 128
    .name:           _ZN9rocsparseL18bsrxmvn_4x4_kernelILj128ELj16EdiifddEEvT3_20rocsparse_direction_NS_24const_host_device_scalarIT1_EES1_PKS1_PKT2_SA_S7_PKT4_PKT5_S5_PT6_21rocsparse_index_base_b
    .private_segment_fixed_size: 0
    .sgpr_count:     18
    .sgpr_spill_count: 0
    .symbol:         _ZN9rocsparseL18bsrxmvn_4x4_kernelILj128ELj16EdiifddEEvT3_20rocsparse_direction_NS_24const_host_device_scalarIT1_EES1_PKS1_PKT2_SA_S7_PKT4_PKT5_S5_PT6_21rocsparse_index_base_b.kd
    .uniform_work_group_size: 1
    .uses_dynamic_stack: false
    .vgpr_count:     105
    .vgpr_spill_count: 0
    .wavefront_size: 32
    .workgroup_processor_mode: 1
  - .args:
      - .offset:         0
        .size:           4
        .value_kind:     by_value
      - .offset:         4
        .size:           4
        .value_kind:     by_value
      - .offset:         8
        .size:           8
        .value_kind:     by_value
      - .offset:         16
        .size:           4
        .value_kind:     by_value
      - .actual_access:  read_only
        .address_space:  global
        .offset:         24
        .size:           8
        .value_kind:     global_buffer
      - .actual_access:  read_only
        .address_space:  global
        .offset:         32
        .size:           8
        .value_kind:     global_buffer
      - .actual_access:  read_only
        .address_space:  global
        .offset:         40
        .size:           8
        .value_kind:     global_buffer
      - .actual_access:  read_only
        .address_space:  global
        .offset:         48
        .size:           8
        .value_kind:     global_buffer
      - .actual_access:  read_only
        .address_space:  global
        .offset:         56
        .size:           8
        .value_kind:     global_buffer
      - .actual_access:  read_only
        .address_space:  global
        .offset:         64
        .size:           8
        .value_kind:     global_buffer
      - .offset:         72
        .size:           8
        .value_kind:     by_value
      - .address_space:  global
        .offset:         80
        .size:           8
        .value_kind:     global_buffer
      - .offset:         88
        .size:           4
        .value_kind:     by_value
      - .offset:         92
        .size:           1
        .value_kind:     by_value
    .group_segment_fixed_size: 0
    .kernarg_segment_align: 8
    .kernarg_segment_size: 96
    .language:       OpenCL C
    .language_version:
      - 2
      - 0
    .max_flat_workgroup_size: 128
    .name:           _ZN9rocsparseL18bsrxmvn_4x4_kernelILj128ELj32EdiifddEEvT3_20rocsparse_direction_NS_24const_host_device_scalarIT1_EES1_PKS1_PKT2_SA_S7_PKT4_PKT5_S5_PT6_21rocsparse_index_base_b
    .private_segment_fixed_size: 0
    .sgpr_count:     18
    .sgpr_spill_count: 0
    .symbol:         _ZN9rocsparseL18bsrxmvn_4x4_kernelILj128ELj32EdiifddEEvT3_20rocsparse_direction_NS_24const_host_device_scalarIT1_EES1_PKS1_PKT2_SA_S7_PKT4_PKT5_S5_PT6_21rocsparse_index_base_b.kd
    .uniform_work_group_size: 1
    .uses_dynamic_stack: false
    .vgpr_count:     105
    .vgpr_spill_count: 0
    .wavefront_size: 32
    .workgroup_processor_mode: 1
  - .args:
      - .offset:         0
        .size:           4
        .value_kind:     by_value
      - .offset:         4
        .size:           4
        .value_kind:     by_value
      - .offset:         8
        .size:           8
        .value_kind:     by_value
      - .offset:         16
        .size:           4
        .value_kind:     by_value
      - .actual_access:  read_only
        .address_space:  global
        .offset:         24
        .size:           8
        .value_kind:     global_buffer
      - .actual_access:  read_only
        .address_space:  global
        .offset:         32
        .size:           8
        .value_kind:     global_buffer
      - .actual_access:  read_only
        .address_space:  global
        .offset:         40
        .size:           8
        .value_kind:     global_buffer
      - .actual_access:  read_only
        .address_space:  global
        .offset:         48
        .size:           8
        .value_kind:     global_buffer
      - .actual_access:  read_only
        .address_space:  global
        .offset:         56
        .size:           8
        .value_kind:     global_buffer
      - .actual_access:  read_only
        .address_space:  global
        .offset:         64
        .size:           8
        .value_kind:     global_buffer
      - .offset:         72
        .size:           8
        .value_kind:     by_value
      - .address_space:  global
        .offset:         80
        .size:           8
        .value_kind:     global_buffer
      - .offset:         88
        .size:           4
        .value_kind:     by_value
      - .offset:         92
        .size:           1
        .value_kind:     by_value
    .group_segment_fixed_size: 0
    .kernarg_segment_align: 8
    .kernarg_segment_size: 96
    .language:       OpenCL C
    .language_version:
      - 2
      - 0
    .max_flat_workgroup_size: 128
    .name:           _ZN9rocsparseL18bsrxmvn_4x4_kernelILj128ELj64EdiifddEEvT3_20rocsparse_direction_NS_24const_host_device_scalarIT1_EES1_PKS1_PKT2_SA_S7_PKT4_PKT5_S5_PT6_21rocsparse_index_base_b
    .private_segment_fixed_size: 0
    .sgpr_count:     18
    .sgpr_spill_count: 0
    .symbol:         _ZN9rocsparseL18bsrxmvn_4x4_kernelILj128ELj64EdiifddEEvT3_20rocsparse_direction_NS_24const_host_device_scalarIT1_EES1_PKS1_PKT2_SA_S7_PKT4_PKT5_S5_PT6_21rocsparse_index_base_b.kd
    .uniform_work_group_size: 1
    .uses_dynamic_stack: false
    .vgpr_count:     105
    .vgpr_spill_count: 0
    .wavefront_size: 32
    .workgroup_processor_mode: 1
  - .args:
      - .offset:         0
        .size:           4
        .value_kind:     by_value
      - .offset:         4
        .size:           4
        .value_kind:     by_value
      - .offset:         8
        .size:           8
        .value_kind:     by_value
      - .offset:         16
        .size:           4
        .value_kind:     by_value
      - .actual_access:  read_only
        .address_space:  global
        .offset:         24
        .size:           8
        .value_kind:     global_buffer
      - .actual_access:  read_only
        .address_space:  global
        .offset:         32
        .size:           8
        .value_kind:     global_buffer
      - .actual_access:  read_only
        .address_space:  global
        .offset:         40
        .size:           8
        .value_kind:     global_buffer
      - .actual_access:  read_only
        .address_space:  global
        .offset:         48
        .size:           8
        .value_kind:     global_buffer
      - .actual_access:  read_only
        .address_space:  global
        .offset:         56
        .size:           8
        .value_kind:     global_buffer
      - .actual_access:  read_only
        .address_space:  global
        .offset:         64
        .size:           8
        .value_kind:     global_buffer
      - .offset:         72
        .size:           8
        .value_kind:     by_value
      - .address_space:  global
        .offset:         80
        .size:           8
        .value_kind:     global_buffer
      - .offset:         88
        .size:           4
        .value_kind:     by_value
      - .offset:         92
        .size:           1
        .value_kind:     by_value
    .group_segment_fixed_size: 0
    .kernarg_segment_align: 8
    .kernarg_segment_size: 96
    .language:       OpenCL C
    .language_version:
      - 2
      - 0
    .max_flat_workgroup_size: 128
    .name:           _ZN9rocsparseL18bsrxmvn_4x4_kernelILj128ELj4EdlifddEEvT3_20rocsparse_direction_NS_24const_host_device_scalarIT1_EES1_PKS1_PKT2_SA_S7_PKT4_PKT5_S5_PT6_21rocsparse_index_base_b
    .private_segment_fixed_size: 0
    .sgpr_count:     18
    .sgpr_spill_count: 0
    .symbol:         _ZN9rocsparseL18bsrxmvn_4x4_kernelILj128ELj4EdlifddEEvT3_20rocsparse_direction_NS_24const_host_device_scalarIT1_EES1_PKS1_PKT2_SA_S7_PKT4_PKT5_S5_PT6_21rocsparse_index_base_b.kd
    .uniform_work_group_size: 1
    .uses_dynamic_stack: false
    .vgpr_count:     112
    .vgpr_spill_count: 0
    .wavefront_size: 32
    .workgroup_processor_mode: 1
  - .args:
      - .offset:         0
        .size:           4
        .value_kind:     by_value
      - .offset:         4
        .size:           4
        .value_kind:     by_value
      - .offset:         8
        .size:           8
        .value_kind:     by_value
      - .offset:         16
        .size:           4
        .value_kind:     by_value
      - .actual_access:  read_only
        .address_space:  global
        .offset:         24
        .size:           8
        .value_kind:     global_buffer
      - .actual_access:  read_only
        .address_space:  global
        .offset:         32
        .size:           8
        .value_kind:     global_buffer
      - .actual_access:  read_only
        .address_space:  global
        .offset:         40
        .size:           8
        .value_kind:     global_buffer
      - .actual_access:  read_only
        .address_space:  global
        .offset:         48
        .size:           8
        .value_kind:     global_buffer
      - .actual_access:  read_only
        .address_space:  global
        .offset:         56
        .size:           8
        .value_kind:     global_buffer
      - .actual_access:  read_only
        .address_space:  global
        .offset:         64
        .size:           8
        .value_kind:     global_buffer
      - .offset:         72
        .size:           8
        .value_kind:     by_value
      - .address_space:  global
        .offset:         80
        .size:           8
        .value_kind:     global_buffer
      - .offset:         88
        .size:           4
        .value_kind:     by_value
      - .offset:         92
        .size:           1
        .value_kind:     by_value
    .group_segment_fixed_size: 0
    .kernarg_segment_align: 8
    .kernarg_segment_size: 96
    .language:       OpenCL C
    .language_version:
      - 2
      - 0
    .max_flat_workgroup_size: 128
    .name:           _ZN9rocsparseL18bsrxmvn_4x4_kernelILj128ELj8EdlifddEEvT3_20rocsparse_direction_NS_24const_host_device_scalarIT1_EES1_PKS1_PKT2_SA_S7_PKT4_PKT5_S5_PT6_21rocsparse_index_base_b
    .private_segment_fixed_size: 0
    .sgpr_count:     18
    .sgpr_spill_count: 0
    .symbol:         _ZN9rocsparseL18bsrxmvn_4x4_kernelILj128ELj8EdlifddEEvT3_20rocsparse_direction_NS_24const_host_device_scalarIT1_EES1_PKS1_PKT2_SA_S7_PKT4_PKT5_S5_PT6_21rocsparse_index_base_b.kd
    .uniform_work_group_size: 1
    .uses_dynamic_stack: false
    .vgpr_count:     112
    .vgpr_spill_count: 0
    .wavefront_size: 32
    .workgroup_processor_mode: 1
  - .args:
      - .offset:         0
        .size:           4
        .value_kind:     by_value
      - .offset:         4
        .size:           4
        .value_kind:     by_value
      - .offset:         8
        .size:           8
        .value_kind:     by_value
      - .offset:         16
        .size:           4
        .value_kind:     by_value
      - .actual_access:  read_only
        .address_space:  global
        .offset:         24
        .size:           8
        .value_kind:     global_buffer
      - .actual_access:  read_only
        .address_space:  global
        .offset:         32
        .size:           8
        .value_kind:     global_buffer
      - .actual_access:  read_only
        .address_space:  global
        .offset:         40
        .size:           8
        .value_kind:     global_buffer
      - .actual_access:  read_only
        .address_space:  global
        .offset:         48
        .size:           8
        .value_kind:     global_buffer
      - .actual_access:  read_only
        .address_space:  global
        .offset:         56
        .size:           8
        .value_kind:     global_buffer
      - .actual_access:  read_only
        .address_space:  global
        .offset:         64
        .size:           8
        .value_kind:     global_buffer
      - .offset:         72
        .size:           8
        .value_kind:     by_value
      - .address_space:  global
        .offset:         80
        .size:           8
        .value_kind:     global_buffer
      - .offset:         88
        .size:           4
        .value_kind:     by_value
      - .offset:         92
        .size:           1
        .value_kind:     by_value
    .group_segment_fixed_size: 0
    .kernarg_segment_align: 8
    .kernarg_segment_size: 96
    .language:       OpenCL C
    .language_version:
      - 2
      - 0
    .max_flat_workgroup_size: 128
    .name:           _ZN9rocsparseL18bsrxmvn_4x4_kernelILj128ELj16EdlifddEEvT3_20rocsparse_direction_NS_24const_host_device_scalarIT1_EES1_PKS1_PKT2_SA_S7_PKT4_PKT5_S5_PT6_21rocsparse_index_base_b
    .private_segment_fixed_size: 0
    .sgpr_count:     18
    .sgpr_spill_count: 0
    .symbol:         _ZN9rocsparseL18bsrxmvn_4x4_kernelILj128ELj16EdlifddEEvT3_20rocsparse_direction_NS_24const_host_device_scalarIT1_EES1_PKS1_PKT2_SA_S7_PKT4_PKT5_S5_PT6_21rocsparse_index_base_b.kd
    .uniform_work_group_size: 1
    .uses_dynamic_stack: false
    .vgpr_count:     112
    .vgpr_spill_count: 0
    .wavefront_size: 32
    .workgroup_processor_mode: 1
  - .args:
      - .offset:         0
        .size:           4
        .value_kind:     by_value
      - .offset:         4
        .size:           4
        .value_kind:     by_value
      - .offset:         8
        .size:           8
        .value_kind:     by_value
      - .offset:         16
        .size:           4
        .value_kind:     by_value
      - .actual_access:  read_only
        .address_space:  global
        .offset:         24
        .size:           8
        .value_kind:     global_buffer
      - .actual_access:  read_only
        .address_space:  global
        .offset:         32
        .size:           8
        .value_kind:     global_buffer
      - .actual_access:  read_only
        .address_space:  global
        .offset:         40
        .size:           8
        .value_kind:     global_buffer
      - .actual_access:  read_only
        .address_space:  global
        .offset:         48
        .size:           8
        .value_kind:     global_buffer
      - .actual_access:  read_only
        .address_space:  global
        .offset:         56
        .size:           8
        .value_kind:     global_buffer
      - .actual_access:  read_only
        .address_space:  global
        .offset:         64
        .size:           8
        .value_kind:     global_buffer
      - .offset:         72
        .size:           8
        .value_kind:     by_value
      - .address_space:  global
        .offset:         80
        .size:           8
        .value_kind:     global_buffer
      - .offset:         88
        .size:           4
        .value_kind:     by_value
      - .offset:         92
        .size:           1
        .value_kind:     by_value
    .group_segment_fixed_size: 0
    .kernarg_segment_align: 8
    .kernarg_segment_size: 96
    .language:       OpenCL C
    .language_version:
      - 2
      - 0
    .max_flat_workgroup_size: 128
    .name:           _ZN9rocsparseL18bsrxmvn_4x4_kernelILj128ELj32EdlifddEEvT3_20rocsparse_direction_NS_24const_host_device_scalarIT1_EES1_PKS1_PKT2_SA_S7_PKT4_PKT5_S5_PT6_21rocsparse_index_base_b
    .private_segment_fixed_size: 0
    .sgpr_count:     18
    .sgpr_spill_count: 0
    .symbol:         _ZN9rocsparseL18bsrxmvn_4x4_kernelILj128ELj32EdlifddEEvT3_20rocsparse_direction_NS_24const_host_device_scalarIT1_EES1_PKS1_PKT2_SA_S7_PKT4_PKT5_S5_PT6_21rocsparse_index_base_b.kd
    .uniform_work_group_size: 1
    .uses_dynamic_stack: false
    .vgpr_count:     112
    .vgpr_spill_count: 0
    .wavefront_size: 32
    .workgroup_processor_mode: 1
  - .args:
      - .offset:         0
        .size:           4
        .value_kind:     by_value
      - .offset:         4
        .size:           4
        .value_kind:     by_value
      - .offset:         8
        .size:           8
        .value_kind:     by_value
      - .offset:         16
        .size:           4
        .value_kind:     by_value
      - .actual_access:  read_only
        .address_space:  global
        .offset:         24
        .size:           8
        .value_kind:     global_buffer
      - .actual_access:  read_only
        .address_space:  global
        .offset:         32
        .size:           8
        .value_kind:     global_buffer
      - .actual_access:  read_only
        .address_space:  global
        .offset:         40
        .size:           8
        .value_kind:     global_buffer
      - .actual_access:  read_only
        .address_space:  global
        .offset:         48
        .size:           8
        .value_kind:     global_buffer
      - .actual_access:  read_only
        .address_space:  global
        .offset:         56
        .size:           8
        .value_kind:     global_buffer
      - .actual_access:  read_only
        .address_space:  global
        .offset:         64
        .size:           8
        .value_kind:     global_buffer
      - .offset:         72
        .size:           8
        .value_kind:     by_value
      - .address_space:  global
        .offset:         80
        .size:           8
        .value_kind:     global_buffer
      - .offset:         88
        .size:           4
        .value_kind:     by_value
      - .offset:         92
        .size:           1
        .value_kind:     by_value
    .group_segment_fixed_size: 0
    .kernarg_segment_align: 8
    .kernarg_segment_size: 96
    .language:       OpenCL C
    .language_version:
      - 2
      - 0
    .max_flat_workgroup_size: 128
    .name:           _ZN9rocsparseL18bsrxmvn_4x4_kernelILj128ELj64EdlifddEEvT3_20rocsparse_direction_NS_24const_host_device_scalarIT1_EES1_PKS1_PKT2_SA_S7_PKT4_PKT5_S5_PT6_21rocsparse_index_base_b
    .private_segment_fixed_size: 0
    .sgpr_count:     18
    .sgpr_spill_count: 0
    .symbol:         _ZN9rocsparseL18bsrxmvn_4x4_kernelILj128ELj64EdlifddEEvT3_20rocsparse_direction_NS_24const_host_device_scalarIT1_EES1_PKS1_PKT2_SA_S7_PKT4_PKT5_S5_PT6_21rocsparse_index_base_b.kd
    .uniform_work_group_size: 1
    .uses_dynamic_stack: false
    .vgpr_count:     112
    .vgpr_spill_count: 0
    .wavefront_size: 32
    .workgroup_processor_mode: 1
  - .args:
      - .offset:         0
        .size:           8
        .value_kind:     by_value
      - .offset:         8
        .size:           4
        .value_kind:     by_value
      - .offset:         16
        .size:           8
        .value_kind:     by_value
      - .offset:         24
        .size:           8
        .value_kind:     by_value
      - .actual_access:  read_only
        .address_space:  global
        .offset:         32
        .size:           8
        .value_kind:     global_buffer
      - .actual_access:  read_only
        .address_space:  global
        .offset:         40
        .size:           8
        .value_kind:     global_buffer
      - .actual_access:  read_only
        .address_space:  global
        .offset:         48
        .size:           8
        .value_kind:     global_buffer
      - .actual_access:  read_only
        .address_space:  global
        .offset:         56
        .size:           8
        .value_kind:     global_buffer
      - .actual_access:  read_only
        .address_space:  global
        .offset:         64
        .size:           8
        .value_kind:     global_buffer
      - .actual_access:  read_only
        .address_space:  global
        .offset:         72
        .size:           8
        .value_kind:     global_buffer
      - .offset:         80
        .size:           8
        .value_kind:     by_value
      - .address_space:  global
        .offset:         88
        .size:           8
        .value_kind:     global_buffer
      - .offset:         96
        .size:           4
        .value_kind:     by_value
      - .offset:         100
        .size:           1
        .value_kind:     by_value
    .group_segment_fixed_size: 0
    .kernarg_segment_align: 8
    .kernarg_segment_size: 104
    .language:       OpenCL C
    .language_version:
      - 2
      - 0
    .max_flat_workgroup_size: 128
    .name:           _ZN9rocsparseL18bsrxmvn_4x4_kernelILj128ELj4EdllfddEEvT3_20rocsparse_direction_NS_24const_host_device_scalarIT1_EES1_PKS1_PKT2_SA_S7_PKT4_PKT5_S5_PT6_21rocsparse_index_base_b
    .private_segment_fixed_size: 0
    .sgpr_count:     18
    .sgpr_spill_count: 0
    .symbol:         _ZN9rocsparseL18bsrxmvn_4x4_kernelILj128ELj4EdllfddEEvT3_20rocsparse_direction_NS_24const_host_device_scalarIT1_EES1_PKS1_PKT2_SA_S7_PKT4_PKT5_S5_PT6_21rocsparse_index_base_b.kd
    .uniform_work_group_size: 1
    .uses_dynamic_stack: false
    .vgpr_count:     113
    .vgpr_spill_count: 0
    .wavefront_size: 32
    .workgroup_processor_mode: 1
  - .args:
      - .offset:         0
        .size:           8
        .value_kind:     by_value
      - .offset:         8
        .size:           4
        .value_kind:     by_value
      - .offset:         16
        .size:           8
        .value_kind:     by_value
      - .offset:         24
        .size:           8
        .value_kind:     by_value
      - .actual_access:  read_only
        .address_space:  global
        .offset:         32
        .size:           8
        .value_kind:     global_buffer
      - .actual_access:  read_only
        .address_space:  global
        .offset:         40
        .size:           8
        .value_kind:     global_buffer
      - .actual_access:  read_only
        .address_space:  global
        .offset:         48
        .size:           8
        .value_kind:     global_buffer
      - .actual_access:  read_only
        .address_space:  global
        .offset:         56
        .size:           8
        .value_kind:     global_buffer
      - .actual_access:  read_only
        .address_space:  global
        .offset:         64
        .size:           8
        .value_kind:     global_buffer
      - .actual_access:  read_only
        .address_space:  global
        .offset:         72
        .size:           8
        .value_kind:     global_buffer
      - .offset:         80
        .size:           8
        .value_kind:     by_value
      - .address_space:  global
        .offset:         88
        .size:           8
        .value_kind:     global_buffer
      - .offset:         96
        .size:           4
        .value_kind:     by_value
      - .offset:         100
        .size:           1
        .value_kind:     by_value
    .group_segment_fixed_size: 0
    .kernarg_segment_align: 8
    .kernarg_segment_size: 104
    .language:       OpenCL C
    .language_version:
      - 2
      - 0
    .max_flat_workgroup_size: 128
    .name:           _ZN9rocsparseL18bsrxmvn_4x4_kernelILj128ELj8EdllfddEEvT3_20rocsparse_direction_NS_24const_host_device_scalarIT1_EES1_PKS1_PKT2_SA_S7_PKT4_PKT5_S5_PT6_21rocsparse_index_base_b
    .private_segment_fixed_size: 0
    .sgpr_count:     18
    .sgpr_spill_count: 0
    .symbol:         _ZN9rocsparseL18bsrxmvn_4x4_kernelILj128ELj8EdllfddEEvT3_20rocsparse_direction_NS_24const_host_device_scalarIT1_EES1_PKS1_PKT2_SA_S7_PKT4_PKT5_S5_PT6_21rocsparse_index_base_b.kd
    .uniform_work_group_size: 1
    .uses_dynamic_stack: false
    .vgpr_count:     113
    .vgpr_spill_count: 0
    .wavefront_size: 32
    .workgroup_processor_mode: 1
  - .args:
      - .offset:         0
        .size:           8
        .value_kind:     by_value
      - .offset:         8
        .size:           4
        .value_kind:     by_value
      - .offset:         16
        .size:           8
        .value_kind:     by_value
      - .offset:         24
        .size:           8
        .value_kind:     by_value
      - .actual_access:  read_only
        .address_space:  global
        .offset:         32
        .size:           8
        .value_kind:     global_buffer
      - .actual_access:  read_only
        .address_space:  global
        .offset:         40
        .size:           8
        .value_kind:     global_buffer
      - .actual_access:  read_only
        .address_space:  global
        .offset:         48
        .size:           8
        .value_kind:     global_buffer
      - .actual_access:  read_only
        .address_space:  global
        .offset:         56
        .size:           8
        .value_kind:     global_buffer
      - .actual_access:  read_only
        .address_space:  global
        .offset:         64
        .size:           8
        .value_kind:     global_buffer
      - .actual_access:  read_only
        .address_space:  global
        .offset:         72
        .size:           8
        .value_kind:     global_buffer
      - .offset:         80
        .size:           8
        .value_kind:     by_value
      - .address_space:  global
        .offset:         88
        .size:           8
        .value_kind:     global_buffer
      - .offset:         96
        .size:           4
        .value_kind:     by_value
      - .offset:         100
        .size:           1
        .value_kind:     by_value
    .group_segment_fixed_size: 0
    .kernarg_segment_align: 8
    .kernarg_segment_size: 104
    .language:       OpenCL C
    .language_version:
      - 2
      - 0
    .max_flat_workgroup_size: 128
    .name:           _ZN9rocsparseL18bsrxmvn_4x4_kernelILj128ELj16EdllfddEEvT3_20rocsparse_direction_NS_24const_host_device_scalarIT1_EES1_PKS1_PKT2_SA_S7_PKT4_PKT5_S5_PT6_21rocsparse_index_base_b
    .private_segment_fixed_size: 0
    .sgpr_count:     18
    .sgpr_spill_count: 0
    .symbol:         _ZN9rocsparseL18bsrxmvn_4x4_kernelILj128ELj16EdllfddEEvT3_20rocsparse_direction_NS_24const_host_device_scalarIT1_EES1_PKS1_PKT2_SA_S7_PKT4_PKT5_S5_PT6_21rocsparse_index_base_b.kd
    .uniform_work_group_size: 1
    .uses_dynamic_stack: false
    .vgpr_count:     113
    .vgpr_spill_count: 0
    .wavefront_size: 32
    .workgroup_processor_mode: 1
  - .args:
      - .offset:         0
        .size:           8
        .value_kind:     by_value
      - .offset:         8
        .size:           4
        .value_kind:     by_value
      - .offset:         16
        .size:           8
        .value_kind:     by_value
      - .offset:         24
        .size:           8
        .value_kind:     by_value
      - .actual_access:  read_only
        .address_space:  global
        .offset:         32
        .size:           8
        .value_kind:     global_buffer
      - .actual_access:  read_only
        .address_space:  global
        .offset:         40
        .size:           8
        .value_kind:     global_buffer
      - .actual_access:  read_only
        .address_space:  global
        .offset:         48
        .size:           8
        .value_kind:     global_buffer
      - .actual_access:  read_only
        .address_space:  global
        .offset:         56
        .size:           8
        .value_kind:     global_buffer
      - .actual_access:  read_only
        .address_space:  global
        .offset:         64
        .size:           8
        .value_kind:     global_buffer
      - .actual_access:  read_only
        .address_space:  global
        .offset:         72
        .size:           8
        .value_kind:     global_buffer
      - .offset:         80
        .size:           8
        .value_kind:     by_value
      - .address_space:  global
        .offset:         88
        .size:           8
        .value_kind:     global_buffer
      - .offset:         96
        .size:           4
        .value_kind:     by_value
      - .offset:         100
        .size:           1
        .value_kind:     by_value
    .group_segment_fixed_size: 0
    .kernarg_segment_align: 8
    .kernarg_segment_size: 104
    .language:       OpenCL C
    .language_version:
      - 2
      - 0
    .max_flat_workgroup_size: 128
    .name:           _ZN9rocsparseL18bsrxmvn_4x4_kernelILj128ELj32EdllfddEEvT3_20rocsparse_direction_NS_24const_host_device_scalarIT1_EES1_PKS1_PKT2_SA_S7_PKT4_PKT5_S5_PT6_21rocsparse_index_base_b
    .private_segment_fixed_size: 0
    .sgpr_count:     18
    .sgpr_spill_count: 0
    .symbol:         _ZN9rocsparseL18bsrxmvn_4x4_kernelILj128ELj32EdllfddEEvT3_20rocsparse_direction_NS_24const_host_device_scalarIT1_EES1_PKS1_PKT2_SA_S7_PKT4_PKT5_S5_PT6_21rocsparse_index_base_b.kd
    .uniform_work_group_size: 1
    .uses_dynamic_stack: false
    .vgpr_count:     113
    .vgpr_spill_count: 0
    .wavefront_size: 32
    .workgroup_processor_mode: 1
  - .args:
      - .offset:         0
        .size:           8
        .value_kind:     by_value
      - .offset:         8
        .size:           4
        .value_kind:     by_value
      - .offset:         16
        .size:           8
        .value_kind:     by_value
      - .offset:         24
        .size:           8
        .value_kind:     by_value
      - .actual_access:  read_only
        .address_space:  global
        .offset:         32
        .size:           8
        .value_kind:     global_buffer
      - .actual_access:  read_only
        .address_space:  global
        .offset:         40
        .size:           8
        .value_kind:     global_buffer
      - .actual_access:  read_only
        .address_space:  global
        .offset:         48
        .size:           8
        .value_kind:     global_buffer
      - .actual_access:  read_only
        .address_space:  global
        .offset:         56
        .size:           8
        .value_kind:     global_buffer
      - .actual_access:  read_only
        .address_space:  global
        .offset:         64
        .size:           8
        .value_kind:     global_buffer
      - .actual_access:  read_only
        .address_space:  global
        .offset:         72
        .size:           8
        .value_kind:     global_buffer
      - .offset:         80
        .size:           8
        .value_kind:     by_value
      - .address_space:  global
        .offset:         88
        .size:           8
        .value_kind:     global_buffer
      - .offset:         96
        .size:           4
        .value_kind:     by_value
      - .offset:         100
        .size:           1
        .value_kind:     by_value
    .group_segment_fixed_size: 0
    .kernarg_segment_align: 8
    .kernarg_segment_size: 104
    .language:       OpenCL C
    .language_version:
      - 2
      - 0
    .max_flat_workgroup_size: 128
    .name:           _ZN9rocsparseL18bsrxmvn_4x4_kernelILj128ELj64EdllfddEEvT3_20rocsparse_direction_NS_24const_host_device_scalarIT1_EES1_PKS1_PKT2_SA_S7_PKT4_PKT5_S5_PT6_21rocsparse_index_base_b
    .private_segment_fixed_size: 0
    .sgpr_count:     18
    .sgpr_spill_count: 0
    .symbol:         _ZN9rocsparseL18bsrxmvn_4x4_kernelILj128ELj64EdllfddEEvT3_20rocsparse_direction_NS_24const_host_device_scalarIT1_EES1_PKS1_PKT2_SA_S7_PKT4_PKT5_S5_PT6_21rocsparse_index_base_b.kd
    .uniform_work_group_size: 1
    .uses_dynamic_stack: false
    .vgpr_count:     113
    .vgpr_spill_count: 0
    .wavefront_size: 32
    .workgroup_processor_mode: 1
  - .args:
      - .offset:         0
        .size:           4
        .value_kind:     by_value
      - .offset:         4
        .size:           4
        .value_kind:     by_value
      - .offset:         8
        .size:           16
        .value_kind:     by_value
      - .offset:         24
        .size:           4
        .value_kind:     by_value
      - .actual_access:  read_only
        .address_space:  global
        .offset:         32
        .size:           8
        .value_kind:     global_buffer
      - .actual_access:  read_only
        .address_space:  global
        .offset:         40
        .size:           8
        .value_kind:     global_buffer
      - .actual_access:  read_only
        .address_space:  global
        .offset:         48
        .size:           8
        .value_kind:     global_buffer
      - .actual_access:  read_only
        .address_space:  global
        .offset:         56
        .size:           8
        .value_kind:     global_buffer
      - .actual_access:  read_only
        .address_space:  global
        .offset:         64
        .size:           8
        .value_kind:     global_buffer
      - .actual_access:  read_only
        .address_space:  global
        .offset:         72
        .size:           8
        .value_kind:     global_buffer
      - .offset:         80
        .size:           16
        .value_kind:     by_value
      - .address_space:  global
        .offset:         96
        .size:           8
        .value_kind:     global_buffer
      - .offset:         104
        .size:           4
        .value_kind:     by_value
      - .offset:         108
        .size:           1
        .value_kind:     by_value
    .group_segment_fixed_size: 2048
    .kernarg_segment_align: 8
    .kernarg_segment_size: 112
    .language:       OpenCL C
    .language_version:
      - 2
      - 0
    .max_flat_workgroup_size: 128
    .name:           _ZN9rocsparseL18bsrxmvn_4x4_kernelILj128ELj4E21rocsparse_complex_numIdEiiS1_IfES2_S2_EEvT3_20rocsparse_direction_NS_24const_host_device_scalarIT1_EES4_PKS4_PKT2_SD_SA_PKT4_PKT5_S8_PT6_21rocsparse_index_base_b
    .private_segment_fixed_size: 0
    .sgpr_count:     20
    .sgpr_spill_count: 0
    .symbol:         _ZN9rocsparseL18bsrxmvn_4x4_kernelILj128ELj4E21rocsparse_complex_numIdEiiS1_IfES2_S2_EEvT3_20rocsparse_direction_NS_24const_host_device_scalarIT1_EES4_PKS4_PKT2_SD_SA_PKT4_PKT5_S8_PT6_21rocsparse_index_base_b.kd
    .uniform_work_group_size: 1
    .uses_dynamic_stack: false
    .vgpr_count:     129
    .vgpr_spill_count: 0
    .wavefront_size: 32
    .workgroup_processor_mode: 1
  - .args:
      - .offset:         0
        .size:           4
        .value_kind:     by_value
      - .offset:         4
        .size:           4
        .value_kind:     by_value
      - .offset:         8
        .size:           16
        .value_kind:     by_value
      - .offset:         24
        .size:           4
        .value_kind:     by_value
      - .actual_access:  read_only
        .address_space:  global
        .offset:         32
        .size:           8
        .value_kind:     global_buffer
      - .actual_access:  read_only
        .address_space:  global
        .offset:         40
        .size:           8
        .value_kind:     global_buffer
      - .actual_access:  read_only
        .address_space:  global
        .offset:         48
        .size:           8
        .value_kind:     global_buffer
      - .actual_access:  read_only
        .address_space:  global
        .offset:         56
        .size:           8
        .value_kind:     global_buffer
      - .actual_access:  read_only
        .address_space:  global
        .offset:         64
        .size:           8
        .value_kind:     global_buffer
      - .actual_access:  read_only
        .address_space:  global
        .offset:         72
        .size:           8
        .value_kind:     global_buffer
      - .offset:         80
        .size:           16
        .value_kind:     by_value
      - .address_space:  global
        .offset:         96
        .size:           8
        .value_kind:     global_buffer
      - .offset:         104
        .size:           4
        .value_kind:     by_value
      - .offset:         108
        .size:           1
        .value_kind:     by_value
    .group_segment_fixed_size: 2048
    .kernarg_segment_align: 8
    .kernarg_segment_size: 112
    .language:       OpenCL C
    .language_version:
      - 2
      - 0
    .max_flat_workgroup_size: 128
    .name:           _ZN9rocsparseL18bsrxmvn_4x4_kernelILj128ELj8E21rocsparse_complex_numIdEiiS1_IfES2_S2_EEvT3_20rocsparse_direction_NS_24const_host_device_scalarIT1_EES4_PKS4_PKT2_SD_SA_PKT4_PKT5_S8_PT6_21rocsparse_index_base_b
    .private_segment_fixed_size: 0
    .sgpr_count:     20
    .sgpr_spill_count: 0
    .symbol:         _ZN9rocsparseL18bsrxmvn_4x4_kernelILj128ELj8E21rocsparse_complex_numIdEiiS1_IfES2_S2_EEvT3_20rocsparse_direction_NS_24const_host_device_scalarIT1_EES4_PKS4_PKT2_SD_SA_PKT4_PKT5_S8_PT6_21rocsparse_index_base_b.kd
    .uniform_work_group_size: 1
    .uses_dynamic_stack: false
    .vgpr_count:     129
    .vgpr_spill_count: 0
    .wavefront_size: 32
    .workgroup_processor_mode: 1
  - .args:
      - .offset:         0
        .size:           4
        .value_kind:     by_value
      - .offset:         4
        .size:           4
        .value_kind:     by_value
      - .offset:         8
        .size:           16
        .value_kind:     by_value
      - .offset:         24
        .size:           4
        .value_kind:     by_value
      - .actual_access:  read_only
        .address_space:  global
        .offset:         32
        .size:           8
        .value_kind:     global_buffer
      - .actual_access:  read_only
        .address_space:  global
        .offset:         40
        .size:           8
        .value_kind:     global_buffer
      - .actual_access:  read_only
        .address_space:  global
        .offset:         48
        .size:           8
        .value_kind:     global_buffer
      - .actual_access:  read_only
        .address_space:  global
        .offset:         56
        .size:           8
        .value_kind:     global_buffer
      - .actual_access:  read_only
        .address_space:  global
        .offset:         64
        .size:           8
        .value_kind:     global_buffer
      - .actual_access:  read_only
        .address_space:  global
        .offset:         72
        .size:           8
        .value_kind:     global_buffer
      - .offset:         80
        .size:           16
        .value_kind:     by_value
      - .address_space:  global
        .offset:         96
        .size:           8
        .value_kind:     global_buffer
      - .offset:         104
        .size:           4
        .value_kind:     by_value
      - .offset:         108
        .size:           1
        .value_kind:     by_value
    .group_segment_fixed_size: 2048
    .kernarg_segment_align: 8
    .kernarg_segment_size: 112
    .language:       OpenCL C
    .language_version:
      - 2
      - 0
    .max_flat_workgroup_size: 128
    .name:           _ZN9rocsparseL18bsrxmvn_4x4_kernelILj128ELj16E21rocsparse_complex_numIdEiiS1_IfES2_S2_EEvT3_20rocsparse_direction_NS_24const_host_device_scalarIT1_EES4_PKS4_PKT2_SD_SA_PKT4_PKT5_S8_PT6_21rocsparse_index_base_b
    .private_segment_fixed_size: 0
    .sgpr_count:     20
    .sgpr_spill_count: 0
    .symbol:         _ZN9rocsparseL18bsrxmvn_4x4_kernelILj128ELj16E21rocsparse_complex_numIdEiiS1_IfES2_S2_EEvT3_20rocsparse_direction_NS_24const_host_device_scalarIT1_EES4_PKS4_PKT2_SD_SA_PKT4_PKT5_S8_PT6_21rocsparse_index_base_b.kd
    .uniform_work_group_size: 1
    .uses_dynamic_stack: false
    .vgpr_count:     146
    .vgpr_spill_count: 0
    .wavefront_size: 32
    .workgroup_processor_mode: 1
  - .args:
      - .offset:         0
        .size:           4
        .value_kind:     by_value
      - .offset:         4
        .size:           4
        .value_kind:     by_value
      - .offset:         8
        .size:           16
        .value_kind:     by_value
      - .offset:         24
        .size:           4
        .value_kind:     by_value
      - .actual_access:  read_only
        .address_space:  global
        .offset:         32
        .size:           8
        .value_kind:     global_buffer
      - .actual_access:  read_only
        .address_space:  global
        .offset:         40
        .size:           8
        .value_kind:     global_buffer
      - .actual_access:  read_only
        .address_space:  global
        .offset:         48
        .size:           8
        .value_kind:     global_buffer
      - .actual_access:  read_only
        .address_space:  global
        .offset:         56
        .size:           8
        .value_kind:     global_buffer
      - .actual_access:  read_only
        .address_space:  global
        .offset:         64
        .size:           8
        .value_kind:     global_buffer
      - .actual_access:  read_only
        .address_space:  global
        .offset:         72
        .size:           8
        .value_kind:     global_buffer
      - .offset:         80
        .size:           16
        .value_kind:     by_value
      - .address_space:  global
        .offset:         96
        .size:           8
        .value_kind:     global_buffer
      - .offset:         104
        .size:           4
        .value_kind:     by_value
      - .offset:         108
        .size:           1
        .value_kind:     by_value
    .group_segment_fixed_size: 2048
    .kernarg_segment_align: 8
    .kernarg_segment_size: 112
    .language:       OpenCL C
    .language_version:
      - 2
      - 0
    .max_flat_workgroup_size: 128
    .name:           _ZN9rocsparseL18bsrxmvn_4x4_kernelILj128ELj32E21rocsparse_complex_numIdEiiS1_IfES2_S2_EEvT3_20rocsparse_direction_NS_24const_host_device_scalarIT1_EES4_PKS4_PKT2_SD_SA_PKT4_PKT5_S8_PT6_21rocsparse_index_base_b
    .private_segment_fixed_size: 0
    .sgpr_count:     20
    .sgpr_spill_count: 0
    .symbol:         _ZN9rocsparseL18bsrxmvn_4x4_kernelILj128ELj32E21rocsparse_complex_numIdEiiS1_IfES2_S2_EEvT3_20rocsparse_direction_NS_24const_host_device_scalarIT1_EES4_PKS4_PKT2_SD_SA_PKT4_PKT5_S8_PT6_21rocsparse_index_base_b.kd
    .uniform_work_group_size: 1
    .uses_dynamic_stack: false
    .vgpr_count:     142
    .vgpr_spill_count: 0
    .wavefront_size: 32
    .workgroup_processor_mode: 1
  - .args:
      - .offset:         0
        .size:           4
        .value_kind:     by_value
      - .offset:         4
        .size:           4
        .value_kind:     by_value
      - .offset:         8
        .size:           16
        .value_kind:     by_value
      - .offset:         24
        .size:           4
        .value_kind:     by_value
      - .actual_access:  read_only
        .address_space:  global
        .offset:         32
        .size:           8
        .value_kind:     global_buffer
      - .actual_access:  read_only
        .address_space:  global
        .offset:         40
        .size:           8
        .value_kind:     global_buffer
      - .actual_access:  read_only
        .address_space:  global
        .offset:         48
        .size:           8
        .value_kind:     global_buffer
      - .actual_access:  read_only
        .address_space:  global
        .offset:         56
        .size:           8
        .value_kind:     global_buffer
      - .actual_access:  read_only
        .address_space:  global
        .offset:         64
        .size:           8
        .value_kind:     global_buffer
      - .actual_access:  read_only
        .address_space:  global
        .offset:         72
        .size:           8
        .value_kind:     global_buffer
      - .offset:         80
        .size:           16
        .value_kind:     by_value
      - .address_space:  global
        .offset:         96
        .size:           8
        .value_kind:     global_buffer
      - .offset:         104
        .size:           4
        .value_kind:     by_value
      - .offset:         108
        .size:           1
        .value_kind:     by_value
    .group_segment_fixed_size: 2048
    .kernarg_segment_align: 8
    .kernarg_segment_size: 112
    .language:       OpenCL C
    .language_version:
      - 2
      - 0
    .max_flat_workgroup_size: 128
    .name:           _ZN9rocsparseL18bsrxmvn_4x4_kernelILj128ELj64E21rocsparse_complex_numIdEiiS1_IfES2_S2_EEvT3_20rocsparse_direction_NS_24const_host_device_scalarIT1_EES4_PKS4_PKT2_SD_SA_PKT4_PKT5_S8_PT6_21rocsparse_index_base_b
    .private_segment_fixed_size: 0
    .sgpr_count:     20
    .sgpr_spill_count: 0
    .symbol:         _ZN9rocsparseL18bsrxmvn_4x4_kernelILj128ELj64E21rocsparse_complex_numIdEiiS1_IfES2_S2_EEvT3_20rocsparse_direction_NS_24const_host_device_scalarIT1_EES4_PKS4_PKT2_SD_SA_PKT4_PKT5_S8_PT6_21rocsparse_index_base_b.kd
    .uniform_work_group_size: 1
    .uses_dynamic_stack: false
    .vgpr_count:     143
    .vgpr_spill_count: 0
    .wavefront_size: 32
    .workgroup_processor_mode: 1
  - .args:
      - .offset:         0
        .size:           4
        .value_kind:     by_value
      - .offset:         4
        .size:           4
        .value_kind:     by_value
      - .offset:         8
        .size:           16
        .value_kind:     by_value
      - .offset:         24
        .size:           4
        .value_kind:     by_value
      - .actual_access:  read_only
        .address_space:  global
        .offset:         32
        .size:           8
        .value_kind:     global_buffer
      - .actual_access:  read_only
        .address_space:  global
        .offset:         40
        .size:           8
        .value_kind:     global_buffer
      - .actual_access:  read_only
        .address_space:  global
        .offset:         48
        .size:           8
        .value_kind:     global_buffer
      - .actual_access:  read_only
        .address_space:  global
        .offset:         56
        .size:           8
        .value_kind:     global_buffer
      - .actual_access:  read_only
        .address_space:  global
        .offset:         64
        .size:           8
        .value_kind:     global_buffer
      - .actual_access:  read_only
        .address_space:  global
        .offset:         72
        .size:           8
        .value_kind:     global_buffer
      - .offset:         80
        .size:           16
        .value_kind:     by_value
      - .address_space:  global
        .offset:         96
        .size:           8
        .value_kind:     global_buffer
      - .offset:         104
        .size:           4
        .value_kind:     by_value
      - .offset:         108
        .size:           1
        .value_kind:     by_value
    .group_segment_fixed_size: 2048
    .kernarg_segment_align: 8
    .kernarg_segment_size: 112
    .language:       OpenCL C
    .language_version:
      - 2
      - 0
    .max_flat_workgroup_size: 128
    .name:           _ZN9rocsparseL18bsrxmvn_4x4_kernelILj128ELj4E21rocsparse_complex_numIdEliS1_IfES2_S2_EEvT3_20rocsparse_direction_NS_24const_host_device_scalarIT1_EES4_PKS4_PKT2_SD_SA_PKT4_PKT5_S8_PT6_21rocsparse_index_base_b
    .private_segment_fixed_size: 0
    .sgpr_count:     20
    .sgpr_spill_count: 0
    .symbol:         _ZN9rocsparseL18bsrxmvn_4x4_kernelILj128ELj4E21rocsparse_complex_numIdEliS1_IfES2_S2_EEvT3_20rocsparse_direction_NS_24const_host_device_scalarIT1_EES4_PKS4_PKT2_SD_SA_PKT4_PKT5_S8_PT6_21rocsparse_index_base_b.kd
    .uniform_work_group_size: 1
    .uses_dynamic_stack: false
    .vgpr_count:     135
    .vgpr_spill_count: 0
    .wavefront_size: 32
    .workgroup_processor_mode: 1
  - .args:
      - .offset:         0
        .size:           4
        .value_kind:     by_value
      - .offset:         4
        .size:           4
        .value_kind:     by_value
      - .offset:         8
        .size:           16
        .value_kind:     by_value
      - .offset:         24
        .size:           4
        .value_kind:     by_value
      - .actual_access:  read_only
        .address_space:  global
        .offset:         32
        .size:           8
        .value_kind:     global_buffer
      - .actual_access:  read_only
        .address_space:  global
        .offset:         40
        .size:           8
        .value_kind:     global_buffer
      - .actual_access:  read_only
        .address_space:  global
        .offset:         48
        .size:           8
        .value_kind:     global_buffer
      - .actual_access:  read_only
        .address_space:  global
        .offset:         56
        .size:           8
        .value_kind:     global_buffer
      - .actual_access:  read_only
        .address_space:  global
        .offset:         64
        .size:           8
        .value_kind:     global_buffer
      - .actual_access:  read_only
        .address_space:  global
        .offset:         72
        .size:           8
        .value_kind:     global_buffer
      - .offset:         80
        .size:           16
        .value_kind:     by_value
      - .address_space:  global
        .offset:         96
        .size:           8
        .value_kind:     global_buffer
      - .offset:         104
        .size:           4
        .value_kind:     by_value
      - .offset:         108
        .size:           1
        .value_kind:     by_value
    .group_segment_fixed_size: 2048
    .kernarg_segment_align: 8
    .kernarg_segment_size: 112
    .language:       OpenCL C
    .language_version:
      - 2
      - 0
    .max_flat_workgroup_size: 128
    .name:           _ZN9rocsparseL18bsrxmvn_4x4_kernelILj128ELj8E21rocsparse_complex_numIdEliS1_IfES2_S2_EEvT3_20rocsparse_direction_NS_24const_host_device_scalarIT1_EES4_PKS4_PKT2_SD_SA_PKT4_PKT5_S8_PT6_21rocsparse_index_base_b
    .private_segment_fixed_size: 0
    .sgpr_count:     20
    .sgpr_spill_count: 0
    .symbol:         _ZN9rocsparseL18bsrxmvn_4x4_kernelILj128ELj8E21rocsparse_complex_numIdEliS1_IfES2_S2_EEvT3_20rocsparse_direction_NS_24const_host_device_scalarIT1_EES4_PKS4_PKT2_SD_SA_PKT4_PKT5_S8_PT6_21rocsparse_index_base_b.kd
    .uniform_work_group_size: 1
    .uses_dynamic_stack: false
    .vgpr_count:     135
    .vgpr_spill_count: 0
    .wavefront_size: 32
    .workgroup_processor_mode: 1
  - .args:
      - .offset:         0
        .size:           4
        .value_kind:     by_value
      - .offset:         4
        .size:           4
        .value_kind:     by_value
      - .offset:         8
        .size:           16
        .value_kind:     by_value
      - .offset:         24
        .size:           4
        .value_kind:     by_value
      - .actual_access:  read_only
        .address_space:  global
        .offset:         32
        .size:           8
        .value_kind:     global_buffer
      - .actual_access:  read_only
        .address_space:  global
        .offset:         40
        .size:           8
        .value_kind:     global_buffer
      - .actual_access:  read_only
        .address_space:  global
        .offset:         48
        .size:           8
        .value_kind:     global_buffer
      - .actual_access:  read_only
        .address_space:  global
        .offset:         56
        .size:           8
        .value_kind:     global_buffer
      - .actual_access:  read_only
        .address_space:  global
        .offset:         64
        .size:           8
        .value_kind:     global_buffer
      - .actual_access:  read_only
        .address_space:  global
        .offset:         72
        .size:           8
        .value_kind:     global_buffer
      - .offset:         80
        .size:           16
        .value_kind:     by_value
      - .address_space:  global
        .offset:         96
        .size:           8
        .value_kind:     global_buffer
      - .offset:         104
        .size:           4
        .value_kind:     by_value
      - .offset:         108
        .size:           1
        .value_kind:     by_value
    .group_segment_fixed_size: 2048
    .kernarg_segment_align: 8
    .kernarg_segment_size: 112
    .language:       OpenCL C
    .language_version:
      - 2
      - 0
    .max_flat_workgroup_size: 128
    .name:           _ZN9rocsparseL18bsrxmvn_4x4_kernelILj128ELj16E21rocsparse_complex_numIdEliS1_IfES2_S2_EEvT3_20rocsparse_direction_NS_24const_host_device_scalarIT1_EES4_PKS4_PKT2_SD_SA_PKT4_PKT5_S8_PT6_21rocsparse_index_base_b
    .private_segment_fixed_size: 0
    .sgpr_count:     20
    .sgpr_spill_count: 0
    .symbol:         _ZN9rocsparseL18bsrxmvn_4x4_kernelILj128ELj16E21rocsparse_complex_numIdEliS1_IfES2_S2_EEvT3_20rocsparse_direction_NS_24const_host_device_scalarIT1_EES4_PKS4_PKT2_SD_SA_PKT4_PKT5_S8_PT6_21rocsparse_index_base_b.kd
    .uniform_work_group_size: 1
    .uses_dynamic_stack: false
    .vgpr_count:     137
    .vgpr_spill_count: 0
    .wavefront_size: 32
    .workgroup_processor_mode: 1
  - .args:
      - .offset:         0
        .size:           4
        .value_kind:     by_value
      - .offset:         4
        .size:           4
        .value_kind:     by_value
      - .offset:         8
        .size:           16
        .value_kind:     by_value
      - .offset:         24
        .size:           4
        .value_kind:     by_value
      - .actual_access:  read_only
        .address_space:  global
        .offset:         32
        .size:           8
        .value_kind:     global_buffer
      - .actual_access:  read_only
        .address_space:  global
        .offset:         40
        .size:           8
        .value_kind:     global_buffer
      - .actual_access:  read_only
        .address_space:  global
        .offset:         48
        .size:           8
        .value_kind:     global_buffer
      - .actual_access:  read_only
        .address_space:  global
        .offset:         56
        .size:           8
        .value_kind:     global_buffer
      - .actual_access:  read_only
        .address_space:  global
        .offset:         64
        .size:           8
        .value_kind:     global_buffer
      - .actual_access:  read_only
        .address_space:  global
        .offset:         72
        .size:           8
        .value_kind:     global_buffer
      - .offset:         80
        .size:           16
        .value_kind:     by_value
      - .address_space:  global
        .offset:         96
        .size:           8
        .value_kind:     global_buffer
      - .offset:         104
        .size:           4
        .value_kind:     by_value
      - .offset:         108
        .size:           1
        .value_kind:     by_value
    .group_segment_fixed_size: 2048
    .kernarg_segment_align: 8
    .kernarg_segment_size: 112
    .language:       OpenCL C
    .language_version:
      - 2
      - 0
    .max_flat_workgroup_size: 128
    .name:           _ZN9rocsparseL18bsrxmvn_4x4_kernelILj128ELj32E21rocsparse_complex_numIdEliS1_IfES2_S2_EEvT3_20rocsparse_direction_NS_24const_host_device_scalarIT1_EES4_PKS4_PKT2_SD_SA_PKT4_PKT5_S8_PT6_21rocsparse_index_base_b
    .private_segment_fixed_size: 0
    .sgpr_count:     20
    .sgpr_spill_count: 0
    .symbol:         _ZN9rocsparseL18bsrxmvn_4x4_kernelILj128ELj32E21rocsparse_complex_numIdEliS1_IfES2_S2_EEvT3_20rocsparse_direction_NS_24const_host_device_scalarIT1_EES4_PKS4_PKT2_SD_SA_PKT4_PKT5_S8_PT6_21rocsparse_index_base_b.kd
    .uniform_work_group_size: 1
    .uses_dynamic_stack: false
    .vgpr_count:     136
    .vgpr_spill_count: 0
    .wavefront_size: 32
    .workgroup_processor_mode: 1
  - .args:
      - .offset:         0
        .size:           4
        .value_kind:     by_value
      - .offset:         4
        .size:           4
        .value_kind:     by_value
      - .offset:         8
        .size:           16
        .value_kind:     by_value
      - .offset:         24
        .size:           4
        .value_kind:     by_value
      - .actual_access:  read_only
        .address_space:  global
        .offset:         32
        .size:           8
        .value_kind:     global_buffer
      - .actual_access:  read_only
        .address_space:  global
        .offset:         40
        .size:           8
        .value_kind:     global_buffer
      - .actual_access:  read_only
        .address_space:  global
        .offset:         48
        .size:           8
        .value_kind:     global_buffer
      - .actual_access:  read_only
        .address_space:  global
        .offset:         56
        .size:           8
        .value_kind:     global_buffer
      - .actual_access:  read_only
        .address_space:  global
        .offset:         64
        .size:           8
        .value_kind:     global_buffer
      - .actual_access:  read_only
        .address_space:  global
        .offset:         72
        .size:           8
        .value_kind:     global_buffer
      - .offset:         80
        .size:           16
        .value_kind:     by_value
      - .address_space:  global
        .offset:         96
        .size:           8
        .value_kind:     global_buffer
      - .offset:         104
        .size:           4
        .value_kind:     by_value
      - .offset:         108
        .size:           1
        .value_kind:     by_value
    .group_segment_fixed_size: 2048
    .kernarg_segment_align: 8
    .kernarg_segment_size: 112
    .language:       OpenCL C
    .language_version:
      - 2
      - 0
    .max_flat_workgroup_size: 128
    .name:           _ZN9rocsparseL18bsrxmvn_4x4_kernelILj128ELj64E21rocsparse_complex_numIdEliS1_IfES2_S2_EEvT3_20rocsparse_direction_NS_24const_host_device_scalarIT1_EES4_PKS4_PKT2_SD_SA_PKT4_PKT5_S8_PT6_21rocsparse_index_base_b
    .private_segment_fixed_size: 0
    .sgpr_count:     20
    .sgpr_spill_count: 0
    .symbol:         _ZN9rocsparseL18bsrxmvn_4x4_kernelILj128ELj64E21rocsparse_complex_numIdEliS1_IfES2_S2_EEvT3_20rocsparse_direction_NS_24const_host_device_scalarIT1_EES4_PKS4_PKT2_SD_SA_PKT4_PKT5_S8_PT6_21rocsparse_index_base_b.kd
    .uniform_work_group_size: 1
    .uses_dynamic_stack: false
    .vgpr_count:     137
    .vgpr_spill_count: 0
    .wavefront_size: 32
    .workgroup_processor_mode: 1
  - .args:
      - .offset:         0
        .size:           8
        .value_kind:     by_value
      - .offset:         8
        .size:           4
        .value_kind:     by_value
      - .offset:         16
        .size:           16
        .value_kind:     by_value
      - .offset:         32
        .size:           8
        .value_kind:     by_value
      - .actual_access:  read_only
        .address_space:  global
        .offset:         40
        .size:           8
        .value_kind:     global_buffer
      - .actual_access:  read_only
        .address_space:  global
        .offset:         48
        .size:           8
        .value_kind:     global_buffer
      - .actual_access:  read_only
        .address_space:  global
        .offset:         56
        .size:           8
        .value_kind:     global_buffer
      - .actual_access:  read_only
        .address_space:  global
        .offset:         64
        .size:           8
        .value_kind:     global_buffer
      - .actual_access:  read_only
        .address_space:  global
        .offset:         72
        .size:           8
        .value_kind:     global_buffer
      - .actual_access:  read_only
        .address_space:  global
        .offset:         80
        .size:           8
        .value_kind:     global_buffer
      - .offset:         88
        .size:           16
        .value_kind:     by_value
      - .address_space:  global
        .offset:         104
        .size:           8
        .value_kind:     global_buffer
      - .offset:         112
        .size:           4
        .value_kind:     by_value
      - .offset:         116
        .size:           1
        .value_kind:     by_value
    .group_segment_fixed_size: 2048
    .kernarg_segment_align: 8
    .kernarg_segment_size: 120
    .language:       OpenCL C
    .language_version:
      - 2
      - 0
    .max_flat_workgroup_size: 128
    .name:           _ZN9rocsparseL18bsrxmvn_4x4_kernelILj128ELj4E21rocsparse_complex_numIdEllS1_IfES2_S2_EEvT3_20rocsparse_direction_NS_24const_host_device_scalarIT1_EES4_PKS4_PKT2_SD_SA_PKT4_PKT5_S8_PT6_21rocsparse_index_base_b
    .private_segment_fixed_size: 0
    .sgpr_count:     20
    .sgpr_spill_count: 0
    .symbol:         _ZN9rocsparseL18bsrxmvn_4x4_kernelILj128ELj4E21rocsparse_complex_numIdEllS1_IfES2_S2_EEvT3_20rocsparse_direction_NS_24const_host_device_scalarIT1_EES4_PKS4_PKT2_SD_SA_PKT4_PKT5_S8_PT6_21rocsparse_index_base_b.kd
    .uniform_work_group_size: 1
    .uses_dynamic_stack: false
    .vgpr_count:     137
    .vgpr_spill_count: 0
    .wavefront_size: 32
    .workgroup_processor_mode: 1
  - .args:
      - .offset:         0
        .size:           8
        .value_kind:     by_value
      - .offset:         8
        .size:           4
        .value_kind:     by_value
      - .offset:         16
        .size:           16
        .value_kind:     by_value
      - .offset:         32
        .size:           8
        .value_kind:     by_value
      - .actual_access:  read_only
        .address_space:  global
        .offset:         40
        .size:           8
        .value_kind:     global_buffer
      - .actual_access:  read_only
        .address_space:  global
        .offset:         48
        .size:           8
        .value_kind:     global_buffer
      - .actual_access:  read_only
        .address_space:  global
        .offset:         56
        .size:           8
        .value_kind:     global_buffer
      - .actual_access:  read_only
        .address_space:  global
        .offset:         64
        .size:           8
        .value_kind:     global_buffer
      - .actual_access:  read_only
        .address_space:  global
        .offset:         72
        .size:           8
        .value_kind:     global_buffer
      - .actual_access:  read_only
        .address_space:  global
        .offset:         80
        .size:           8
        .value_kind:     global_buffer
      - .offset:         88
        .size:           16
        .value_kind:     by_value
      - .address_space:  global
        .offset:         104
        .size:           8
        .value_kind:     global_buffer
      - .offset:         112
        .size:           4
        .value_kind:     by_value
      - .offset:         116
        .size:           1
        .value_kind:     by_value
    .group_segment_fixed_size: 2048
    .kernarg_segment_align: 8
    .kernarg_segment_size: 120
    .language:       OpenCL C
    .language_version:
      - 2
      - 0
    .max_flat_workgroup_size: 128
    .name:           _ZN9rocsparseL18bsrxmvn_4x4_kernelILj128ELj8E21rocsparse_complex_numIdEllS1_IfES2_S2_EEvT3_20rocsparse_direction_NS_24const_host_device_scalarIT1_EES4_PKS4_PKT2_SD_SA_PKT4_PKT5_S8_PT6_21rocsparse_index_base_b
    .private_segment_fixed_size: 0
    .sgpr_count:     20
    .sgpr_spill_count: 0
    .symbol:         _ZN9rocsparseL18bsrxmvn_4x4_kernelILj128ELj8E21rocsparse_complex_numIdEllS1_IfES2_S2_EEvT3_20rocsparse_direction_NS_24const_host_device_scalarIT1_EES4_PKS4_PKT2_SD_SA_PKT4_PKT5_S8_PT6_21rocsparse_index_base_b.kd
    .uniform_work_group_size: 1
    .uses_dynamic_stack: false
    .vgpr_count:     137
    .vgpr_spill_count: 0
    .wavefront_size: 32
    .workgroup_processor_mode: 1
  - .args:
      - .offset:         0
        .size:           8
        .value_kind:     by_value
      - .offset:         8
        .size:           4
        .value_kind:     by_value
      - .offset:         16
        .size:           16
        .value_kind:     by_value
      - .offset:         32
        .size:           8
        .value_kind:     by_value
      - .actual_access:  read_only
        .address_space:  global
        .offset:         40
        .size:           8
        .value_kind:     global_buffer
      - .actual_access:  read_only
        .address_space:  global
        .offset:         48
        .size:           8
        .value_kind:     global_buffer
      - .actual_access:  read_only
        .address_space:  global
        .offset:         56
        .size:           8
        .value_kind:     global_buffer
      - .actual_access:  read_only
        .address_space:  global
        .offset:         64
        .size:           8
        .value_kind:     global_buffer
      - .actual_access:  read_only
        .address_space:  global
        .offset:         72
        .size:           8
        .value_kind:     global_buffer
      - .actual_access:  read_only
        .address_space:  global
        .offset:         80
        .size:           8
        .value_kind:     global_buffer
      - .offset:         88
        .size:           16
        .value_kind:     by_value
      - .address_space:  global
        .offset:         104
        .size:           8
        .value_kind:     global_buffer
      - .offset:         112
        .size:           4
        .value_kind:     by_value
      - .offset:         116
        .size:           1
        .value_kind:     by_value
    .group_segment_fixed_size: 2048
    .kernarg_segment_align: 8
    .kernarg_segment_size: 120
    .language:       OpenCL C
    .language_version:
      - 2
      - 0
    .max_flat_workgroup_size: 128
    .name:           _ZN9rocsparseL18bsrxmvn_4x4_kernelILj128ELj16E21rocsparse_complex_numIdEllS1_IfES2_S2_EEvT3_20rocsparse_direction_NS_24const_host_device_scalarIT1_EES4_PKS4_PKT2_SD_SA_PKT4_PKT5_S8_PT6_21rocsparse_index_base_b
    .private_segment_fixed_size: 0
    .sgpr_count:     20
    .sgpr_spill_count: 0
    .symbol:         _ZN9rocsparseL18bsrxmvn_4x4_kernelILj128ELj16E21rocsparse_complex_numIdEllS1_IfES2_S2_EEvT3_20rocsparse_direction_NS_24const_host_device_scalarIT1_EES4_PKS4_PKT2_SD_SA_PKT4_PKT5_S8_PT6_21rocsparse_index_base_b.kd
    .uniform_work_group_size: 1
    .uses_dynamic_stack: false
    .vgpr_count:     137
    .vgpr_spill_count: 0
    .wavefront_size: 32
    .workgroup_processor_mode: 1
  - .args:
      - .offset:         0
        .size:           8
        .value_kind:     by_value
      - .offset:         8
        .size:           4
        .value_kind:     by_value
      - .offset:         16
        .size:           16
        .value_kind:     by_value
      - .offset:         32
        .size:           8
        .value_kind:     by_value
      - .actual_access:  read_only
        .address_space:  global
        .offset:         40
        .size:           8
        .value_kind:     global_buffer
      - .actual_access:  read_only
        .address_space:  global
        .offset:         48
        .size:           8
        .value_kind:     global_buffer
      - .actual_access:  read_only
        .address_space:  global
        .offset:         56
        .size:           8
        .value_kind:     global_buffer
      - .actual_access:  read_only
        .address_space:  global
        .offset:         64
        .size:           8
        .value_kind:     global_buffer
      - .actual_access:  read_only
        .address_space:  global
        .offset:         72
        .size:           8
        .value_kind:     global_buffer
      - .actual_access:  read_only
        .address_space:  global
        .offset:         80
        .size:           8
        .value_kind:     global_buffer
      - .offset:         88
        .size:           16
        .value_kind:     by_value
      - .address_space:  global
        .offset:         104
        .size:           8
        .value_kind:     global_buffer
      - .offset:         112
        .size:           4
        .value_kind:     by_value
      - .offset:         116
        .size:           1
        .value_kind:     by_value
    .group_segment_fixed_size: 2048
    .kernarg_segment_align: 8
    .kernarg_segment_size: 120
    .language:       OpenCL C
    .language_version:
      - 2
      - 0
    .max_flat_workgroup_size: 128
    .name:           _ZN9rocsparseL18bsrxmvn_4x4_kernelILj128ELj32E21rocsparse_complex_numIdEllS1_IfES2_S2_EEvT3_20rocsparse_direction_NS_24const_host_device_scalarIT1_EES4_PKS4_PKT2_SD_SA_PKT4_PKT5_S8_PT6_21rocsparse_index_base_b
    .private_segment_fixed_size: 0
    .sgpr_count:     20
    .sgpr_spill_count: 0
    .symbol:         _ZN9rocsparseL18bsrxmvn_4x4_kernelILj128ELj32E21rocsparse_complex_numIdEllS1_IfES2_S2_EEvT3_20rocsparse_direction_NS_24const_host_device_scalarIT1_EES4_PKS4_PKT2_SD_SA_PKT4_PKT5_S8_PT6_21rocsparse_index_base_b.kd
    .uniform_work_group_size: 1
    .uses_dynamic_stack: false
    .vgpr_count:     141
    .vgpr_spill_count: 0
    .wavefront_size: 32
    .workgroup_processor_mode: 1
  - .args:
      - .offset:         0
        .size:           8
        .value_kind:     by_value
      - .offset:         8
        .size:           4
        .value_kind:     by_value
      - .offset:         16
        .size:           16
        .value_kind:     by_value
      - .offset:         32
        .size:           8
        .value_kind:     by_value
      - .actual_access:  read_only
        .address_space:  global
        .offset:         40
        .size:           8
        .value_kind:     global_buffer
      - .actual_access:  read_only
        .address_space:  global
        .offset:         48
        .size:           8
        .value_kind:     global_buffer
      - .actual_access:  read_only
        .address_space:  global
        .offset:         56
        .size:           8
        .value_kind:     global_buffer
      - .actual_access:  read_only
        .address_space:  global
        .offset:         64
        .size:           8
        .value_kind:     global_buffer
      - .actual_access:  read_only
        .address_space:  global
        .offset:         72
        .size:           8
        .value_kind:     global_buffer
      - .actual_access:  read_only
        .address_space:  global
        .offset:         80
        .size:           8
        .value_kind:     global_buffer
      - .offset:         88
        .size:           16
        .value_kind:     by_value
      - .address_space:  global
        .offset:         104
        .size:           8
        .value_kind:     global_buffer
      - .offset:         112
        .size:           4
        .value_kind:     by_value
      - .offset:         116
        .size:           1
        .value_kind:     by_value
    .group_segment_fixed_size: 2048
    .kernarg_segment_align: 8
    .kernarg_segment_size: 120
    .language:       OpenCL C
    .language_version:
      - 2
      - 0
    .max_flat_workgroup_size: 128
    .name:           _ZN9rocsparseL18bsrxmvn_4x4_kernelILj128ELj64E21rocsparse_complex_numIdEllS1_IfES2_S2_EEvT3_20rocsparse_direction_NS_24const_host_device_scalarIT1_EES4_PKS4_PKT2_SD_SA_PKT4_PKT5_S8_PT6_21rocsparse_index_base_b
    .private_segment_fixed_size: 0
    .sgpr_count:     20
    .sgpr_spill_count: 0
    .symbol:         _ZN9rocsparseL18bsrxmvn_4x4_kernelILj128ELj64E21rocsparse_complex_numIdEllS1_IfES2_S2_EEvT3_20rocsparse_direction_NS_24const_host_device_scalarIT1_EES4_PKS4_PKT2_SD_SA_PKT4_PKT5_S8_PT6_21rocsparse_index_base_b.kd
    .uniform_work_group_size: 1
    .uses_dynamic_stack: false
    .vgpr_count:     137
    .vgpr_spill_count: 0
    .wavefront_size: 32
    .workgroup_processor_mode: 1
amdhsa.target:   amdgcn-amd-amdhsa--gfx1100
amdhsa.version:
  - 1
  - 2
...

	.end_amdgpu_metadata
